;; amdgpu-corpus repo=pytorch/pytorch kind=compiled arch=gfx1030 opt=O3
	.amdgcn_target "amdgcn-amd-amdhsa--gfx1030"
	.amdhsa_code_object_version 6
	.section	.text._ZN2at6native12_GLOBAL__N_130CatArrayBatchedCopy_vectorizedINS1_10OpaqueTypeILj1EEEjLi1ELi128ELi1ELi16ELi16EEEvPcNS1_25CatArrInputTensorMetadataIT_T0_XT2_EXT3_EEENS1_16TensorSizeStrideIS8_Lj4EEEiS8_,"axG",@progbits,_ZN2at6native12_GLOBAL__N_130CatArrayBatchedCopy_vectorizedINS1_10OpaqueTypeILj1EEEjLi1ELi128ELi1ELi16ELi16EEEvPcNS1_25CatArrInputTensorMetadataIT_T0_XT2_EXT3_EEENS1_16TensorSizeStrideIS8_Lj4EEEiS8_,comdat
	.globl	_ZN2at6native12_GLOBAL__N_130CatArrayBatchedCopy_vectorizedINS1_10OpaqueTypeILj1EEEjLi1ELi128ELi1ELi16ELi16EEEvPcNS1_25CatArrInputTensorMetadataIT_T0_XT2_EXT3_EEENS1_16TensorSizeStrideIS8_Lj4EEEiS8_ ; -- Begin function _ZN2at6native12_GLOBAL__N_130CatArrayBatchedCopy_vectorizedINS1_10OpaqueTypeILj1EEEjLi1ELi128ELi1ELi16ELi16EEEvPcNS1_25CatArrInputTensorMetadataIT_T0_XT2_EXT3_EEENS1_16TensorSizeStrideIS8_Lj4EEEiS8_
	.p2align	8
	.type	_ZN2at6native12_GLOBAL__N_130CatArrayBatchedCopy_vectorizedINS1_10OpaqueTypeILj1EEEjLi1ELi128ELi1ELi16ELi16EEEvPcNS1_25CatArrInputTensorMetadataIT_T0_XT2_EXT3_EEENS1_16TensorSizeStrideIS8_Lj4EEEiS8_,@function
_ZN2at6native12_GLOBAL__N_130CatArrayBatchedCopy_vectorizedINS1_10OpaqueTypeILj1EEEjLi1ELi128ELi1ELi16ELi16EEEvPcNS1_25CatArrInputTensorMetadataIT_T0_XT2_EXT3_EEENS1_16TensorSizeStrideIS8_Lj4EEEiS8_: ; @_ZN2at6native12_GLOBAL__N_130CatArrayBatchedCopy_vectorizedINS1_10OpaqueTypeILj1EEEjLi1ELi128ELi1ELi16ELi16EEEvPcNS1_25CatArrInputTensorMetadataIT_T0_XT2_EXT3_EEENS1_16TensorSizeStrideIS8_Lj4EEEiS8_
; %bb.0:
	s_mov_b32 s0, s7
	s_load_dword s7, s[4:5], 0xadc
	s_mov_b32 s1, 0
	s_add_u32 s8, s4, 0xad0
	s_addc_u32 s9, s5, 0
	s_lshl_b64 s[2:3], s[0:1], 2
	s_waitcnt lgkmcnt(0)
	s_and_b32 s0, s7, 0xffff
	s_add_u32 s10, s4, s2
	s_addc_u32 s11, s5, s3
	v_mad_u64_u32 v[0:1], null, s6, s0, v[0:1]
	s_load_dword s12, s[10:11], 0x808
	s_add_u32 s7, s10, 8
	s_addc_u32 s10, s11, 0
	s_mov_b32 s11, exec_lo
	s_waitcnt lgkmcnt(0)
	s_lshr_b32 s6, s12, 4
	v_cmpx_gt_u32_e64 s6, v0
	s_cbranch_execz .LBB0_3
; %bb.1:
	s_add_u32 s12, s7, s2
	s_addc_u32 s13, s10, s3
	s_sub_u32 s2, 0, s2
	s_subb_u32 s3, 0, s3
	s_add_u32 s10, s12, s2
	s_addc_u32 s11, s13, s3
	s_clause 0x3
	s_load_dword s7, s[4:5], 0xacc
	s_load_dwordx2 s[2:3], s[12:13], 0x0
	s_load_dword s12, s[4:5], 0xab8
	s_load_dword s10, s[10:11], 0x400
	;; [unrolled: 1-line block ×3, first 2 shown]
	s_load_dwordx2 s[8:9], s[4:5], 0x0
	v_mov_b32_e32 v3, 0
	s_waitcnt lgkmcnt(0)
	v_mul_lo_u32 v2, s12, v0
	s_mul_i32 s10, s10, s7
	s_mul_i32 s4, s11, s0
	s_and_b32 s5, s10, -16
	s_add_u32 s5, s8, s5
	s_addc_u32 s7, s9, 0
	s_mul_i32 s8, s4, s12
	.p2align	6
.LBB0_2:                                ; =>This Inner Loop Header: Depth=1
	v_mov_b32_e32 v1, v3
	v_lshlrev_b64 v[8:9], 4, v[2:3]
	v_add_nc_u32_e32 v2, s8, v2
	v_lshlrev_b64 v[4:5], 4, v[0:1]
	v_add_nc_u32_e32 v0, s4, v0
	v_cmp_le_u32_e64 s0, s6, v0
	v_add_co_u32 v4, vcc_lo, s2, v4
	v_add_co_ci_u32_e64 v5, null, s3, v5, vcc_lo
	v_add_co_u32 v8, vcc_lo, s5, v8
	v_add_co_ci_u32_e64 v9, null, s7, v9, vcc_lo
	global_load_dwordx4 v[4:7], v[4:5], off
	s_or_b32 s1, s0, s1
	s_waitcnt vmcnt(0)
	global_store_dwordx4 v[8:9], v[4:7], off
	s_andn2_b32 exec_lo, exec_lo, s1
	s_cbranch_execnz .LBB0_2
.LBB0_3:
	s_endpgm
	.section	.rodata,"a",@progbits
	.p2align	6, 0x0
	.amdhsa_kernel _ZN2at6native12_GLOBAL__N_130CatArrayBatchedCopy_vectorizedINS1_10OpaqueTypeILj1EEEjLi1ELi128ELi1ELi16ELi16EEEvPcNS1_25CatArrInputTensorMetadataIT_T0_XT2_EXT3_EEENS1_16TensorSizeStrideIS8_Lj4EEEiS8_
		.amdhsa_group_segment_fixed_size 0
		.amdhsa_private_segment_fixed_size 0
		.amdhsa_kernarg_size 3024
		.amdhsa_user_sgpr_count 6
		.amdhsa_user_sgpr_private_segment_buffer 1
		.amdhsa_user_sgpr_dispatch_ptr 0
		.amdhsa_user_sgpr_queue_ptr 0
		.amdhsa_user_sgpr_kernarg_segment_ptr 1
		.amdhsa_user_sgpr_dispatch_id 0
		.amdhsa_user_sgpr_flat_scratch_init 0
		.amdhsa_user_sgpr_private_segment_size 0
		.amdhsa_wavefront_size32 1
		.amdhsa_uses_dynamic_stack 0
		.amdhsa_system_sgpr_private_segment_wavefront_offset 0
		.amdhsa_system_sgpr_workgroup_id_x 1
		.amdhsa_system_sgpr_workgroup_id_y 1
		.amdhsa_system_sgpr_workgroup_id_z 0
		.amdhsa_system_sgpr_workgroup_info 0
		.amdhsa_system_vgpr_workitem_id 0
		.amdhsa_next_free_vgpr 10
		.amdhsa_next_free_sgpr 14
		.amdhsa_reserve_vcc 1
		.amdhsa_reserve_flat_scratch 0
		.amdhsa_float_round_mode_32 0
		.amdhsa_float_round_mode_16_64 0
		.amdhsa_float_denorm_mode_32 3
		.amdhsa_float_denorm_mode_16_64 3
		.amdhsa_dx10_clamp 1
		.amdhsa_ieee_mode 1
		.amdhsa_fp16_overflow 0
		.amdhsa_workgroup_processor_mode 1
		.amdhsa_memory_ordered 1
		.amdhsa_forward_progress 1
		.amdhsa_shared_vgpr_count 0
		.amdhsa_exception_fp_ieee_invalid_op 0
		.amdhsa_exception_fp_denorm_src 0
		.amdhsa_exception_fp_ieee_div_zero 0
		.amdhsa_exception_fp_ieee_overflow 0
		.amdhsa_exception_fp_ieee_underflow 0
		.amdhsa_exception_fp_ieee_inexact 0
		.amdhsa_exception_int_div_zero 0
	.end_amdhsa_kernel
	.section	.text._ZN2at6native12_GLOBAL__N_130CatArrayBatchedCopy_vectorizedINS1_10OpaqueTypeILj1EEEjLi1ELi128ELi1ELi16ELi16EEEvPcNS1_25CatArrInputTensorMetadataIT_T0_XT2_EXT3_EEENS1_16TensorSizeStrideIS8_Lj4EEEiS8_,"axG",@progbits,_ZN2at6native12_GLOBAL__N_130CatArrayBatchedCopy_vectorizedINS1_10OpaqueTypeILj1EEEjLi1ELi128ELi1ELi16ELi16EEEvPcNS1_25CatArrInputTensorMetadataIT_T0_XT2_EXT3_EEENS1_16TensorSizeStrideIS8_Lj4EEEiS8_,comdat
.Lfunc_end0:
	.size	_ZN2at6native12_GLOBAL__N_130CatArrayBatchedCopy_vectorizedINS1_10OpaqueTypeILj1EEEjLi1ELi128ELi1ELi16ELi16EEEvPcNS1_25CatArrInputTensorMetadataIT_T0_XT2_EXT3_EEENS1_16TensorSizeStrideIS8_Lj4EEEiS8_, .Lfunc_end0-_ZN2at6native12_GLOBAL__N_130CatArrayBatchedCopy_vectorizedINS1_10OpaqueTypeILj1EEEjLi1ELi128ELi1ELi16ELi16EEEvPcNS1_25CatArrInputTensorMetadataIT_T0_XT2_EXT3_EEENS1_16TensorSizeStrideIS8_Lj4EEEiS8_
                                        ; -- End function
	.set _ZN2at6native12_GLOBAL__N_130CatArrayBatchedCopy_vectorizedINS1_10OpaqueTypeILj1EEEjLi1ELi128ELi1ELi16ELi16EEEvPcNS1_25CatArrInputTensorMetadataIT_T0_XT2_EXT3_EEENS1_16TensorSizeStrideIS8_Lj4EEEiS8_.num_vgpr, 10
	.set _ZN2at6native12_GLOBAL__N_130CatArrayBatchedCopy_vectorizedINS1_10OpaqueTypeILj1EEEjLi1ELi128ELi1ELi16ELi16EEEvPcNS1_25CatArrInputTensorMetadataIT_T0_XT2_EXT3_EEENS1_16TensorSizeStrideIS8_Lj4EEEiS8_.num_agpr, 0
	.set _ZN2at6native12_GLOBAL__N_130CatArrayBatchedCopy_vectorizedINS1_10OpaqueTypeILj1EEEjLi1ELi128ELi1ELi16ELi16EEEvPcNS1_25CatArrInputTensorMetadataIT_T0_XT2_EXT3_EEENS1_16TensorSizeStrideIS8_Lj4EEEiS8_.numbered_sgpr, 14
	.set _ZN2at6native12_GLOBAL__N_130CatArrayBatchedCopy_vectorizedINS1_10OpaqueTypeILj1EEEjLi1ELi128ELi1ELi16ELi16EEEvPcNS1_25CatArrInputTensorMetadataIT_T0_XT2_EXT3_EEENS1_16TensorSizeStrideIS8_Lj4EEEiS8_.num_named_barrier, 0
	.set _ZN2at6native12_GLOBAL__N_130CatArrayBatchedCopy_vectorizedINS1_10OpaqueTypeILj1EEEjLi1ELi128ELi1ELi16ELi16EEEvPcNS1_25CatArrInputTensorMetadataIT_T0_XT2_EXT3_EEENS1_16TensorSizeStrideIS8_Lj4EEEiS8_.private_seg_size, 0
	.set _ZN2at6native12_GLOBAL__N_130CatArrayBatchedCopy_vectorizedINS1_10OpaqueTypeILj1EEEjLi1ELi128ELi1ELi16ELi16EEEvPcNS1_25CatArrInputTensorMetadataIT_T0_XT2_EXT3_EEENS1_16TensorSizeStrideIS8_Lj4EEEiS8_.uses_vcc, 1
	.set _ZN2at6native12_GLOBAL__N_130CatArrayBatchedCopy_vectorizedINS1_10OpaqueTypeILj1EEEjLi1ELi128ELi1ELi16ELi16EEEvPcNS1_25CatArrInputTensorMetadataIT_T0_XT2_EXT3_EEENS1_16TensorSizeStrideIS8_Lj4EEEiS8_.uses_flat_scratch, 0
	.set _ZN2at6native12_GLOBAL__N_130CatArrayBatchedCopy_vectorizedINS1_10OpaqueTypeILj1EEEjLi1ELi128ELi1ELi16ELi16EEEvPcNS1_25CatArrInputTensorMetadataIT_T0_XT2_EXT3_EEENS1_16TensorSizeStrideIS8_Lj4EEEiS8_.has_dyn_sized_stack, 0
	.set _ZN2at6native12_GLOBAL__N_130CatArrayBatchedCopy_vectorizedINS1_10OpaqueTypeILj1EEEjLi1ELi128ELi1ELi16ELi16EEEvPcNS1_25CatArrInputTensorMetadataIT_T0_XT2_EXT3_EEENS1_16TensorSizeStrideIS8_Lj4EEEiS8_.has_recursion, 0
	.set _ZN2at6native12_GLOBAL__N_130CatArrayBatchedCopy_vectorizedINS1_10OpaqueTypeILj1EEEjLi1ELi128ELi1ELi16ELi16EEEvPcNS1_25CatArrInputTensorMetadataIT_T0_XT2_EXT3_EEENS1_16TensorSizeStrideIS8_Lj4EEEiS8_.has_indirect_call, 0
	.section	.AMDGPU.csdata,"",@progbits
; Kernel info:
; codeLenInByte = 360
; TotalNumSgprs: 16
; NumVgprs: 10
; ScratchSize: 0
; MemoryBound: 0
; FloatMode: 240
; IeeeMode: 1
; LDSByteSize: 0 bytes/workgroup (compile time only)
; SGPRBlocks: 0
; VGPRBlocks: 1
; NumSGPRsForWavesPerEU: 16
; NumVGPRsForWavesPerEU: 10
; Occupancy: 16
; WaveLimiterHint : 1
; COMPUTE_PGM_RSRC2:SCRATCH_EN: 0
; COMPUTE_PGM_RSRC2:USER_SGPR: 6
; COMPUTE_PGM_RSRC2:TRAP_HANDLER: 0
; COMPUTE_PGM_RSRC2:TGID_X_EN: 1
; COMPUTE_PGM_RSRC2:TGID_Y_EN: 1
; COMPUTE_PGM_RSRC2:TGID_Z_EN: 0
; COMPUTE_PGM_RSRC2:TIDIG_COMP_CNT: 0
	.section	.text._ZN2at6native12_GLOBAL__N_135CatArrayBatchedCopy_alignedK_contigINS1_10OpaqueTypeILj1EEEjLi1ELi128ELi1ELi16EEEvPT_NS1_25CatArrInputTensorMetadataIS5_T0_XT2_EXT3_EEENS1_16TensorSizeStrideIS8_Lj4EEEiS8_,"axG",@progbits,_ZN2at6native12_GLOBAL__N_135CatArrayBatchedCopy_alignedK_contigINS1_10OpaqueTypeILj1EEEjLi1ELi128ELi1ELi16EEEvPT_NS1_25CatArrInputTensorMetadataIS5_T0_XT2_EXT3_EEENS1_16TensorSizeStrideIS8_Lj4EEEiS8_,comdat
	.globl	_ZN2at6native12_GLOBAL__N_135CatArrayBatchedCopy_alignedK_contigINS1_10OpaqueTypeILj1EEEjLi1ELi128ELi1ELi16EEEvPT_NS1_25CatArrInputTensorMetadataIS5_T0_XT2_EXT3_EEENS1_16TensorSizeStrideIS8_Lj4EEEiS8_ ; -- Begin function _ZN2at6native12_GLOBAL__N_135CatArrayBatchedCopy_alignedK_contigINS1_10OpaqueTypeILj1EEEjLi1ELi128ELi1ELi16EEEvPT_NS1_25CatArrInputTensorMetadataIS5_T0_XT2_EXT3_EEENS1_16TensorSizeStrideIS8_Lj4EEEiS8_
	.p2align	8
	.type	_ZN2at6native12_GLOBAL__N_135CatArrayBatchedCopy_alignedK_contigINS1_10OpaqueTypeILj1EEEjLi1ELi128ELi1ELi16EEEvPT_NS1_25CatArrInputTensorMetadataIS5_T0_XT2_EXT3_EEENS1_16TensorSizeStrideIS8_Lj4EEEiS8_,@function
_ZN2at6native12_GLOBAL__N_135CatArrayBatchedCopy_alignedK_contigINS1_10OpaqueTypeILj1EEEjLi1ELi128ELi1ELi16EEEvPT_NS1_25CatArrInputTensorMetadataIS5_T0_XT2_EXT3_EEENS1_16TensorSizeStrideIS8_Lj4EEEiS8_: ; @_ZN2at6native12_GLOBAL__N_135CatArrayBatchedCopy_alignedK_contigINS1_10OpaqueTypeILj1EEEjLi1ELi128ELi1ELi16EEEvPT_NS1_25CatArrInputTensorMetadataIS5_T0_XT2_EXT3_EEENS1_16TensorSizeStrideIS8_Lj4EEEiS8_
; %bb.0:
	s_load_dword s2, s[4:5], 0xadc
	s_mov_b32 s0, s7
	s_mov_b32 s1, 0
	s_add_u32 s8, s4, 0xad0
	s_addc_u32 s9, s5, 0
	s_lshl_b64 s[0:1], s[0:1], 2
	s_waitcnt lgkmcnt(0)
	s_and_b32 s10, s2, 0xffff
	s_add_u32 s2, s4, s0
	s_addc_u32 s3, s5, s1
	v_mad_u64_u32 v[2:3], null, s6, s10, v[0:1]
	s_load_dword s7, s[2:3], 0x808
	s_add_u32 s2, s2, 8
	s_addc_u32 s3, s3, 0
	s_mov_b32 s6, exec_lo
	v_lshlrev_b32_e32 v3, 4, v2
	s_waitcnt lgkmcnt(0)
	v_cmpx_gt_u32_e64 s7, v3
	s_cbranch_execz .LBB1_8
; %bb.1:
	s_add_u32 s2, s2, s0
	s_addc_u32 s3, s3, s1
	s_sub_u32 s0, 0, s0
	s_subb_u32 s1, 0, s1
	s_add_u32 s0, s2, s0
	s_addc_u32 s1, s3, s1
	v_add_nc_u32_e32 v0, 16, v3
	s_clause 0x4
	s_load_dword s6, s[0:1], 0x400
	s_load_dwordx2 s[0:1], s[4:5], 0x0
	s_load_dword s11, s[4:5], 0xacc
	s_load_dwordx2 s[2:3], s[2:3], 0x0
	s_load_dword s4, s[4:5], 0xab8
	s_mov_b32 s5, exec_lo
	s_waitcnt lgkmcnt(0)
	s_mul_i32 s6, s6, s11
	v_cmpx_ge_u32_e64 s7, v0
	s_cbranch_execz .LBB1_5
; %bb.2:
	s_load_dword s8, s[8:9], 0x0
	v_mad_u64_u32 v[0:1], null, s4, v3, s[4:5]
	v_add_nc_u32_e32 v1, 2, v3
	v_add_nc_u32_e32 v4, 3, v3
	;; [unrolled: 1-line block ×14, first 2 shown]
	v_mul_lo_u32 v17, s4, v2
	v_mul_lo_u32 v1, s4, v1
	;; [unrolled: 1-line block ×15, first 2 shown]
	s_waitcnt lgkmcnt(0)
	s_mul_i32 s9, s8, s10
	v_lshlrev_b32_e32 v16, 4, v17
	s_lshl_b32 s8, s9, 4
	s_mul_i32 s9, s9, s4
	s_mov_b32 s11, s6
	s_lshl_b32 s10, s9, 4
	s_mov_b32 s9, 0
.LBB1_3:                                ; =>This Inner Loop Header: Depth=1
	global_load_dwordx4 v[17:20], v3, s[2:3]
	v_add_nc_u32_e32 v3, s8, v3
	v_add_nc_u32_e32 v21, s11, v16
	;; [unrolled: 1-line block ×10, first 2 shown]
	v_cmp_lt_u32_e32 vcc_lo, s7, v37
	v_add_nc_u32_e32 v29, s11, v9
	v_add_nc_u32_e32 v30, s11, v10
	;; [unrolled: 1-line block ×8, first 2 shown]
	s_add_i32 s11, s11, s10
	s_or_b32 s9, vcc_lo, s9
	s_waitcnt vmcnt(0)
	v_lshrrev_b32_e32 v37, 8, v17
	v_lshrrev_b32_e32 v38, 24, v17
	;; [unrolled: 1-line block ×8, first 2 shown]
	global_store_byte v21, v17, s[0:1]
	global_store_byte v22, v37, s[0:1]
	global_store_byte_d16_hi v23, v17, s[0:1]
	global_store_byte v24, v38, s[0:1]
	global_store_byte v25, v18, s[0:1]
	global_store_byte v26, v39, s[0:1]
	global_store_byte_d16_hi v27, v18, s[0:1]
	global_store_byte v28, v40, s[0:1]
	;; [unrolled: 4-line block ×4, first 2 shown]
	s_andn2_b32 exec_lo, exec_lo, s9
	s_cbranch_execnz .LBB1_3
; %bb.4:
	s_or_b32 exec_lo, exec_lo, s9
.LBB1_5:
	s_or_b32 exec_lo, exec_lo, s5
	v_cmp_gt_u32_e32 vcc_lo, s7, v3
	s_and_b32 exec_lo, exec_lo, vcc_lo
	s_cbranch_execz .LBB1_8
; %bb.6:
	v_mad_u64_u32 v[0:1], null, v3, s4, s[6:7]
	v_mov_b32_e32 v1, 0
	s_mov_b32 s5, 0
	.p2align	6
.LBB1_7:                                ; =>This Inner Loop Header: Depth=1
	v_add_co_u32 v4, vcc_lo, s2, v3
	v_add_co_ci_u32_e64 v5, null, s3, v1, vcc_lo
	v_add_co_u32 v3, vcc_lo, v3, 1
	v_add_co_ci_u32_e64 v1, null, 0, v1, vcc_lo
	global_load_ubyte v2, v[4:5], off
	v_cmp_le_u32_e32 vcc_lo, s7, v3
	s_or_b32 s5, vcc_lo, s5
	s_waitcnt vmcnt(0)
	global_store_byte v0, v2, s[0:1]
	v_add_nc_u32_e32 v0, s4, v0
	s_andn2_b32 exec_lo, exec_lo, s5
	s_cbranch_execnz .LBB1_7
.LBB1_8:
	s_endpgm
	.section	.rodata,"a",@progbits
	.p2align	6, 0x0
	.amdhsa_kernel _ZN2at6native12_GLOBAL__N_135CatArrayBatchedCopy_alignedK_contigINS1_10OpaqueTypeILj1EEEjLi1ELi128ELi1ELi16EEEvPT_NS1_25CatArrInputTensorMetadataIS5_T0_XT2_EXT3_EEENS1_16TensorSizeStrideIS8_Lj4EEEiS8_
		.amdhsa_group_segment_fixed_size 0
		.amdhsa_private_segment_fixed_size 0
		.amdhsa_kernarg_size 3024
		.amdhsa_user_sgpr_count 6
		.amdhsa_user_sgpr_private_segment_buffer 1
		.amdhsa_user_sgpr_dispatch_ptr 0
		.amdhsa_user_sgpr_queue_ptr 0
		.amdhsa_user_sgpr_kernarg_segment_ptr 1
		.amdhsa_user_sgpr_dispatch_id 0
		.amdhsa_user_sgpr_flat_scratch_init 0
		.amdhsa_user_sgpr_private_segment_size 0
		.amdhsa_wavefront_size32 1
		.amdhsa_uses_dynamic_stack 0
		.amdhsa_system_sgpr_private_segment_wavefront_offset 0
		.amdhsa_system_sgpr_workgroup_id_x 1
		.amdhsa_system_sgpr_workgroup_id_y 1
		.amdhsa_system_sgpr_workgroup_id_z 0
		.amdhsa_system_sgpr_workgroup_info 0
		.amdhsa_system_vgpr_workitem_id 0
		.amdhsa_next_free_vgpr 45
		.amdhsa_next_free_sgpr 12
		.amdhsa_reserve_vcc 1
		.amdhsa_reserve_flat_scratch 0
		.amdhsa_float_round_mode_32 0
		.amdhsa_float_round_mode_16_64 0
		.amdhsa_float_denorm_mode_32 3
		.amdhsa_float_denorm_mode_16_64 3
		.amdhsa_dx10_clamp 1
		.amdhsa_ieee_mode 1
		.amdhsa_fp16_overflow 0
		.amdhsa_workgroup_processor_mode 1
		.amdhsa_memory_ordered 1
		.amdhsa_forward_progress 1
		.amdhsa_shared_vgpr_count 0
		.amdhsa_exception_fp_ieee_invalid_op 0
		.amdhsa_exception_fp_denorm_src 0
		.amdhsa_exception_fp_ieee_div_zero 0
		.amdhsa_exception_fp_ieee_overflow 0
		.amdhsa_exception_fp_ieee_underflow 0
		.amdhsa_exception_fp_ieee_inexact 0
		.amdhsa_exception_int_div_zero 0
	.end_amdhsa_kernel
	.section	.text._ZN2at6native12_GLOBAL__N_135CatArrayBatchedCopy_alignedK_contigINS1_10OpaqueTypeILj1EEEjLi1ELi128ELi1ELi16EEEvPT_NS1_25CatArrInputTensorMetadataIS5_T0_XT2_EXT3_EEENS1_16TensorSizeStrideIS8_Lj4EEEiS8_,"axG",@progbits,_ZN2at6native12_GLOBAL__N_135CatArrayBatchedCopy_alignedK_contigINS1_10OpaqueTypeILj1EEEjLi1ELi128ELi1ELi16EEEvPT_NS1_25CatArrInputTensorMetadataIS5_T0_XT2_EXT3_EEENS1_16TensorSizeStrideIS8_Lj4EEEiS8_,comdat
.Lfunc_end1:
	.size	_ZN2at6native12_GLOBAL__N_135CatArrayBatchedCopy_alignedK_contigINS1_10OpaqueTypeILj1EEEjLi1ELi128ELi1ELi16EEEvPT_NS1_25CatArrInputTensorMetadataIS5_T0_XT2_EXT3_EEENS1_16TensorSizeStrideIS8_Lj4EEEiS8_, .Lfunc_end1-_ZN2at6native12_GLOBAL__N_135CatArrayBatchedCopy_alignedK_contigINS1_10OpaqueTypeILj1EEEjLi1ELi128ELi1ELi16EEEvPT_NS1_25CatArrInputTensorMetadataIS5_T0_XT2_EXT3_EEENS1_16TensorSizeStrideIS8_Lj4EEEiS8_
                                        ; -- End function
	.set _ZN2at6native12_GLOBAL__N_135CatArrayBatchedCopy_alignedK_contigINS1_10OpaqueTypeILj1EEEjLi1ELi128ELi1ELi16EEEvPT_NS1_25CatArrInputTensorMetadataIS5_T0_XT2_EXT3_EEENS1_16TensorSizeStrideIS8_Lj4EEEiS8_.num_vgpr, 45
	.set _ZN2at6native12_GLOBAL__N_135CatArrayBatchedCopy_alignedK_contigINS1_10OpaqueTypeILj1EEEjLi1ELi128ELi1ELi16EEEvPT_NS1_25CatArrInputTensorMetadataIS5_T0_XT2_EXT3_EEENS1_16TensorSizeStrideIS8_Lj4EEEiS8_.num_agpr, 0
	.set _ZN2at6native12_GLOBAL__N_135CatArrayBatchedCopy_alignedK_contigINS1_10OpaqueTypeILj1EEEjLi1ELi128ELi1ELi16EEEvPT_NS1_25CatArrInputTensorMetadataIS5_T0_XT2_EXT3_EEENS1_16TensorSizeStrideIS8_Lj4EEEiS8_.numbered_sgpr, 12
	.set _ZN2at6native12_GLOBAL__N_135CatArrayBatchedCopy_alignedK_contigINS1_10OpaqueTypeILj1EEEjLi1ELi128ELi1ELi16EEEvPT_NS1_25CatArrInputTensorMetadataIS5_T0_XT2_EXT3_EEENS1_16TensorSizeStrideIS8_Lj4EEEiS8_.num_named_barrier, 0
	.set _ZN2at6native12_GLOBAL__N_135CatArrayBatchedCopy_alignedK_contigINS1_10OpaqueTypeILj1EEEjLi1ELi128ELi1ELi16EEEvPT_NS1_25CatArrInputTensorMetadataIS5_T0_XT2_EXT3_EEENS1_16TensorSizeStrideIS8_Lj4EEEiS8_.private_seg_size, 0
	.set _ZN2at6native12_GLOBAL__N_135CatArrayBatchedCopy_alignedK_contigINS1_10OpaqueTypeILj1EEEjLi1ELi128ELi1ELi16EEEvPT_NS1_25CatArrInputTensorMetadataIS5_T0_XT2_EXT3_EEENS1_16TensorSizeStrideIS8_Lj4EEEiS8_.uses_vcc, 1
	.set _ZN2at6native12_GLOBAL__N_135CatArrayBatchedCopy_alignedK_contigINS1_10OpaqueTypeILj1EEEjLi1ELi128ELi1ELi16EEEvPT_NS1_25CatArrInputTensorMetadataIS5_T0_XT2_EXT3_EEENS1_16TensorSizeStrideIS8_Lj4EEEiS8_.uses_flat_scratch, 0
	.set _ZN2at6native12_GLOBAL__N_135CatArrayBatchedCopy_alignedK_contigINS1_10OpaqueTypeILj1EEEjLi1ELi128ELi1ELi16EEEvPT_NS1_25CatArrInputTensorMetadataIS5_T0_XT2_EXT3_EEENS1_16TensorSizeStrideIS8_Lj4EEEiS8_.has_dyn_sized_stack, 0
	.set _ZN2at6native12_GLOBAL__N_135CatArrayBatchedCopy_alignedK_contigINS1_10OpaqueTypeILj1EEEjLi1ELi128ELi1ELi16EEEvPT_NS1_25CatArrInputTensorMetadataIS5_T0_XT2_EXT3_EEENS1_16TensorSizeStrideIS8_Lj4EEEiS8_.has_recursion, 0
	.set _ZN2at6native12_GLOBAL__N_135CatArrayBatchedCopy_alignedK_contigINS1_10OpaqueTypeILj1EEEjLi1ELi128ELi1ELi16EEEvPT_NS1_25CatArrInputTensorMetadataIS5_T0_XT2_EXT3_EEENS1_16TensorSizeStrideIS8_Lj4EEEiS8_.has_indirect_call, 0
	.section	.AMDGPU.csdata,"",@progbits
; Kernel info:
; codeLenInByte = 844
; TotalNumSgprs: 14
; NumVgprs: 45
; ScratchSize: 0
; MemoryBound: 0
; FloatMode: 240
; IeeeMode: 1
; LDSByteSize: 0 bytes/workgroup (compile time only)
; SGPRBlocks: 0
; VGPRBlocks: 5
; NumSGPRsForWavesPerEU: 14
; NumVGPRsForWavesPerEU: 45
; Occupancy: 16
; WaveLimiterHint : 1
; COMPUTE_PGM_RSRC2:SCRATCH_EN: 0
; COMPUTE_PGM_RSRC2:USER_SGPR: 6
; COMPUTE_PGM_RSRC2:TRAP_HANDLER: 0
; COMPUTE_PGM_RSRC2:TGID_X_EN: 1
; COMPUTE_PGM_RSRC2:TGID_Y_EN: 1
; COMPUTE_PGM_RSRC2:TGID_Z_EN: 0
; COMPUTE_PGM_RSRC2:TIDIG_COMP_CNT: 0
	.section	.text._ZN2at6native12_GLOBAL__N_135CatArrayBatchedCopy_alignedK_contigINS1_10OpaqueTypeILj1EEEjLi1ELi128ELi1ELi8EEEvPT_NS1_25CatArrInputTensorMetadataIS5_T0_XT2_EXT3_EEENS1_16TensorSizeStrideIS8_Lj4EEEiS8_,"axG",@progbits,_ZN2at6native12_GLOBAL__N_135CatArrayBatchedCopy_alignedK_contigINS1_10OpaqueTypeILj1EEEjLi1ELi128ELi1ELi8EEEvPT_NS1_25CatArrInputTensorMetadataIS5_T0_XT2_EXT3_EEENS1_16TensorSizeStrideIS8_Lj4EEEiS8_,comdat
	.globl	_ZN2at6native12_GLOBAL__N_135CatArrayBatchedCopy_alignedK_contigINS1_10OpaqueTypeILj1EEEjLi1ELi128ELi1ELi8EEEvPT_NS1_25CatArrInputTensorMetadataIS5_T0_XT2_EXT3_EEENS1_16TensorSizeStrideIS8_Lj4EEEiS8_ ; -- Begin function _ZN2at6native12_GLOBAL__N_135CatArrayBatchedCopy_alignedK_contigINS1_10OpaqueTypeILj1EEEjLi1ELi128ELi1ELi8EEEvPT_NS1_25CatArrInputTensorMetadataIS5_T0_XT2_EXT3_EEENS1_16TensorSizeStrideIS8_Lj4EEEiS8_
	.p2align	8
	.type	_ZN2at6native12_GLOBAL__N_135CatArrayBatchedCopy_alignedK_contigINS1_10OpaqueTypeILj1EEEjLi1ELi128ELi1ELi8EEEvPT_NS1_25CatArrInputTensorMetadataIS5_T0_XT2_EXT3_EEENS1_16TensorSizeStrideIS8_Lj4EEEiS8_,@function
_ZN2at6native12_GLOBAL__N_135CatArrayBatchedCopy_alignedK_contigINS1_10OpaqueTypeILj1EEEjLi1ELi128ELi1ELi8EEEvPT_NS1_25CatArrInputTensorMetadataIS5_T0_XT2_EXT3_EEENS1_16TensorSizeStrideIS8_Lj4EEEiS8_: ; @_ZN2at6native12_GLOBAL__N_135CatArrayBatchedCopy_alignedK_contigINS1_10OpaqueTypeILj1EEEjLi1ELi128ELi1ELi8EEEvPT_NS1_25CatArrInputTensorMetadataIS5_T0_XT2_EXT3_EEENS1_16TensorSizeStrideIS8_Lj4EEEiS8_
; %bb.0:
	s_load_dword s2, s[4:5], 0xadc
	s_mov_b32 s0, s7
	s_mov_b32 s1, 0
	s_add_u32 s8, s4, 0xad0
	s_addc_u32 s9, s5, 0
	s_lshl_b64 s[0:1], s[0:1], 2
	s_waitcnt lgkmcnt(0)
	s_and_b32 s10, s2, 0xffff
	s_add_u32 s2, s4, s0
	s_addc_u32 s3, s5, s1
	v_mad_u64_u32 v[2:3], null, s6, s10, v[0:1]
	s_load_dword s7, s[2:3], 0x808
	s_add_u32 s2, s2, 8
	s_addc_u32 s3, s3, 0
	s_mov_b32 s6, exec_lo
	v_lshlrev_b32_e32 v3, 3, v2
	s_waitcnt lgkmcnt(0)
	v_cmpx_gt_u32_e64 s7, v3
	s_cbranch_execz .LBB2_8
; %bb.1:
	s_add_u32 s2, s2, s0
	s_addc_u32 s3, s3, s1
	s_sub_u32 s0, 0, s0
	s_subb_u32 s1, 0, s1
	s_add_u32 s0, s2, s0
	s_addc_u32 s1, s3, s1
	v_add_nc_u32_e32 v0, 8, v3
	s_clause 0x4
	s_load_dword s6, s[0:1], 0x400
	s_load_dwordx2 s[0:1], s[4:5], 0x0
	s_load_dword s11, s[4:5], 0xacc
	s_load_dwordx2 s[2:3], s[2:3], 0x0
	s_load_dword s4, s[4:5], 0xab8
	s_mov_b32 s5, exec_lo
	s_waitcnt lgkmcnt(0)
	s_mul_i32 s6, s6, s11
	v_cmpx_ge_u32_e64 s7, v0
	s_cbranch_execz .LBB2_5
; %bb.2:
	s_load_dword s9, s[8:9], 0x0
	v_mad_u64_u32 v[0:1], null, s4, v3, s[4:5]
	v_add_nc_u32_e32 v1, 2, v3
	v_add_nc_u32_e32 v4, 3, v3
	;; [unrolled: 1-line block ×6, first 2 shown]
	v_mul_lo_u32 v9, s4, v2
	v_mul_lo_u32 v1, s4, v1
	;; [unrolled: 1-line block ×7, first 2 shown]
	s_mov_b32 s8, 0
	v_lshlrev_b32_e32 v8, 3, v9
	s_mov_b32 s11, s6
	s_waitcnt lgkmcnt(0)
	s_mul_i32 s9, s9, s10
	s_mul_i32 s10, s9, s4
	s_lshl_b32 s9, s9, 3
	s_lshl_b32 s10, s10, 3
	s_inst_prefetch 0x1
	.p2align	6
.LBB2_3:                                ; =>This Inner Loop Header: Depth=1
	global_load_dwordx2 v[9:10], v3, s[2:3]
	v_add_nc_u32_e32 v3, s9, v3
	v_add_nc_u32_e32 v11, s11, v8
	;; [unrolled: 1-line block ×10, first 2 shown]
	v_cmp_lt_u32_e32 vcc_lo, s7, v19
	s_add_i32 s11, s11, s10
	s_or_b32 s8, vcc_lo, s8
	s_waitcnt vmcnt(0)
	v_lshrrev_b32_e32 v19, 8, v9
	v_lshrrev_b32_e32 v20, 24, v9
	;; [unrolled: 1-line block ×4, first 2 shown]
	global_store_byte v11, v9, s[0:1]
	global_store_byte v12, v19, s[0:1]
	global_store_byte_d16_hi v13, v9, s[0:1]
	global_store_byte v14, v20, s[0:1]
	global_store_byte v15, v10, s[0:1]
	;; [unrolled: 1-line block ×3, first 2 shown]
	global_store_byte_d16_hi v17, v10, s[0:1]
	global_store_byte v18, v22, s[0:1]
	s_andn2_b32 exec_lo, exec_lo, s8
	s_cbranch_execnz .LBB2_3
; %bb.4:
	s_inst_prefetch 0x2
	s_or_b32 exec_lo, exec_lo, s8
.LBB2_5:
	s_or_b32 exec_lo, exec_lo, s5
	v_cmp_gt_u32_e32 vcc_lo, s7, v3
	s_and_b32 exec_lo, exec_lo, vcc_lo
	s_cbranch_execz .LBB2_8
; %bb.6:
	v_mad_u64_u32 v[0:1], null, v3, s4, s[6:7]
	v_mov_b32_e32 v1, 0
	s_mov_b32 s5, 0
	.p2align	6
.LBB2_7:                                ; =>This Inner Loop Header: Depth=1
	v_add_co_u32 v4, vcc_lo, s2, v3
	v_add_co_ci_u32_e64 v5, null, s3, v1, vcc_lo
	v_add_co_u32 v3, vcc_lo, v3, 1
	v_add_co_ci_u32_e64 v1, null, 0, v1, vcc_lo
	global_load_ubyte v2, v[4:5], off
	v_cmp_le_u32_e32 vcc_lo, s7, v3
	s_or_b32 s5, vcc_lo, s5
	s_waitcnt vmcnt(0)
	global_store_byte v0, v2, s[0:1]
	v_add_nc_u32_e32 v0, s4, v0
	s_andn2_b32 exec_lo, exec_lo, s5
	s_cbranch_execnz .LBB2_7
.LBB2_8:
	s_endpgm
	.section	.rodata,"a",@progbits
	.p2align	6, 0x0
	.amdhsa_kernel _ZN2at6native12_GLOBAL__N_135CatArrayBatchedCopy_alignedK_contigINS1_10OpaqueTypeILj1EEEjLi1ELi128ELi1ELi8EEEvPT_NS1_25CatArrInputTensorMetadataIS5_T0_XT2_EXT3_EEENS1_16TensorSizeStrideIS8_Lj4EEEiS8_
		.amdhsa_group_segment_fixed_size 0
		.amdhsa_private_segment_fixed_size 0
		.amdhsa_kernarg_size 3024
		.amdhsa_user_sgpr_count 6
		.amdhsa_user_sgpr_private_segment_buffer 1
		.amdhsa_user_sgpr_dispatch_ptr 0
		.amdhsa_user_sgpr_queue_ptr 0
		.amdhsa_user_sgpr_kernarg_segment_ptr 1
		.amdhsa_user_sgpr_dispatch_id 0
		.amdhsa_user_sgpr_flat_scratch_init 0
		.amdhsa_user_sgpr_private_segment_size 0
		.amdhsa_wavefront_size32 1
		.amdhsa_uses_dynamic_stack 0
		.amdhsa_system_sgpr_private_segment_wavefront_offset 0
		.amdhsa_system_sgpr_workgroup_id_x 1
		.amdhsa_system_sgpr_workgroup_id_y 1
		.amdhsa_system_sgpr_workgroup_id_z 0
		.amdhsa_system_sgpr_workgroup_info 0
		.amdhsa_system_vgpr_workitem_id 0
		.amdhsa_next_free_vgpr 23
		.amdhsa_next_free_sgpr 12
		.amdhsa_reserve_vcc 1
		.amdhsa_reserve_flat_scratch 0
		.amdhsa_float_round_mode_32 0
		.amdhsa_float_round_mode_16_64 0
		.amdhsa_float_denorm_mode_32 3
		.amdhsa_float_denorm_mode_16_64 3
		.amdhsa_dx10_clamp 1
		.amdhsa_ieee_mode 1
		.amdhsa_fp16_overflow 0
		.amdhsa_workgroup_processor_mode 1
		.amdhsa_memory_ordered 1
		.amdhsa_forward_progress 1
		.amdhsa_shared_vgpr_count 0
		.amdhsa_exception_fp_ieee_invalid_op 0
		.amdhsa_exception_fp_denorm_src 0
		.amdhsa_exception_fp_ieee_div_zero 0
		.amdhsa_exception_fp_ieee_overflow 0
		.amdhsa_exception_fp_ieee_underflow 0
		.amdhsa_exception_fp_ieee_inexact 0
		.amdhsa_exception_int_div_zero 0
	.end_amdhsa_kernel
	.section	.text._ZN2at6native12_GLOBAL__N_135CatArrayBatchedCopy_alignedK_contigINS1_10OpaqueTypeILj1EEEjLi1ELi128ELi1ELi8EEEvPT_NS1_25CatArrInputTensorMetadataIS5_T0_XT2_EXT3_EEENS1_16TensorSizeStrideIS8_Lj4EEEiS8_,"axG",@progbits,_ZN2at6native12_GLOBAL__N_135CatArrayBatchedCopy_alignedK_contigINS1_10OpaqueTypeILj1EEEjLi1ELi128ELi1ELi8EEEvPT_NS1_25CatArrInputTensorMetadataIS5_T0_XT2_EXT3_EEENS1_16TensorSizeStrideIS8_Lj4EEEiS8_,comdat
.Lfunc_end2:
	.size	_ZN2at6native12_GLOBAL__N_135CatArrayBatchedCopy_alignedK_contigINS1_10OpaqueTypeILj1EEEjLi1ELi128ELi1ELi8EEEvPT_NS1_25CatArrInputTensorMetadataIS5_T0_XT2_EXT3_EEENS1_16TensorSizeStrideIS8_Lj4EEEiS8_, .Lfunc_end2-_ZN2at6native12_GLOBAL__N_135CatArrayBatchedCopy_alignedK_contigINS1_10OpaqueTypeILj1EEEjLi1ELi128ELi1ELi8EEEvPT_NS1_25CatArrInputTensorMetadataIS5_T0_XT2_EXT3_EEENS1_16TensorSizeStrideIS8_Lj4EEEiS8_
                                        ; -- End function
	.set _ZN2at6native12_GLOBAL__N_135CatArrayBatchedCopy_alignedK_contigINS1_10OpaqueTypeILj1EEEjLi1ELi128ELi1ELi8EEEvPT_NS1_25CatArrInputTensorMetadataIS5_T0_XT2_EXT3_EEENS1_16TensorSizeStrideIS8_Lj4EEEiS8_.num_vgpr, 23
	.set _ZN2at6native12_GLOBAL__N_135CatArrayBatchedCopy_alignedK_contigINS1_10OpaqueTypeILj1EEEjLi1ELi128ELi1ELi8EEEvPT_NS1_25CatArrInputTensorMetadataIS5_T0_XT2_EXT3_EEENS1_16TensorSizeStrideIS8_Lj4EEEiS8_.num_agpr, 0
	.set _ZN2at6native12_GLOBAL__N_135CatArrayBatchedCopy_alignedK_contigINS1_10OpaqueTypeILj1EEEjLi1ELi128ELi1ELi8EEEvPT_NS1_25CatArrInputTensorMetadataIS5_T0_XT2_EXT3_EEENS1_16TensorSizeStrideIS8_Lj4EEEiS8_.numbered_sgpr, 12
	.set _ZN2at6native12_GLOBAL__N_135CatArrayBatchedCopy_alignedK_contigINS1_10OpaqueTypeILj1EEEjLi1ELi128ELi1ELi8EEEvPT_NS1_25CatArrInputTensorMetadataIS5_T0_XT2_EXT3_EEENS1_16TensorSizeStrideIS8_Lj4EEEiS8_.num_named_barrier, 0
	.set _ZN2at6native12_GLOBAL__N_135CatArrayBatchedCopy_alignedK_contigINS1_10OpaqueTypeILj1EEEjLi1ELi128ELi1ELi8EEEvPT_NS1_25CatArrInputTensorMetadataIS5_T0_XT2_EXT3_EEENS1_16TensorSizeStrideIS8_Lj4EEEiS8_.private_seg_size, 0
	.set _ZN2at6native12_GLOBAL__N_135CatArrayBatchedCopy_alignedK_contigINS1_10OpaqueTypeILj1EEEjLi1ELi128ELi1ELi8EEEvPT_NS1_25CatArrInputTensorMetadataIS5_T0_XT2_EXT3_EEENS1_16TensorSizeStrideIS8_Lj4EEEiS8_.uses_vcc, 1
	.set _ZN2at6native12_GLOBAL__N_135CatArrayBatchedCopy_alignedK_contigINS1_10OpaqueTypeILj1EEEjLi1ELi128ELi1ELi8EEEvPT_NS1_25CatArrInputTensorMetadataIS5_T0_XT2_EXT3_EEENS1_16TensorSizeStrideIS8_Lj4EEEiS8_.uses_flat_scratch, 0
	.set _ZN2at6native12_GLOBAL__N_135CatArrayBatchedCopy_alignedK_contigINS1_10OpaqueTypeILj1EEEjLi1ELi128ELi1ELi8EEEvPT_NS1_25CatArrInputTensorMetadataIS5_T0_XT2_EXT3_EEENS1_16TensorSizeStrideIS8_Lj4EEEiS8_.has_dyn_sized_stack, 0
	.set _ZN2at6native12_GLOBAL__N_135CatArrayBatchedCopy_alignedK_contigINS1_10OpaqueTypeILj1EEEjLi1ELi128ELi1ELi8EEEvPT_NS1_25CatArrInputTensorMetadataIS5_T0_XT2_EXT3_EEENS1_16TensorSizeStrideIS8_Lj4EEEiS8_.has_recursion, 0
	.set _ZN2at6native12_GLOBAL__N_135CatArrayBatchedCopy_alignedK_contigINS1_10OpaqueTypeILj1EEEjLi1ELi128ELi1ELi8EEEvPT_NS1_25CatArrInputTensorMetadataIS5_T0_XT2_EXT3_EEENS1_16TensorSizeStrideIS8_Lj4EEEiS8_.has_indirect_call, 0
	.section	.AMDGPU.csdata,"",@progbits
; Kernel info:
; codeLenInByte = 652
; TotalNumSgprs: 14
; NumVgprs: 23
; ScratchSize: 0
; MemoryBound: 0
; FloatMode: 240
; IeeeMode: 1
; LDSByteSize: 0 bytes/workgroup (compile time only)
; SGPRBlocks: 0
; VGPRBlocks: 2
; NumSGPRsForWavesPerEU: 14
; NumVGPRsForWavesPerEU: 23
; Occupancy: 16
; WaveLimiterHint : 1
; COMPUTE_PGM_RSRC2:SCRATCH_EN: 0
; COMPUTE_PGM_RSRC2:USER_SGPR: 6
; COMPUTE_PGM_RSRC2:TRAP_HANDLER: 0
; COMPUTE_PGM_RSRC2:TGID_X_EN: 1
; COMPUTE_PGM_RSRC2:TGID_Y_EN: 1
; COMPUTE_PGM_RSRC2:TGID_Z_EN: 0
; COMPUTE_PGM_RSRC2:TIDIG_COMP_CNT: 0
	.section	.text._ZN2at6native12_GLOBAL__N_126CatArrayBatchedCopy_contigINS1_10OpaqueTypeILj1EEEjLi1ELi128ELi1EEEvPT_NS1_25CatArrInputTensorMetadataIS5_T0_XT2_EXT3_EEENS1_16TensorSizeStrideIS8_Lj4EEEiS8_,"axG",@progbits,_ZN2at6native12_GLOBAL__N_126CatArrayBatchedCopy_contigINS1_10OpaqueTypeILj1EEEjLi1ELi128ELi1EEEvPT_NS1_25CatArrInputTensorMetadataIS5_T0_XT2_EXT3_EEENS1_16TensorSizeStrideIS8_Lj4EEEiS8_,comdat
	.globl	_ZN2at6native12_GLOBAL__N_126CatArrayBatchedCopy_contigINS1_10OpaqueTypeILj1EEEjLi1ELi128ELi1EEEvPT_NS1_25CatArrInputTensorMetadataIS5_T0_XT2_EXT3_EEENS1_16TensorSizeStrideIS8_Lj4EEEiS8_ ; -- Begin function _ZN2at6native12_GLOBAL__N_126CatArrayBatchedCopy_contigINS1_10OpaqueTypeILj1EEEjLi1ELi128ELi1EEEvPT_NS1_25CatArrInputTensorMetadataIS5_T0_XT2_EXT3_EEENS1_16TensorSizeStrideIS8_Lj4EEEiS8_
	.p2align	8
	.type	_ZN2at6native12_GLOBAL__N_126CatArrayBatchedCopy_contigINS1_10OpaqueTypeILj1EEEjLi1ELi128ELi1EEEvPT_NS1_25CatArrInputTensorMetadataIS5_T0_XT2_EXT3_EEENS1_16TensorSizeStrideIS8_Lj4EEEiS8_,@function
_ZN2at6native12_GLOBAL__N_126CatArrayBatchedCopy_contigINS1_10OpaqueTypeILj1EEEjLi1ELi128ELi1EEEvPT_NS1_25CatArrInputTensorMetadataIS5_T0_XT2_EXT3_EEENS1_16TensorSizeStrideIS8_Lj4EEEiS8_: ; @_ZN2at6native12_GLOBAL__N_126CatArrayBatchedCopy_contigINS1_10OpaqueTypeILj1EEEjLi1ELi128ELi1EEEvPT_NS1_25CatArrInputTensorMetadataIS5_T0_XT2_EXT3_EEENS1_16TensorSizeStrideIS8_Lj4EEEiS8_
; %bb.0:
	s_mov_b32 s0, s7
	s_load_dword s7, s[4:5], 0xadc
	s_mov_b32 s1, 0
	s_add_u32 s2, s4, 0xad0
	s_addc_u32 s3, s5, 0
	s_lshl_b64 s[8:9], s[0:1], 2
	s_mov_b32 s11, exec_lo
	s_waitcnt lgkmcnt(0)
	s_and_b32 s10, s7, 0xffff
	s_add_u32 s12, s4, s8
	s_addc_u32 s13, s5, s9
	v_mad_u64_u32 v[0:1], null, s6, s10, v[0:1]
	s_load_dword s0, s[12:13], 0x808
	s_add_u32 s6, s12, 8
	s_addc_u32 s7, s13, 0
	s_waitcnt lgkmcnt(0)
	v_cmpx_gt_u32_e64 s0, v0
	s_cbranch_execz .LBB3_3
; %bb.1:
	s_add_u32 s12, s6, s8
	s_addc_u32 s13, s7, s9
	s_sub_u32 s8, 0, s8
	s_clause 0x1
	s_load_dwordx2 s[6:7], s[12:13], 0x0
	s_load_dword s11, s[4:5], 0xab8
	s_subb_u32 s9, 0, s9
	s_add_u32 s8, s12, s8
	s_addc_u32 s9, s13, s9
	s_clause 0x1
	s_load_dword s12, s[4:5], 0xacc
	s_load_dword s8, s[8:9], 0x400
	;; [unrolled: 1-line block ×3, first 2 shown]
	s_load_dwordx2 s[2:3], s[4:5], 0x0
	s_waitcnt lgkmcnt(0)
	v_mul_lo_u32 v1, s11, v0
	s_mul_i32 s4, s9, s10
	s_mul_i32 s5, s4, s11
	v_mad_u64_u32 v[1:2], null, s8, s12, v[1:2]
.LBB3_2:                                ; =>This Inner Loop Header: Depth=1
	global_load_ubyte v2, v0, s[6:7]
	v_add_nc_u32_e32 v0, s4, v0
	v_cmp_le_u32_e32 vcc_lo, s0, v0
	s_or_b32 s1, vcc_lo, s1
	s_waitcnt vmcnt(0)
	global_store_byte v1, v2, s[2:3]
	v_add_nc_u32_e32 v1, s5, v1
	s_andn2_b32 exec_lo, exec_lo, s1
	s_cbranch_execnz .LBB3_2
.LBB3_3:
	s_endpgm
	.section	.rodata,"a",@progbits
	.p2align	6, 0x0
	.amdhsa_kernel _ZN2at6native12_GLOBAL__N_126CatArrayBatchedCopy_contigINS1_10OpaqueTypeILj1EEEjLi1ELi128ELi1EEEvPT_NS1_25CatArrInputTensorMetadataIS5_T0_XT2_EXT3_EEENS1_16TensorSizeStrideIS8_Lj4EEEiS8_
		.amdhsa_group_segment_fixed_size 0
		.amdhsa_private_segment_fixed_size 0
		.amdhsa_kernarg_size 3024
		.amdhsa_user_sgpr_count 6
		.amdhsa_user_sgpr_private_segment_buffer 1
		.amdhsa_user_sgpr_dispatch_ptr 0
		.amdhsa_user_sgpr_queue_ptr 0
		.amdhsa_user_sgpr_kernarg_segment_ptr 1
		.amdhsa_user_sgpr_dispatch_id 0
		.amdhsa_user_sgpr_flat_scratch_init 0
		.amdhsa_user_sgpr_private_segment_size 0
		.amdhsa_wavefront_size32 1
		.amdhsa_uses_dynamic_stack 0
		.amdhsa_system_sgpr_private_segment_wavefront_offset 0
		.amdhsa_system_sgpr_workgroup_id_x 1
		.amdhsa_system_sgpr_workgroup_id_y 1
		.amdhsa_system_sgpr_workgroup_id_z 0
		.amdhsa_system_sgpr_workgroup_info 0
		.amdhsa_system_vgpr_workitem_id 0
		.amdhsa_next_free_vgpr 3
		.amdhsa_next_free_sgpr 14
		.amdhsa_reserve_vcc 1
		.amdhsa_reserve_flat_scratch 0
		.amdhsa_float_round_mode_32 0
		.amdhsa_float_round_mode_16_64 0
		.amdhsa_float_denorm_mode_32 3
		.amdhsa_float_denorm_mode_16_64 3
		.amdhsa_dx10_clamp 1
		.amdhsa_ieee_mode 1
		.amdhsa_fp16_overflow 0
		.amdhsa_workgroup_processor_mode 1
		.amdhsa_memory_ordered 1
		.amdhsa_forward_progress 1
		.amdhsa_shared_vgpr_count 0
		.amdhsa_exception_fp_ieee_invalid_op 0
		.amdhsa_exception_fp_denorm_src 0
		.amdhsa_exception_fp_ieee_div_zero 0
		.amdhsa_exception_fp_ieee_overflow 0
		.amdhsa_exception_fp_ieee_underflow 0
		.amdhsa_exception_fp_ieee_inexact 0
		.amdhsa_exception_int_div_zero 0
	.end_amdhsa_kernel
	.section	.text._ZN2at6native12_GLOBAL__N_126CatArrayBatchedCopy_contigINS1_10OpaqueTypeILj1EEEjLi1ELi128ELi1EEEvPT_NS1_25CatArrInputTensorMetadataIS5_T0_XT2_EXT3_EEENS1_16TensorSizeStrideIS8_Lj4EEEiS8_,"axG",@progbits,_ZN2at6native12_GLOBAL__N_126CatArrayBatchedCopy_contigINS1_10OpaqueTypeILj1EEEjLi1ELi128ELi1EEEvPT_NS1_25CatArrInputTensorMetadataIS5_T0_XT2_EXT3_EEENS1_16TensorSizeStrideIS8_Lj4EEEiS8_,comdat
.Lfunc_end3:
	.size	_ZN2at6native12_GLOBAL__N_126CatArrayBatchedCopy_contigINS1_10OpaqueTypeILj1EEEjLi1ELi128ELi1EEEvPT_NS1_25CatArrInputTensorMetadataIS5_T0_XT2_EXT3_EEENS1_16TensorSizeStrideIS8_Lj4EEEiS8_, .Lfunc_end3-_ZN2at6native12_GLOBAL__N_126CatArrayBatchedCopy_contigINS1_10OpaqueTypeILj1EEEjLi1ELi128ELi1EEEvPT_NS1_25CatArrInputTensorMetadataIS5_T0_XT2_EXT3_EEENS1_16TensorSizeStrideIS8_Lj4EEEiS8_
                                        ; -- End function
	.set _ZN2at6native12_GLOBAL__N_126CatArrayBatchedCopy_contigINS1_10OpaqueTypeILj1EEEjLi1ELi128ELi1EEEvPT_NS1_25CatArrInputTensorMetadataIS5_T0_XT2_EXT3_EEENS1_16TensorSizeStrideIS8_Lj4EEEiS8_.num_vgpr, 3
	.set _ZN2at6native12_GLOBAL__N_126CatArrayBatchedCopy_contigINS1_10OpaqueTypeILj1EEEjLi1ELi128ELi1EEEvPT_NS1_25CatArrInputTensorMetadataIS5_T0_XT2_EXT3_EEENS1_16TensorSizeStrideIS8_Lj4EEEiS8_.num_agpr, 0
	.set _ZN2at6native12_GLOBAL__N_126CatArrayBatchedCopy_contigINS1_10OpaqueTypeILj1EEEjLi1ELi128ELi1EEEvPT_NS1_25CatArrInputTensorMetadataIS5_T0_XT2_EXT3_EEENS1_16TensorSizeStrideIS8_Lj4EEEiS8_.numbered_sgpr, 14
	.set _ZN2at6native12_GLOBAL__N_126CatArrayBatchedCopy_contigINS1_10OpaqueTypeILj1EEEjLi1ELi128ELi1EEEvPT_NS1_25CatArrInputTensorMetadataIS5_T0_XT2_EXT3_EEENS1_16TensorSizeStrideIS8_Lj4EEEiS8_.num_named_barrier, 0
	.set _ZN2at6native12_GLOBAL__N_126CatArrayBatchedCopy_contigINS1_10OpaqueTypeILj1EEEjLi1ELi128ELi1EEEvPT_NS1_25CatArrInputTensorMetadataIS5_T0_XT2_EXT3_EEENS1_16TensorSizeStrideIS8_Lj4EEEiS8_.private_seg_size, 0
	.set _ZN2at6native12_GLOBAL__N_126CatArrayBatchedCopy_contigINS1_10OpaqueTypeILj1EEEjLi1ELi128ELi1EEEvPT_NS1_25CatArrInputTensorMetadataIS5_T0_XT2_EXT3_EEENS1_16TensorSizeStrideIS8_Lj4EEEiS8_.uses_vcc, 1
	.set _ZN2at6native12_GLOBAL__N_126CatArrayBatchedCopy_contigINS1_10OpaqueTypeILj1EEEjLi1ELi128ELi1EEEvPT_NS1_25CatArrInputTensorMetadataIS5_T0_XT2_EXT3_EEENS1_16TensorSizeStrideIS8_Lj4EEEiS8_.uses_flat_scratch, 0
	.set _ZN2at6native12_GLOBAL__N_126CatArrayBatchedCopy_contigINS1_10OpaqueTypeILj1EEEjLi1ELi128ELi1EEEvPT_NS1_25CatArrInputTensorMetadataIS5_T0_XT2_EXT3_EEENS1_16TensorSizeStrideIS8_Lj4EEEiS8_.has_dyn_sized_stack, 0
	.set _ZN2at6native12_GLOBAL__N_126CatArrayBatchedCopy_contigINS1_10OpaqueTypeILj1EEEjLi1ELi128ELi1EEEvPT_NS1_25CatArrInputTensorMetadataIS5_T0_XT2_EXT3_EEENS1_16TensorSizeStrideIS8_Lj4EEEiS8_.has_recursion, 0
	.set _ZN2at6native12_GLOBAL__N_126CatArrayBatchedCopy_contigINS1_10OpaqueTypeILj1EEEjLi1ELi128ELi1EEEvPT_NS1_25CatArrInputTensorMetadataIS5_T0_XT2_EXT3_EEENS1_16TensorSizeStrideIS8_Lj4EEEiS8_.has_indirect_call, 0
	.section	.AMDGPU.csdata,"",@progbits
; Kernel info:
; codeLenInByte = 252
; TotalNumSgprs: 16
; NumVgprs: 3
; ScratchSize: 0
; MemoryBound: 0
; FloatMode: 240
; IeeeMode: 1
; LDSByteSize: 0 bytes/workgroup (compile time only)
; SGPRBlocks: 0
; VGPRBlocks: 0
; NumSGPRsForWavesPerEU: 16
; NumVGPRsForWavesPerEU: 3
; Occupancy: 16
; WaveLimiterHint : 1
; COMPUTE_PGM_RSRC2:SCRATCH_EN: 0
; COMPUTE_PGM_RSRC2:USER_SGPR: 6
; COMPUTE_PGM_RSRC2:TRAP_HANDLER: 0
; COMPUTE_PGM_RSRC2:TGID_X_EN: 1
; COMPUTE_PGM_RSRC2:TGID_Y_EN: 1
; COMPUTE_PGM_RSRC2:TGID_Z_EN: 0
; COMPUTE_PGM_RSRC2:TIDIG_COMP_CNT: 0
	.section	.text._ZN2at6native12_GLOBAL__N_119CatArrayBatchedCopyINS1_10OpaqueTypeILj1EEEjLi1ELi128ELi1EEEvPT_NS1_25CatArrInputTensorMetadataIS5_T0_XT2_EXT3_EEENS1_16TensorSizeStrideIS8_Lj4EEEiS8_,"axG",@progbits,_ZN2at6native12_GLOBAL__N_119CatArrayBatchedCopyINS1_10OpaqueTypeILj1EEEjLi1ELi128ELi1EEEvPT_NS1_25CatArrInputTensorMetadataIS5_T0_XT2_EXT3_EEENS1_16TensorSizeStrideIS8_Lj4EEEiS8_,comdat
	.globl	_ZN2at6native12_GLOBAL__N_119CatArrayBatchedCopyINS1_10OpaqueTypeILj1EEEjLi1ELi128ELi1EEEvPT_NS1_25CatArrInputTensorMetadataIS5_T0_XT2_EXT3_EEENS1_16TensorSizeStrideIS8_Lj4EEEiS8_ ; -- Begin function _ZN2at6native12_GLOBAL__N_119CatArrayBatchedCopyINS1_10OpaqueTypeILj1EEEjLi1ELi128ELi1EEEvPT_NS1_25CatArrInputTensorMetadataIS5_T0_XT2_EXT3_EEENS1_16TensorSizeStrideIS8_Lj4EEEiS8_
	.p2align	8
	.type	_ZN2at6native12_GLOBAL__N_119CatArrayBatchedCopyINS1_10OpaqueTypeILj1EEEjLi1ELi128ELi1EEEvPT_NS1_25CatArrInputTensorMetadataIS5_T0_XT2_EXT3_EEENS1_16TensorSizeStrideIS8_Lj4EEEiS8_,@function
_ZN2at6native12_GLOBAL__N_119CatArrayBatchedCopyINS1_10OpaqueTypeILj1EEEjLi1ELi128ELi1EEEvPT_NS1_25CatArrInputTensorMetadataIS5_T0_XT2_EXT3_EEENS1_16TensorSizeStrideIS8_Lj4EEEiS8_: ; @_ZN2at6native12_GLOBAL__N_119CatArrayBatchedCopyINS1_10OpaqueTypeILj1EEEjLi1ELi128ELi1EEEvPT_NS1_25CatArrInputTensorMetadataIS5_T0_XT2_EXT3_EEENS1_16TensorSizeStrideIS8_Lj4EEEiS8_
; %bb.0:
	s_mov_b32 s0, s7
	s_load_dword s7, s[4:5], 0xadc
	s_or_b32 s8, s4, 8
	s_mov_b32 s1, 0
	s_add_u32 s2, s4, 0xad0
	s_addc_u32 s3, s5, 0
	s_lshl_b64 s[10:11], s[0:1], 2
	s_waitcnt lgkmcnt(0)
	s_and_b32 s14, s7, 0xffff
	s_add_u32 s12, s8, s10
	s_addc_u32 s13, s5, s11
	v_mad_u64_u32 v[0:1], null, s6, s14, v[0:1]
	s_load_dword s7, s[12:13], 0x800
	s_mov_b32 s6, exec_lo
	s_waitcnt lgkmcnt(0)
	v_cmpx_gt_u32_e64 s7, v0
	s_cbranch_execz .LBB4_3
; %bb.1:
	v_mov_b32_e32 v1, 0x800
	s_add_u32 s16, s8, s0
	s_addc_u32 s17, s5, 0
	s_mov_b32 s9, s5
	global_load_ubyte v1, v1, s[16:17] offset:512
	s_clause 0x1
	s_load_dword s6, s[8:9], 0xa90
	s_load_dword s15, s[4:5], 0xab8
	s_waitcnt vmcnt(0)
	v_readfirstlane_b32 s0, v1
	s_waitcnt lgkmcnt(0)
	v_mul_lo_u32 v1, s15, v0
	s_and_b32 s0, 1, s0
	s_add_u32 s8, s12, s10
	s_addc_u32 s9, s13, s11
	s_sub_u32 s10, 0, s10
	s_subb_u32 s11, 0, s11
	s_add_u32 s10, s8, s10
	s_addc_u32 s11, s9, s11
	s_clause 0x1
	s_load_dword s12, s[4:5], 0xacc
	s_load_dword s10, s[10:11], 0x400
	;; [unrolled: 1-line block ×3, first 2 shown]
	s_clause 0x1
	s_load_dwordx2 s[2:3], s[4:5], 0x0
	s_load_dwordx2 s[4:5], s[8:9], 0x0
	s_cmp_eq_u32 s0, 1
	s_cselect_b32 s6, 1, s6
	v_mul_lo_u32 v3, s6, v0
	s_waitcnt lgkmcnt(0)
	v_mad_u64_u32 v[1:2], null, s10, s12, v[1:2]
	s_mul_i32 s0, s11, s14
	s_mul_i32 s6, s0, s6
	;; [unrolled: 1-line block ×3, first 2 shown]
.LBB4_2:                                ; =>This Inner Loop Header: Depth=1
	global_load_ubyte v2, v3, s[4:5]
	v_add_nc_u32_e32 v0, s0, v0
	v_add_nc_u32_e32 v3, s6, v3
	v_cmp_le_u32_e32 vcc_lo, s7, v0
	s_or_b32 s1, vcc_lo, s1
	s_waitcnt vmcnt(0)
	global_store_byte v1, v2, s[2:3]
	v_add_nc_u32_e32 v1, s8, v1
	s_andn2_b32 exec_lo, exec_lo, s1
	s_cbranch_execnz .LBB4_2
.LBB4_3:
	s_endpgm
	.section	.rodata,"a",@progbits
	.p2align	6, 0x0
	.amdhsa_kernel _ZN2at6native12_GLOBAL__N_119CatArrayBatchedCopyINS1_10OpaqueTypeILj1EEEjLi1ELi128ELi1EEEvPT_NS1_25CatArrInputTensorMetadataIS5_T0_XT2_EXT3_EEENS1_16TensorSizeStrideIS8_Lj4EEEiS8_
		.amdhsa_group_segment_fixed_size 0
		.amdhsa_private_segment_fixed_size 0
		.amdhsa_kernarg_size 3024
		.amdhsa_user_sgpr_count 6
		.amdhsa_user_sgpr_private_segment_buffer 1
		.amdhsa_user_sgpr_dispatch_ptr 0
		.amdhsa_user_sgpr_queue_ptr 0
		.amdhsa_user_sgpr_kernarg_segment_ptr 1
		.amdhsa_user_sgpr_dispatch_id 0
		.amdhsa_user_sgpr_flat_scratch_init 0
		.amdhsa_user_sgpr_private_segment_size 0
		.amdhsa_wavefront_size32 1
		.amdhsa_uses_dynamic_stack 0
		.amdhsa_system_sgpr_private_segment_wavefront_offset 0
		.amdhsa_system_sgpr_workgroup_id_x 1
		.amdhsa_system_sgpr_workgroup_id_y 1
		.amdhsa_system_sgpr_workgroup_id_z 0
		.amdhsa_system_sgpr_workgroup_info 0
		.amdhsa_system_vgpr_workitem_id 0
		.amdhsa_next_free_vgpr 4
		.amdhsa_next_free_sgpr 18
		.amdhsa_reserve_vcc 1
		.amdhsa_reserve_flat_scratch 0
		.amdhsa_float_round_mode_32 0
		.amdhsa_float_round_mode_16_64 0
		.amdhsa_float_denorm_mode_32 3
		.amdhsa_float_denorm_mode_16_64 3
		.amdhsa_dx10_clamp 1
		.amdhsa_ieee_mode 1
		.amdhsa_fp16_overflow 0
		.amdhsa_workgroup_processor_mode 1
		.amdhsa_memory_ordered 1
		.amdhsa_forward_progress 1
		.amdhsa_shared_vgpr_count 0
		.amdhsa_exception_fp_ieee_invalid_op 0
		.amdhsa_exception_fp_denorm_src 0
		.amdhsa_exception_fp_ieee_div_zero 0
		.amdhsa_exception_fp_ieee_overflow 0
		.amdhsa_exception_fp_ieee_underflow 0
		.amdhsa_exception_fp_ieee_inexact 0
		.amdhsa_exception_int_div_zero 0
	.end_amdhsa_kernel
	.section	.text._ZN2at6native12_GLOBAL__N_119CatArrayBatchedCopyINS1_10OpaqueTypeILj1EEEjLi1ELi128ELi1EEEvPT_NS1_25CatArrInputTensorMetadataIS5_T0_XT2_EXT3_EEENS1_16TensorSizeStrideIS8_Lj4EEEiS8_,"axG",@progbits,_ZN2at6native12_GLOBAL__N_119CatArrayBatchedCopyINS1_10OpaqueTypeILj1EEEjLi1ELi128ELi1EEEvPT_NS1_25CatArrInputTensorMetadataIS5_T0_XT2_EXT3_EEENS1_16TensorSizeStrideIS8_Lj4EEEiS8_,comdat
.Lfunc_end4:
	.size	_ZN2at6native12_GLOBAL__N_119CatArrayBatchedCopyINS1_10OpaqueTypeILj1EEEjLi1ELi128ELi1EEEvPT_NS1_25CatArrInputTensorMetadataIS5_T0_XT2_EXT3_EEENS1_16TensorSizeStrideIS8_Lj4EEEiS8_, .Lfunc_end4-_ZN2at6native12_GLOBAL__N_119CatArrayBatchedCopyINS1_10OpaqueTypeILj1EEEjLi1ELi128ELi1EEEvPT_NS1_25CatArrInputTensorMetadataIS5_T0_XT2_EXT3_EEENS1_16TensorSizeStrideIS8_Lj4EEEiS8_
                                        ; -- End function
	.set _ZN2at6native12_GLOBAL__N_119CatArrayBatchedCopyINS1_10OpaqueTypeILj1EEEjLi1ELi128ELi1EEEvPT_NS1_25CatArrInputTensorMetadataIS5_T0_XT2_EXT3_EEENS1_16TensorSizeStrideIS8_Lj4EEEiS8_.num_vgpr, 4
	.set _ZN2at6native12_GLOBAL__N_119CatArrayBatchedCopyINS1_10OpaqueTypeILj1EEEjLi1ELi128ELi1EEEvPT_NS1_25CatArrInputTensorMetadataIS5_T0_XT2_EXT3_EEENS1_16TensorSizeStrideIS8_Lj4EEEiS8_.num_agpr, 0
	.set _ZN2at6native12_GLOBAL__N_119CatArrayBatchedCopyINS1_10OpaqueTypeILj1EEEjLi1ELi128ELi1EEEvPT_NS1_25CatArrInputTensorMetadataIS5_T0_XT2_EXT3_EEENS1_16TensorSizeStrideIS8_Lj4EEEiS8_.numbered_sgpr, 18
	.set _ZN2at6native12_GLOBAL__N_119CatArrayBatchedCopyINS1_10OpaqueTypeILj1EEEjLi1ELi128ELi1EEEvPT_NS1_25CatArrInputTensorMetadataIS5_T0_XT2_EXT3_EEENS1_16TensorSizeStrideIS8_Lj4EEEiS8_.num_named_barrier, 0
	.set _ZN2at6native12_GLOBAL__N_119CatArrayBatchedCopyINS1_10OpaqueTypeILj1EEEjLi1ELi128ELi1EEEvPT_NS1_25CatArrInputTensorMetadataIS5_T0_XT2_EXT3_EEENS1_16TensorSizeStrideIS8_Lj4EEEiS8_.private_seg_size, 0
	.set _ZN2at6native12_GLOBAL__N_119CatArrayBatchedCopyINS1_10OpaqueTypeILj1EEEjLi1ELi128ELi1EEEvPT_NS1_25CatArrInputTensorMetadataIS5_T0_XT2_EXT3_EEENS1_16TensorSizeStrideIS8_Lj4EEEiS8_.uses_vcc, 1
	.set _ZN2at6native12_GLOBAL__N_119CatArrayBatchedCopyINS1_10OpaqueTypeILj1EEEjLi1ELi128ELi1EEEvPT_NS1_25CatArrInputTensorMetadataIS5_T0_XT2_EXT3_EEENS1_16TensorSizeStrideIS8_Lj4EEEiS8_.uses_flat_scratch, 0
	.set _ZN2at6native12_GLOBAL__N_119CatArrayBatchedCopyINS1_10OpaqueTypeILj1EEEjLi1ELi128ELi1EEEvPT_NS1_25CatArrInputTensorMetadataIS5_T0_XT2_EXT3_EEENS1_16TensorSizeStrideIS8_Lj4EEEiS8_.has_dyn_sized_stack, 0
	.set _ZN2at6native12_GLOBAL__N_119CatArrayBatchedCopyINS1_10OpaqueTypeILj1EEEjLi1ELi128ELi1EEEvPT_NS1_25CatArrInputTensorMetadataIS5_T0_XT2_EXT3_EEENS1_16TensorSizeStrideIS8_Lj4EEEiS8_.has_recursion, 0
	.set _ZN2at6native12_GLOBAL__N_119CatArrayBatchedCopyINS1_10OpaqueTypeILj1EEEjLi1ELi128ELi1EEEvPT_NS1_25CatArrInputTensorMetadataIS5_T0_XT2_EXT3_EEENS1_16TensorSizeStrideIS8_Lj4EEEiS8_.has_indirect_call, 0
	.section	.AMDGPU.csdata,"",@progbits
; Kernel info:
; codeLenInByte = 328
; TotalNumSgprs: 20
; NumVgprs: 4
; ScratchSize: 0
; MemoryBound: 0
; FloatMode: 240
; IeeeMode: 1
; LDSByteSize: 0 bytes/workgroup (compile time only)
; SGPRBlocks: 0
; VGPRBlocks: 0
; NumSGPRsForWavesPerEU: 20
; NumVGPRsForWavesPerEU: 4
; Occupancy: 16
; WaveLimiterHint : 1
; COMPUTE_PGM_RSRC2:SCRATCH_EN: 0
; COMPUTE_PGM_RSRC2:USER_SGPR: 6
; COMPUTE_PGM_RSRC2:TRAP_HANDLER: 0
; COMPUTE_PGM_RSRC2:TGID_X_EN: 1
; COMPUTE_PGM_RSRC2:TGID_Y_EN: 1
; COMPUTE_PGM_RSRC2:TGID_Z_EN: 0
; COMPUTE_PGM_RSRC2:TIDIG_COMP_CNT: 0
	.section	.text._ZN2at6native12_GLOBAL__N_130CatArrayBatchedCopy_vectorizedINS1_10OpaqueTypeILj1EEEjLi2ELi128ELi1ELi16ELi16EEEvPcNS1_25CatArrInputTensorMetadataIT_T0_XT2_EXT3_EEENS1_16TensorSizeStrideIS8_Lj4EEEiS8_,"axG",@progbits,_ZN2at6native12_GLOBAL__N_130CatArrayBatchedCopy_vectorizedINS1_10OpaqueTypeILj1EEEjLi2ELi128ELi1ELi16ELi16EEEvPcNS1_25CatArrInputTensorMetadataIT_T0_XT2_EXT3_EEENS1_16TensorSizeStrideIS8_Lj4EEEiS8_,comdat
	.globl	_ZN2at6native12_GLOBAL__N_130CatArrayBatchedCopy_vectorizedINS1_10OpaqueTypeILj1EEEjLi2ELi128ELi1ELi16ELi16EEEvPcNS1_25CatArrInputTensorMetadataIT_T0_XT2_EXT3_EEENS1_16TensorSizeStrideIS8_Lj4EEEiS8_ ; -- Begin function _ZN2at6native12_GLOBAL__N_130CatArrayBatchedCopy_vectorizedINS1_10OpaqueTypeILj1EEEjLi2ELi128ELi1ELi16ELi16EEEvPcNS1_25CatArrInputTensorMetadataIT_T0_XT2_EXT3_EEENS1_16TensorSizeStrideIS8_Lj4EEEiS8_
	.p2align	8
	.type	_ZN2at6native12_GLOBAL__N_130CatArrayBatchedCopy_vectorizedINS1_10OpaqueTypeILj1EEEjLi2ELi128ELi1ELi16ELi16EEEvPcNS1_25CatArrInputTensorMetadataIT_T0_XT2_EXT3_EEENS1_16TensorSizeStrideIS8_Lj4EEEiS8_,@function
_ZN2at6native12_GLOBAL__N_130CatArrayBatchedCopy_vectorizedINS1_10OpaqueTypeILj1EEEjLi2ELi128ELi1ELi16ELi16EEEvPcNS1_25CatArrInputTensorMetadataIT_T0_XT2_EXT3_EEENS1_16TensorSizeStrideIS8_Lj4EEEiS8_: ; @_ZN2at6native12_GLOBAL__N_130CatArrayBatchedCopy_vectorizedINS1_10OpaqueTypeILj1EEEjLi2ELi128ELi1ELi16ELi16EEEvPcNS1_25CatArrInputTensorMetadataIT_T0_XT2_EXT3_EEENS1_16TensorSizeStrideIS8_Lj4EEEiS8_
; %bb.0:
	s_mov_b32 s0, s7
	s_load_dword s7, s[4:5], 0xadc
	s_mov_b32 s1, 0
	s_add_u32 s8, s4, 0xad0
	s_addc_u32 s9, s5, 0
	s_lshl_b64 s[2:3], s[0:1], 2
	s_waitcnt lgkmcnt(0)
	s_and_b32 s0, s7, 0xffff
	s_add_u32 s10, s4, s2
	s_addc_u32 s11, s5, s3
	v_mad_u64_u32 v[0:1], null, s6, s0, v[0:1]
	s_load_dword s12, s[10:11], 0x808
	s_add_u32 s7, s10, 8
	s_addc_u32 s10, s11, 0
	s_mov_b32 s11, exec_lo
	s_waitcnt lgkmcnt(0)
	s_lshr_b32 s6, s12, 4
	v_cmpx_gt_u32_e64 s6, v0
	s_cbranch_execz .LBB5_3
; %bb.1:
	s_add_u32 s14, s7, s2
	s_addc_u32 s15, s10, s3
	s_sub_u32 s2, 0, s2
	s_subb_u32 s3, 0, s3
	s_add_u32 s2, s14, s2
	s_addc_u32 s3, s15, s3
	s_clause 0x5
	s_load_dwordx2 s[10:11], s[4:5], 0xac8
	s_load_dword s7, s[2:3], 0x400
	s_load_dword s12, s[2:3], 0x600
	;; [unrolled: 1-line block ×3, first 2 shown]
	s_load_dwordx2 s[2:3], s[4:5], 0xab8
	s_load_dwordx2 s[4:5], s[4:5], 0x0
	s_load_dword s8, s[8:9], 0x0
	s_waitcnt lgkmcnt(0)
	s_mul_i32 s7, s7, s11
	s_mul_i32 s12, s12, s11
	s_and_b32 s11, s7, -16
	s_lshr_b32 s7, s12, 4
	s_cmp_eq_u32 s10, 1
	s_mul_i32 s8, s8, s0
	s_cselect_b32 s7, s7, s13
	s_add_u32 s10, s4, s11
	v_cvt_f32_u32_e32 v1, s7
	s_addc_u32 s11, s5, 0
	s_sub_i32 s12, 0, s7
	s_load_dwordx2 s[4:5], s[14:15], 0x0
	v_rcp_iflag_f32_e32 v1, v1
	v_mul_f32_e32 v1, 0x4f7ffffe, v1
	v_cvt_u32_f32_e32 v1, v1
	v_mul_lo_u32 v2, s12, v1
	v_mul_hi_u32 v2, v1, v2
	v_add_nc_u32_e32 v2, v1, v2
	v_mov_b32_e32 v1, 0
	s_inst_prefetch 0x1
	.p2align	6
.LBB5_2:                                ; =>This Inner Loop Header: Depth=1
	v_lshlrev_b64 v[3:4], 4, v[0:1]
	v_mul_hi_u32 v9, v2, v0
	s_waitcnt lgkmcnt(0)
	v_add_co_u32 v3, vcc_lo, s4, v3
	v_add_co_ci_u32_e64 v4, null, s5, v4, vcc_lo
	v_mul_lo_u32 v10, s7, v9
	v_not_b32_e32 v7, v9
	v_add_nc_u32_e32 v11, 1, v9
	global_load_dwordx4 v[3:6], v[3:4], off
	v_mad_u64_u32 v[7:8], null, s7, v7, v[0:1]
	v_sub_nc_u32_e32 v8, v0, v10
	v_cmp_le_u32_e32 vcc_lo, s7, v8
	v_cndmask_b32_e32 v9, v9, v11, vcc_lo
	v_cndmask_b32_e32 v7, v8, v7, vcc_lo
	v_add_nc_u32_e32 v8, 1, v9
	v_cmp_le_u32_e32 vcc_lo, s7, v7
	v_cndmask_b32_e32 v9, v9, v8, vcc_lo
	v_mad_u64_u32 v[7:8], null, s12, v9, v[0:1]
	v_mul_lo_u32 v8, v9, s2
	v_add_nc_u32_e32 v0, s8, v0
	v_cmp_le_u32_e32 vcc_lo, s6, v0
	v_mad_u64_u32 v[7:8], null, v7, s3, v[8:9]
	v_mov_b32_e32 v8, v1
	s_or_b32 s1, vcc_lo, s1
	v_lshlrev_b64 v[7:8], 4, v[7:8]
	v_add_co_u32 v7, s0, s10, v7
	v_add_co_ci_u32_e64 v8, null, s11, v8, s0
	s_waitcnt vmcnt(0)
	global_store_dwordx4 v[7:8], v[3:6], off
	s_andn2_b32 exec_lo, exec_lo, s1
	s_cbranch_execnz .LBB5_2
.LBB5_3:
	s_inst_prefetch 0x2
	s_endpgm
	.section	.rodata,"a",@progbits
	.p2align	6, 0x0
	.amdhsa_kernel _ZN2at6native12_GLOBAL__N_130CatArrayBatchedCopy_vectorizedINS1_10OpaqueTypeILj1EEEjLi2ELi128ELi1ELi16ELi16EEEvPcNS1_25CatArrInputTensorMetadataIT_T0_XT2_EXT3_EEENS1_16TensorSizeStrideIS8_Lj4EEEiS8_
		.amdhsa_group_segment_fixed_size 0
		.amdhsa_private_segment_fixed_size 0
		.amdhsa_kernarg_size 3024
		.amdhsa_user_sgpr_count 6
		.amdhsa_user_sgpr_private_segment_buffer 1
		.amdhsa_user_sgpr_dispatch_ptr 0
		.amdhsa_user_sgpr_queue_ptr 0
		.amdhsa_user_sgpr_kernarg_segment_ptr 1
		.amdhsa_user_sgpr_dispatch_id 0
		.amdhsa_user_sgpr_flat_scratch_init 0
		.amdhsa_user_sgpr_private_segment_size 0
		.amdhsa_wavefront_size32 1
		.amdhsa_uses_dynamic_stack 0
		.amdhsa_system_sgpr_private_segment_wavefront_offset 0
		.amdhsa_system_sgpr_workgroup_id_x 1
		.amdhsa_system_sgpr_workgroup_id_y 1
		.amdhsa_system_sgpr_workgroup_id_z 0
		.amdhsa_system_sgpr_workgroup_info 0
		.amdhsa_system_vgpr_workitem_id 0
		.amdhsa_next_free_vgpr 12
		.amdhsa_next_free_sgpr 16
		.amdhsa_reserve_vcc 1
		.amdhsa_reserve_flat_scratch 0
		.amdhsa_float_round_mode_32 0
		.amdhsa_float_round_mode_16_64 0
		.amdhsa_float_denorm_mode_32 3
		.amdhsa_float_denorm_mode_16_64 3
		.amdhsa_dx10_clamp 1
		.amdhsa_ieee_mode 1
		.amdhsa_fp16_overflow 0
		.amdhsa_workgroup_processor_mode 1
		.amdhsa_memory_ordered 1
		.amdhsa_forward_progress 1
		.amdhsa_shared_vgpr_count 0
		.amdhsa_exception_fp_ieee_invalid_op 0
		.amdhsa_exception_fp_denorm_src 0
		.amdhsa_exception_fp_ieee_div_zero 0
		.amdhsa_exception_fp_ieee_overflow 0
		.amdhsa_exception_fp_ieee_underflow 0
		.amdhsa_exception_fp_ieee_inexact 0
		.amdhsa_exception_int_div_zero 0
	.end_amdhsa_kernel
	.section	.text._ZN2at6native12_GLOBAL__N_130CatArrayBatchedCopy_vectorizedINS1_10OpaqueTypeILj1EEEjLi2ELi128ELi1ELi16ELi16EEEvPcNS1_25CatArrInputTensorMetadataIT_T0_XT2_EXT3_EEENS1_16TensorSizeStrideIS8_Lj4EEEiS8_,"axG",@progbits,_ZN2at6native12_GLOBAL__N_130CatArrayBatchedCopy_vectorizedINS1_10OpaqueTypeILj1EEEjLi2ELi128ELi1ELi16ELi16EEEvPcNS1_25CatArrInputTensorMetadataIT_T0_XT2_EXT3_EEENS1_16TensorSizeStrideIS8_Lj4EEEiS8_,comdat
.Lfunc_end5:
	.size	_ZN2at6native12_GLOBAL__N_130CatArrayBatchedCopy_vectorizedINS1_10OpaqueTypeILj1EEEjLi2ELi128ELi1ELi16ELi16EEEvPcNS1_25CatArrInputTensorMetadataIT_T0_XT2_EXT3_EEENS1_16TensorSizeStrideIS8_Lj4EEEiS8_, .Lfunc_end5-_ZN2at6native12_GLOBAL__N_130CatArrayBatchedCopy_vectorizedINS1_10OpaqueTypeILj1EEEjLi2ELi128ELi1ELi16ELi16EEEvPcNS1_25CatArrInputTensorMetadataIT_T0_XT2_EXT3_EEENS1_16TensorSizeStrideIS8_Lj4EEEiS8_
                                        ; -- End function
	.set _ZN2at6native12_GLOBAL__N_130CatArrayBatchedCopy_vectorizedINS1_10OpaqueTypeILj1EEEjLi2ELi128ELi1ELi16ELi16EEEvPcNS1_25CatArrInputTensorMetadataIT_T0_XT2_EXT3_EEENS1_16TensorSizeStrideIS8_Lj4EEEiS8_.num_vgpr, 12
	.set _ZN2at6native12_GLOBAL__N_130CatArrayBatchedCopy_vectorizedINS1_10OpaqueTypeILj1EEEjLi2ELi128ELi1ELi16ELi16EEEvPcNS1_25CatArrInputTensorMetadataIT_T0_XT2_EXT3_EEENS1_16TensorSizeStrideIS8_Lj4EEEiS8_.num_agpr, 0
	.set _ZN2at6native12_GLOBAL__N_130CatArrayBatchedCopy_vectorizedINS1_10OpaqueTypeILj1EEEjLi2ELi128ELi1ELi16ELi16EEEvPcNS1_25CatArrInputTensorMetadataIT_T0_XT2_EXT3_EEENS1_16TensorSizeStrideIS8_Lj4EEEiS8_.numbered_sgpr, 16
	.set _ZN2at6native12_GLOBAL__N_130CatArrayBatchedCopy_vectorizedINS1_10OpaqueTypeILj1EEEjLi2ELi128ELi1ELi16ELi16EEEvPcNS1_25CatArrInputTensorMetadataIT_T0_XT2_EXT3_EEENS1_16TensorSizeStrideIS8_Lj4EEEiS8_.num_named_barrier, 0
	.set _ZN2at6native12_GLOBAL__N_130CatArrayBatchedCopy_vectorizedINS1_10OpaqueTypeILj1EEEjLi2ELi128ELi1ELi16ELi16EEEvPcNS1_25CatArrInputTensorMetadataIT_T0_XT2_EXT3_EEENS1_16TensorSizeStrideIS8_Lj4EEEiS8_.private_seg_size, 0
	.set _ZN2at6native12_GLOBAL__N_130CatArrayBatchedCopy_vectorizedINS1_10OpaqueTypeILj1EEEjLi2ELi128ELi1ELi16ELi16EEEvPcNS1_25CatArrInputTensorMetadataIT_T0_XT2_EXT3_EEENS1_16TensorSizeStrideIS8_Lj4EEEiS8_.uses_vcc, 1
	.set _ZN2at6native12_GLOBAL__N_130CatArrayBatchedCopy_vectorizedINS1_10OpaqueTypeILj1EEEjLi2ELi128ELi1ELi16ELi16EEEvPcNS1_25CatArrInputTensorMetadataIT_T0_XT2_EXT3_EEENS1_16TensorSizeStrideIS8_Lj4EEEiS8_.uses_flat_scratch, 0
	.set _ZN2at6native12_GLOBAL__N_130CatArrayBatchedCopy_vectorizedINS1_10OpaqueTypeILj1EEEjLi2ELi128ELi1ELi16ELi16EEEvPcNS1_25CatArrInputTensorMetadataIT_T0_XT2_EXT3_EEENS1_16TensorSizeStrideIS8_Lj4EEEiS8_.has_dyn_sized_stack, 0
	.set _ZN2at6native12_GLOBAL__N_130CatArrayBatchedCopy_vectorizedINS1_10OpaqueTypeILj1EEEjLi2ELi128ELi1ELi16ELi16EEEvPcNS1_25CatArrInputTensorMetadataIT_T0_XT2_EXT3_EEENS1_16TensorSizeStrideIS8_Lj4EEEiS8_.has_recursion, 0
	.set _ZN2at6native12_GLOBAL__N_130CatArrayBatchedCopy_vectorizedINS1_10OpaqueTypeILj1EEEjLi2ELi128ELi1ELi16ELi16EEEvPcNS1_25CatArrInputTensorMetadataIT_T0_XT2_EXT3_EEENS1_16TensorSizeStrideIS8_Lj4EEEiS8_.has_indirect_call, 0
	.section	.AMDGPU.csdata,"",@progbits
; Kernel info:
; codeLenInByte = 508
; TotalNumSgprs: 18
; NumVgprs: 12
; ScratchSize: 0
; MemoryBound: 0
; FloatMode: 240
; IeeeMode: 1
; LDSByteSize: 0 bytes/workgroup (compile time only)
; SGPRBlocks: 0
; VGPRBlocks: 1
; NumSGPRsForWavesPerEU: 18
; NumVGPRsForWavesPerEU: 12
; Occupancy: 16
; WaveLimiterHint : 1
; COMPUTE_PGM_RSRC2:SCRATCH_EN: 0
; COMPUTE_PGM_RSRC2:USER_SGPR: 6
; COMPUTE_PGM_RSRC2:TRAP_HANDLER: 0
; COMPUTE_PGM_RSRC2:TGID_X_EN: 1
; COMPUTE_PGM_RSRC2:TGID_Y_EN: 1
; COMPUTE_PGM_RSRC2:TGID_Z_EN: 0
; COMPUTE_PGM_RSRC2:TIDIG_COMP_CNT: 0
	.section	.text._ZN2at6native12_GLOBAL__N_135CatArrayBatchedCopy_alignedK_contigINS1_10OpaqueTypeILj1EEEjLi2ELi128ELi1ELi16EEEvPT_NS1_25CatArrInputTensorMetadataIS5_T0_XT2_EXT3_EEENS1_16TensorSizeStrideIS8_Lj4EEEiS8_,"axG",@progbits,_ZN2at6native12_GLOBAL__N_135CatArrayBatchedCopy_alignedK_contigINS1_10OpaqueTypeILj1EEEjLi2ELi128ELi1ELi16EEEvPT_NS1_25CatArrInputTensorMetadataIS5_T0_XT2_EXT3_EEENS1_16TensorSizeStrideIS8_Lj4EEEiS8_,comdat
	.globl	_ZN2at6native12_GLOBAL__N_135CatArrayBatchedCopy_alignedK_contigINS1_10OpaqueTypeILj1EEEjLi2ELi128ELi1ELi16EEEvPT_NS1_25CatArrInputTensorMetadataIS5_T0_XT2_EXT3_EEENS1_16TensorSizeStrideIS8_Lj4EEEiS8_ ; -- Begin function _ZN2at6native12_GLOBAL__N_135CatArrayBatchedCopy_alignedK_contigINS1_10OpaqueTypeILj1EEEjLi2ELi128ELi1ELi16EEEvPT_NS1_25CatArrInputTensorMetadataIS5_T0_XT2_EXT3_EEENS1_16TensorSizeStrideIS8_Lj4EEEiS8_
	.p2align	8
	.type	_ZN2at6native12_GLOBAL__N_135CatArrayBatchedCopy_alignedK_contigINS1_10OpaqueTypeILj1EEEjLi2ELi128ELi1ELi16EEEvPT_NS1_25CatArrInputTensorMetadataIS5_T0_XT2_EXT3_EEENS1_16TensorSizeStrideIS8_Lj4EEEiS8_,@function
_ZN2at6native12_GLOBAL__N_135CatArrayBatchedCopy_alignedK_contigINS1_10OpaqueTypeILj1EEEjLi2ELi128ELi1ELi16EEEvPT_NS1_25CatArrInputTensorMetadataIS5_T0_XT2_EXT3_EEENS1_16TensorSizeStrideIS8_Lj4EEEiS8_: ; @_ZN2at6native12_GLOBAL__N_135CatArrayBatchedCopy_alignedK_contigINS1_10OpaqueTypeILj1EEEjLi2ELi128ELi1ELi16EEEvPT_NS1_25CatArrInputTensorMetadataIS5_T0_XT2_EXT3_EEENS1_16TensorSizeStrideIS8_Lj4EEEiS8_
; %bb.0:
	s_mov_b32 s2, s7
	s_load_dword s7, s[4:5], 0xadc
	s_mov_b32 s3, 0
	s_add_u32 s0, s4, 0xad0
	s_addc_u32 s1, s5, 0
	s_lshl_b64 s[2:3], s[2:3], 2
	s_waitcnt lgkmcnt(0)
	s_and_b32 s7, s7, 0xffff
	s_add_u32 s8, s4, s2
	s_addc_u32 s9, s5, s3
	s_mul_i32 s6, s6, s7
	s_load_dword s15, s[8:9], 0x808
	v_add_lshl_u32 v0, s6, v0, 4
	s_add_u32 s6, s8, 8
	s_addc_u32 s8, s9, 0
	s_mov_b32 s9, exec_lo
	s_waitcnt lgkmcnt(0)
	v_cmpx_gt_u32_e64 s15, v0
	s_cbranch_execz .LBB6_8
; %bb.1:
	s_add_u32 s10, s6, s2
	s_addc_u32 s11, s8, s3
	s_sub_u32 s2, 0, s2
	s_subb_u32 s3, 0, s3
	s_add_u32 s2, s10, s2
	s_addc_u32 s3, s11, s3
	s_clause 0x6
	s_load_dwordx2 s[16:17], s[4:5], 0x0
	s_load_dwordx2 s[22:23], s[4:5], 0xac8
	s_load_dword s25, s[4:5], 0xaac
	s_load_dwordx2 s[18:19], s[4:5], 0xab8
	s_load_dword s4, s[2:3], 0x400
	;; [unrolled: 2-line block ×3, first 2 shown]
	v_add_nc_u32_e32 v1, 16, v0
	s_mov_b32 s27, exec_lo
	s_waitcnt lgkmcnt(0)
	s_mul_i32 s23, s4, s23
	v_cmpx_ge_u32_e64 s15, v1
	s_cbranch_execz .LBB6_5
; %bb.2:
	s_load_dword s0, s[0:1], 0x0
	v_add_nc_u32_e32 v16, 15, v0
	v_add_nc_u32_e32 v17, 14, v0
	;; [unrolled: 1-line block ×15, first 2 shown]
	s_mov_b32 s31, 0
	s_mov_b32 s24, s19
	s_waitcnt lgkmcnt(0)
	s_mul_i32 s0, s0, s7
	s_lshl_b32 s28, s0, 4
	s_cmp_eq_u32 s22, 1
	s_cselect_b32 s29, s26, s25
	v_cvt_f32_u32_e32 v1, s29
	s_sub_i32 s30, 0, s29
	v_rcp_iflag_f32_e32 v1, v1
	v_mul_f32_e32 v1, 0x4f7ffffe, v1
	v_cvt_u32_f32_e32 v1, v1
	v_mul_lo_u32 v2, s30, v1
	v_mul_hi_u32 v2, v1, v2
	v_add_nc_u32_e32 v30, v1, v2
.LBB6_3:                                ; =>This Inner Loop Header: Depth=1
	v_mul_hi_u32 v32, v30, v0
	v_add_nc_u32_e32 v1, 2, v0
	v_mul_hi_u32 v42, v30, v31
	v_add_nc_u32_e32 v15, 1, v0
	;; [unrolled: 2-line block ×4, first 2 shown]
	v_not_b32_e32 v45, v32
	v_mad_u64_u32 v[43:44], null, s30, v32, v[0:1]
	v_mul_hi_u32 v39, v30, v27
	v_add_nc_u32_e32 v4, 5, v0
	v_mad_u64_u32 v[44:45], null, s29, v45, v[0:1]
	v_mul_hi_u32 v38, v30, v26
	v_add_nc_u32_e32 v5, 6, v0
	v_cmp_le_u32_e32 vcc_lo, s29, v43
	v_mul_hi_u32 v37, v30, v25
	v_add_nc_u32_e32 v6, 7, v0
	v_mul_hi_u32 v36, v30, v24
	v_add_nc_u32_e32 v7, 8, v0
	v_cndmask_b32_e32 v45, v43, v44, vcc_lo
	v_not_b32_e32 v44, v42
	v_mad_u64_u32 v[42:43], null, s30, v42, v[15:16]
	v_mul_hi_u32 v35, v30, v23
	v_add_nc_u32_e32 v8, 9, v0
	v_mad_u64_u32 v[43:44], null, s29, v44, v[15:16]
	v_mul_hi_u32 v34, v30, v22
	v_add_nc_u32_e32 v9, 10, v0
	v_cmp_le_u32_e64 s0, s29, v42
	v_mul_hi_u32 v33, v30, v21
	v_add_nc_u32_e32 v10, 11, v0
	v_mul_hi_u32 v46, v30, v20
	v_add_nc_u32_e32 v11, 12, v0
	v_cndmask_b32_e64 v44, v42, v43, s0
	v_not_b32_e32 v43, v41
	v_mad_u64_u32 v[41:42], null, s30, v41, v[1:2]
	v_mul_hi_u32 v47, v30, v19
	v_add_nc_u32_e32 v12, 13, v0
	v_mad_u64_u32 v[42:43], null, s29, v43, v[1:2]
	v_mul_hi_u32 v48, v30, v18
	v_add_nc_u32_e32 v13, 14, v0
	v_cmp_le_u32_e64 s1, s29, v41
	v_mul_hi_u32 v49, v30, v17
	v_add_nc_u32_e32 v14, 15, v0
	v_mul_hi_u32 v50, v30, v16
	v_mul_hi_u32 v51, v15, v30
	v_cndmask_b32_e64 v43, v41, v42, s1
	v_not_b32_e32 v42, v40
	v_mad_u64_u32 v[40:41], null, s30, v40, v[2:3]
	v_mul_hi_u32 v15, v9, v30
	v_mul_hi_u32 v52, v1, v30
	v_mad_u64_u32 v[41:42], null, s29, v42, v[2:3]
	v_mul_hi_u32 v53, v2, v30
	v_mul_hi_u32 v54, v3, v30
	v_cmp_le_u32_e64 s2, s29, v40
	v_mul_hi_u32 v55, v4, v30
	v_mul_hi_u32 v56, v5, v30
	;; [unrolled: 1-line block ×4, first 2 shown]
	v_cndmask_b32_e64 v42, v40, v41, s2
	v_not_b32_e32 v41, v39
	v_mad_u64_u32 v[39:40], null, s30, v39, v[3:4]
	v_mul_hi_u32 v59, v8, v30
	v_add_nc_u32_e32 v16, s28, v16
	v_mad_u64_u32 v[40:41], null, s29, v41, v[3:4]
	v_add_nc_u32_e32 v17, s28, v17
	v_add_nc_u32_e32 v18, s28, v18
	v_cmp_le_u32_e64 s3, s29, v39
	v_add_nc_u32_e32 v19, s28, v19
	v_add_nc_u32_e32 v20, s28, v20
	;; [unrolled: 1-line block ×4, first 2 shown]
	v_cndmask_b32_e64 v41, v39, v40, s3
	v_not_b32_e32 v40, v38
	v_mad_u64_u32 v[38:39], null, s30, v38, v[4:5]
	v_add_nc_u32_e32 v23, s28, v23
	v_add_nc_u32_e32 v24, s28, v24
	v_mad_u64_u32 v[39:40], null, s29, v40, v[4:5]
	v_add_nc_u32_e32 v25, s28, v25
	v_add_nc_u32_e32 v26, s28, v26
	v_cmp_le_u32_e64 s4, s29, v38
	v_add_nc_u32_e32 v27, s28, v27
	v_add_nc_u32_e32 v28, s28, v28
	v_add_nc_u32_e32 v29, s28, v29
	v_add_nc_u32_e32 v31, s28, v31
	v_cndmask_b32_e64 v40, v38, v39, s4
	v_not_b32_e32 v39, v37
	v_mad_u64_u32 v[37:38], null, s30, v37, v[5:6]
	v_mad_u64_u32 v[38:39], null, s29, v39, v[5:6]
	v_cmp_le_u32_e64 s5, s29, v37
	v_cndmask_b32_e64 v39, v37, v38, s5
	v_not_b32_e32 v38, v36
	v_mad_u64_u32 v[36:37], null, s30, v36, v[6:7]
	v_mad_u64_u32 v[37:38], null, s29, v38, v[6:7]
	v_cmp_le_u32_e64 s6, s29, v36
	;; [unrolled: 5-line block ×4, first 2 shown]
	v_cndmask_b32_e64 v36, v34, v35, s8
	v_not_b32_e32 v35, v33
	v_mad_u64_u32 v[33:34], null, s30, v33, v[9:10]
	v_mad_u64_u32 v[34:35], null, s29, v35, v[9:10]
	v_not_b32_e32 v35, v46
	v_cmp_le_u32_e64 s9, s29, v33
	v_cndmask_b32_e64 v60, v33, v34, s9
	v_mad_u64_u32 v[33:34], null, s30, v46, v[10:11]
	v_mad_u64_u32 v[34:35], null, s29, v35, v[10:11]
	v_not_b32_e32 v35, v47
	v_cmp_le_u32_e64 s10, s29, v33
	v_cndmask_b32_e64 v46, v33, v34, s10
	;; [unrolled: 5-line block ×5, first 2 shown]
	v_mad_u64_u32 v[33:34], null, s30, v50, v[14:15]
	v_add_nc_u32_e32 v50, 1, v32
	v_mad_u64_u32 v[34:35], null, s29, v35, v[14:15]
	v_mul_hi_u32 v35, v11, v30
	v_cndmask_b32_e32 v32, v32, v50, vcc_lo
	v_add_nc_u32_e32 v50, 1, v51
	v_cmp_le_u32_e64 s14, s29, v33
	v_cmp_le_u32_e32 vcc_lo, s29, v43
	v_cndmask_b32_e64 v50, v51, v50, s0
	v_add_nc_u32_e32 v51, 1, v52
	v_cndmask_b32_e64 v33, v33, v34, s14
	v_mul_hi_u32 v34, v10, v30
	v_cmp_le_u32_e64 s0, s29, v42
	v_cndmask_b32_e64 v51, v52, v51, s1
	v_add_nc_u32_e32 v52, 1, v53
	v_cmp_le_u32_e64 s1, s29, v41
	v_cndmask_b32_e64 v52, v53, v52, s2
	v_add_nc_u32_e32 v53, 1, v54
	;; [unrolled: 3-line block ×3, first 2 shown]
	v_cmp_le_u32_e64 s3, s29, v39
	v_add_nc_u32_e32 v42, 1, v53
	v_cndmask_b32_e64 v54, v55, v54, s4
	v_add_nc_u32_e32 v55, 1, v56
	v_cmp_le_u32_e64 s4, s29, v38
	v_cndmask_b32_e64 v42, v53, v42, s1
	v_add_nc_u32_e32 v41, 1, v54
	v_cndmask_b32_e64 v55, v56, v55, s5
	v_add_nc_u32_e32 v56, 1, v57
	v_cmp_le_u32_e64 s5, s29, v37
	v_cndmask_b32_e64 v41, v54, v41, s2
	;; [unrolled: 5-line block ×3, first 2 shown]
	v_add_nc_u32_e32 v39, 1, v56
	v_cndmask_b32_e64 v57, v58, v57, s7
	v_add_nc_u32_e32 v58, 1, v59
	v_cmp_le_u32_e64 s7, s29, v60
	v_add_nc_u32_e32 v38, 1, v57
	v_cndmask_b32_e64 v58, v59, v58, s8
	v_add_nc_u32_e32 v59, 1, v15
	v_cmp_le_u32_e64 s8, s29, v46
	v_cndmask_b32_e64 v53, v57, v38, s5
	v_add_nc_u32_e32 v37, 1, v58
	v_cndmask_b32_e64 v15, v15, v59, s9
	v_add_nc_u32_e32 v59, 1, v34
	v_cmp_le_u32_e64 s9, s29, v47
	v_cndmask_b32_e64 v54, v58, v37, s6
	;; [unrolled: 5-line block ×3, first 2 shown]
	v_add_nc_u32_e32 v43, 1, v59
	v_cndmask_b32_e64 v61, v35, v34, s11
	v_mul_hi_u32 v34, v12, v30
	v_cmp_le_u32_e64 s11, s29, v49
	v_cndmask_b32_e64 v43, v59, v43, s8
	v_add_nc_u32_e32 v46, 1, v61
	v_add_nc_u32_e32 v35, 1, v34
	v_cndmask_b32_e64 v46, v61, v46, s9
	v_cndmask_b32_e64 v62, v34, v35, s12
	v_mul_hi_u32 v34, v13, v30
	v_cmp_le_u32_e64 s12, s29, v33
	v_add_nc_u32_e32 v33, 1, v50
	v_add_nc_u32_e32 v47, 1, v62
	;; [unrolled: 1-line block ×3, first 2 shown]
	v_cndmask_b32_e64 v47, v62, v47, s10
	v_cndmask_b32_e64 v63, v34, v35, s13
	v_mul_hi_u32 v34, v14, v30
	v_cmp_le_u32_e64 s13, s29, v44
	v_add_nc_u32_e32 v44, 1, v32
	v_add_nc_u32_e32 v48, 1, v63
	;; [unrolled: 1-line block ×3, first 2 shown]
	v_cndmask_b32_e64 v48, v63, v48, s11
	v_cndmask_b32_e64 v64, v34, v35, s14
	v_add_nc_u32_e32 v34, 1, v51
	v_add_nc_u32_e32 v35, 1, v52
	v_cmp_le_u32_e64 s14, s29, v45
	v_cndmask_b32_e64 v45, v50, v33, s13
	v_add_nc_u32_e32 v49, 1, v64
	v_cndmask_b32_e32 v50, v51, v34, vcc_lo
	v_cndmask_b32_e64 v51, v52, v35, s0
	v_cndmask_b32_e64 v44, v32, v44, s14
	global_load_dwordx4 v[32:35], v0, s[20:21]
	v_cndmask_b32_e64 v52, v56, v39, s4
	v_cndmask_b32_e64 v49, v64, v49, s12
	v_mad_u64_u32 v[36:37], null, s30, v44, v[0:1]
	v_mad_u64_u32 v[37:38], null, s30, v50, v[1:2]
	;; [unrolled: 1-line block ×15, first 2 shown]
	v_add_nc_u32_e32 v0, s28, v0
	v_mad_u64_u32 v[13:14], null, s30, v49, v[14:15]
	v_mul_lo_u32 v14, v44, s18
	v_mul_lo_u32 v36, v36, s19
	;; [unrolled: 1-line block ×9, first 2 shown]
	v_add_nc_u32_e32 v53, 16, v0
	v_mul_lo_u32 v54, v1, s19
	v_mul_lo_u32 v55, v2, s19
	v_mul_lo_u32 v8, v8, s19
	v_mad_u64_u32 v[1:2], null, s19, v38, s[24:25]
	v_mul_lo_u32 v37, v37, s19
	v_mul_lo_u32 v42, v42, s18
	;; [unrolled: 1-line block ×19, first 2 shown]
	v_cmp_lt_u32_e32 vcc_lo, s15, v53
	v_add3_u32 v13, v36, v14, s23
	v_add3_u32 v1, v1, v39, s23
	;; [unrolled: 1-line block ×4, first 2 shown]
	s_or_b32 s31, vcc_lo, s31
	v_add3_u32 v36, v54, v45, s23
	v_add3_u32 v37, v55, v42, s23
	;; [unrolled: 1-line block ×12, first 2 shown]
	s_waitcnt vmcnt(0)
	v_lshrrev_b32_e32 v15, 8, v32
	v_lshrrev_b32_e32 v38, 24, v32
	;; [unrolled: 1-line block ×8, first 2 shown]
	global_store_byte v13, v32, s[16:17]
	global_store_byte v1, v15, s[16:17]
	global_store_byte_d16_hi v14, v32, s[16:17]
	global_store_byte v36, v38, s[16:17]
	global_store_byte v37, v33, s[16:17]
	global_store_byte v3, v39, s[16:17]
	global_store_byte_d16_hi v4, v33, s[16:17]
	global_store_byte v5, v40, s[16:17]
	;; [unrolled: 4-line block ×4, first 2 shown]
	s_andn2_b32 exec_lo, exec_lo, s31
	s_cbranch_execnz .LBB6_3
; %bb.4:
	s_or_b32 exec_lo, exec_lo, s31
.LBB6_5:
	s_or_b32 exec_lo, exec_lo, s27
	v_cmp_gt_u32_e32 vcc_lo, s15, v0
	s_and_b32 exec_lo, exec_lo, vcc_lo
	s_cbranch_execz .LBB6_8
; %bb.6:
	s_cmp_eq_u32 s22, 1
	s_mov_b32 s3, 0
	s_cselect_b32 s1, s26, s25
	v_cvt_f32_u32_e32 v1, s1
	s_sub_i32 s2, 0, s1
	v_rcp_iflag_f32_e32 v1, v1
	v_mul_f32_e32 v1, 0x4f7ffffe, v1
	v_cvt_u32_f32_e32 v1, v1
	v_mul_lo_u32 v2, s2, v1
	v_mul_hi_u32 v2, v1, v2
	v_add_nc_u32_e32 v4, v1, v2
	v_mov_b32_e32 v1, 0
	v_mad_u64_u32 v[2:3], null, v0, v4, 0
	s_inst_prefetch 0x1
	.p2align	6
.LBB6_7:                                ; =>This Inner Loop Header: Depth=1
	v_add_co_u32 v5, vcc_lo, s20, v0
	v_add_co_ci_u32_e64 v6, null, s21, v1, vcc_lo
	v_add_nc_u32_e32 v8, 1, v3
	v_add_co_u32 v2, s0, v2, v4
	global_load_ubyte v7, v[5:6], off
	v_mul_lo_u32 v5, s1, v3
	v_not_b32_e32 v6, v3
	v_sub_nc_u32_e32 v9, v0, v5
	v_mad_u64_u32 v[5:6], null, s1, v6, v[0:1]
	v_cmp_le_u32_e32 vcc_lo, s1, v9
	v_cndmask_b32_e32 v6, v3, v8, vcc_lo
	v_cndmask_b32_e32 v5, v9, v5, vcc_lo
	v_add_co_ci_u32_e64 v3, null, 0, v3, s0
	v_add_nc_u32_e32 v8, 1, v6
	v_cmp_le_u32_e32 vcc_lo, s1, v5
	v_cndmask_b32_e32 v8, v6, v8, vcc_lo
	v_mad_u64_u32 v[5:6], null, s2, v8, v[0:1]
	v_mul_lo_u32 v6, v8, s18
	v_add_co_u32 v0, vcc_lo, v0, 1
	v_add_co_ci_u32_e64 v1, null, 0, v1, vcc_lo
	v_mul_lo_u32 v5, v5, s19
	v_cmp_le_u32_e32 vcc_lo, s15, v0
	s_or_b32 s3, vcc_lo, s3
	v_add3_u32 v5, v5, v6, s23
	s_waitcnt vmcnt(0)
	global_store_byte v5, v7, s[16:17]
	s_andn2_b32 exec_lo, exec_lo, s3
	s_cbranch_execnz .LBB6_7
.LBB6_8:
	s_inst_prefetch 0x2
	s_endpgm
	.section	.rodata,"a",@progbits
	.p2align	6, 0x0
	.amdhsa_kernel _ZN2at6native12_GLOBAL__N_135CatArrayBatchedCopy_alignedK_contigINS1_10OpaqueTypeILj1EEEjLi2ELi128ELi1ELi16EEEvPT_NS1_25CatArrInputTensorMetadataIS5_T0_XT2_EXT3_EEENS1_16TensorSizeStrideIS8_Lj4EEEiS8_
		.amdhsa_group_segment_fixed_size 0
		.amdhsa_private_segment_fixed_size 0
		.amdhsa_kernarg_size 3024
		.amdhsa_user_sgpr_count 6
		.amdhsa_user_sgpr_private_segment_buffer 1
		.amdhsa_user_sgpr_dispatch_ptr 0
		.amdhsa_user_sgpr_queue_ptr 0
		.amdhsa_user_sgpr_kernarg_segment_ptr 1
		.amdhsa_user_sgpr_dispatch_id 0
		.amdhsa_user_sgpr_flat_scratch_init 0
		.amdhsa_user_sgpr_private_segment_size 0
		.amdhsa_wavefront_size32 1
		.amdhsa_uses_dynamic_stack 0
		.amdhsa_system_sgpr_private_segment_wavefront_offset 0
		.amdhsa_system_sgpr_workgroup_id_x 1
		.amdhsa_system_sgpr_workgroup_id_y 1
		.amdhsa_system_sgpr_workgroup_id_z 0
		.amdhsa_system_sgpr_workgroup_info 0
		.amdhsa_system_vgpr_workitem_id 0
		.amdhsa_next_free_vgpr 65
		.amdhsa_next_free_sgpr 32
		.amdhsa_reserve_vcc 1
		.amdhsa_reserve_flat_scratch 0
		.amdhsa_float_round_mode_32 0
		.amdhsa_float_round_mode_16_64 0
		.amdhsa_float_denorm_mode_32 3
		.amdhsa_float_denorm_mode_16_64 3
		.amdhsa_dx10_clamp 1
		.amdhsa_ieee_mode 1
		.amdhsa_fp16_overflow 0
		.amdhsa_workgroup_processor_mode 1
		.amdhsa_memory_ordered 1
		.amdhsa_forward_progress 1
		.amdhsa_shared_vgpr_count 0
		.amdhsa_exception_fp_ieee_invalid_op 0
		.amdhsa_exception_fp_denorm_src 0
		.amdhsa_exception_fp_ieee_div_zero 0
		.amdhsa_exception_fp_ieee_overflow 0
		.amdhsa_exception_fp_ieee_underflow 0
		.amdhsa_exception_fp_ieee_inexact 0
		.amdhsa_exception_int_div_zero 0
	.end_amdhsa_kernel
	.section	.text._ZN2at6native12_GLOBAL__N_135CatArrayBatchedCopy_alignedK_contigINS1_10OpaqueTypeILj1EEEjLi2ELi128ELi1ELi16EEEvPT_NS1_25CatArrInputTensorMetadataIS5_T0_XT2_EXT3_EEENS1_16TensorSizeStrideIS8_Lj4EEEiS8_,"axG",@progbits,_ZN2at6native12_GLOBAL__N_135CatArrayBatchedCopy_alignedK_contigINS1_10OpaqueTypeILj1EEEjLi2ELi128ELi1ELi16EEEvPT_NS1_25CatArrInputTensorMetadataIS5_T0_XT2_EXT3_EEENS1_16TensorSizeStrideIS8_Lj4EEEiS8_,comdat
.Lfunc_end6:
	.size	_ZN2at6native12_GLOBAL__N_135CatArrayBatchedCopy_alignedK_contigINS1_10OpaqueTypeILj1EEEjLi2ELi128ELi1ELi16EEEvPT_NS1_25CatArrInputTensorMetadataIS5_T0_XT2_EXT3_EEENS1_16TensorSizeStrideIS8_Lj4EEEiS8_, .Lfunc_end6-_ZN2at6native12_GLOBAL__N_135CatArrayBatchedCopy_alignedK_contigINS1_10OpaqueTypeILj1EEEjLi2ELi128ELi1ELi16EEEvPT_NS1_25CatArrInputTensorMetadataIS5_T0_XT2_EXT3_EEENS1_16TensorSizeStrideIS8_Lj4EEEiS8_
                                        ; -- End function
	.set _ZN2at6native12_GLOBAL__N_135CatArrayBatchedCopy_alignedK_contigINS1_10OpaqueTypeILj1EEEjLi2ELi128ELi1ELi16EEEvPT_NS1_25CatArrInputTensorMetadataIS5_T0_XT2_EXT3_EEENS1_16TensorSizeStrideIS8_Lj4EEEiS8_.num_vgpr, 65
	.set _ZN2at6native12_GLOBAL__N_135CatArrayBatchedCopy_alignedK_contigINS1_10OpaqueTypeILj1EEEjLi2ELi128ELi1ELi16EEEvPT_NS1_25CatArrInputTensorMetadataIS5_T0_XT2_EXT3_EEENS1_16TensorSizeStrideIS8_Lj4EEEiS8_.num_agpr, 0
	.set _ZN2at6native12_GLOBAL__N_135CatArrayBatchedCopy_alignedK_contigINS1_10OpaqueTypeILj1EEEjLi2ELi128ELi1ELi16EEEvPT_NS1_25CatArrInputTensorMetadataIS5_T0_XT2_EXT3_EEENS1_16TensorSizeStrideIS8_Lj4EEEiS8_.numbered_sgpr, 32
	.set _ZN2at6native12_GLOBAL__N_135CatArrayBatchedCopy_alignedK_contigINS1_10OpaqueTypeILj1EEEjLi2ELi128ELi1ELi16EEEvPT_NS1_25CatArrInputTensorMetadataIS5_T0_XT2_EXT3_EEENS1_16TensorSizeStrideIS8_Lj4EEEiS8_.num_named_barrier, 0
	.set _ZN2at6native12_GLOBAL__N_135CatArrayBatchedCopy_alignedK_contigINS1_10OpaqueTypeILj1EEEjLi2ELi128ELi1ELi16EEEvPT_NS1_25CatArrInputTensorMetadataIS5_T0_XT2_EXT3_EEENS1_16TensorSizeStrideIS8_Lj4EEEiS8_.private_seg_size, 0
	.set _ZN2at6native12_GLOBAL__N_135CatArrayBatchedCopy_alignedK_contigINS1_10OpaqueTypeILj1EEEjLi2ELi128ELi1ELi16EEEvPT_NS1_25CatArrInputTensorMetadataIS5_T0_XT2_EXT3_EEENS1_16TensorSizeStrideIS8_Lj4EEEiS8_.uses_vcc, 1
	.set _ZN2at6native12_GLOBAL__N_135CatArrayBatchedCopy_alignedK_contigINS1_10OpaqueTypeILj1EEEjLi2ELi128ELi1ELi16EEEvPT_NS1_25CatArrInputTensorMetadataIS5_T0_XT2_EXT3_EEENS1_16TensorSizeStrideIS8_Lj4EEEiS8_.uses_flat_scratch, 0
	.set _ZN2at6native12_GLOBAL__N_135CatArrayBatchedCopy_alignedK_contigINS1_10OpaqueTypeILj1EEEjLi2ELi128ELi1ELi16EEEvPT_NS1_25CatArrInputTensorMetadataIS5_T0_XT2_EXT3_EEENS1_16TensorSizeStrideIS8_Lj4EEEiS8_.has_dyn_sized_stack, 0
	.set _ZN2at6native12_GLOBAL__N_135CatArrayBatchedCopy_alignedK_contigINS1_10OpaqueTypeILj1EEEjLi2ELi128ELi1ELi16EEEvPT_NS1_25CatArrInputTensorMetadataIS5_T0_XT2_EXT3_EEENS1_16TensorSizeStrideIS8_Lj4EEEiS8_.has_recursion, 0
	.set _ZN2at6native12_GLOBAL__N_135CatArrayBatchedCopy_alignedK_contigINS1_10OpaqueTypeILj1EEEjLi2ELi128ELi1ELi16EEEvPT_NS1_25CatArrInputTensorMetadataIS5_T0_XT2_EXT3_EEENS1_16TensorSizeStrideIS8_Lj4EEEiS8_.has_indirect_call, 0
	.section	.AMDGPU.csdata,"",@progbits
; Kernel info:
; codeLenInByte = 2800
; TotalNumSgprs: 34
; NumVgprs: 65
; ScratchSize: 0
; MemoryBound: 0
; FloatMode: 240
; IeeeMode: 1
; LDSByteSize: 0 bytes/workgroup (compile time only)
; SGPRBlocks: 0
; VGPRBlocks: 8
; NumSGPRsForWavesPerEU: 34
; NumVGPRsForWavesPerEU: 65
; Occupancy: 12
; WaveLimiterHint : 1
; COMPUTE_PGM_RSRC2:SCRATCH_EN: 0
; COMPUTE_PGM_RSRC2:USER_SGPR: 6
; COMPUTE_PGM_RSRC2:TRAP_HANDLER: 0
; COMPUTE_PGM_RSRC2:TGID_X_EN: 1
; COMPUTE_PGM_RSRC2:TGID_Y_EN: 1
; COMPUTE_PGM_RSRC2:TGID_Z_EN: 0
; COMPUTE_PGM_RSRC2:TIDIG_COMP_CNT: 0
	.section	.text._ZN2at6native12_GLOBAL__N_135CatArrayBatchedCopy_alignedK_contigINS1_10OpaqueTypeILj1EEEjLi2ELi128ELi1ELi8EEEvPT_NS1_25CatArrInputTensorMetadataIS5_T0_XT2_EXT3_EEENS1_16TensorSizeStrideIS8_Lj4EEEiS8_,"axG",@progbits,_ZN2at6native12_GLOBAL__N_135CatArrayBatchedCopy_alignedK_contigINS1_10OpaqueTypeILj1EEEjLi2ELi128ELi1ELi8EEEvPT_NS1_25CatArrInputTensorMetadataIS5_T0_XT2_EXT3_EEENS1_16TensorSizeStrideIS8_Lj4EEEiS8_,comdat
	.globl	_ZN2at6native12_GLOBAL__N_135CatArrayBatchedCopy_alignedK_contigINS1_10OpaqueTypeILj1EEEjLi2ELi128ELi1ELi8EEEvPT_NS1_25CatArrInputTensorMetadataIS5_T0_XT2_EXT3_EEENS1_16TensorSizeStrideIS8_Lj4EEEiS8_ ; -- Begin function _ZN2at6native12_GLOBAL__N_135CatArrayBatchedCopy_alignedK_contigINS1_10OpaqueTypeILj1EEEjLi2ELi128ELi1ELi8EEEvPT_NS1_25CatArrInputTensorMetadataIS5_T0_XT2_EXT3_EEENS1_16TensorSizeStrideIS8_Lj4EEEiS8_
	.p2align	8
	.type	_ZN2at6native12_GLOBAL__N_135CatArrayBatchedCopy_alignedK_contigINS1_10OpaqueTypeILj1EEEjLi2ELi128ELi1ELi8EEEvPT_NS1_25CatArrInputTensorMetadataIS5_T0_XT2_EXT3_EEENS1_16TensorSizeStrideIS8_Lj4EEEiS8_,@function
_ZN2at6native12_GLOBAL__N_135CatArrayBatchedCopy_alignedK_contigINS1_10OpaqueTypeILj1EEEjLi2ELi128ELi1ELi8EEEvPT_NS1_25CatArrInputTensorMetadataIS5_T0_XT2_EXT3_EEENS1_16TensorSizeStrideIS8_Lj4EEEiS8_: ; @_ZN2at6native12_GLOBAL__N_135CatArrayBatchedCopy_alignedK_contigINS1_10OpaqueTypeILj1EEEjLi2ELi128ELi1ELi8EEEvPT_NS1_25CatArrInputTensorMetadataIS5_T0_XT2_EXT3_EEENS1_16TensorSizeStrideIS8_Lj4EEEiS8_
; %bb.0:
	s_mov_b32 s2, s7
	s_load_dword s7, s[4:5], 0xadc
	s_mov_b32 s3, 0
	s_add_u32 s0, s4, 0xad0
	s_addc_u32 s1, s5, 0
	s_lshl_b64 s[2:3], s[2:3], 2
	s_waitcnt lgkmcnt(0)
	s_and_b32 s14, s7, 0xffff
	s_add_u32 s8, s4, s2
	s_addc_u32 s9, s5, s3
	s_mul_i32 s6, s6, s14
	s_load_dword s15, s[8:9], 0x808
	v_add_lshl_u32 v0, s6, v0, 3
	s_add_u32 s6, s8, 8
	s_addc_u32 s7, s9, 0
	s_mov_b32 s8, exec_lo
	s_waitcnt lgkmcnt(0)
	v_cmpx_gt_u32_e64 s15, v0
	s_cbranch_execz .LBB7_8
; %bb.1:
	s_add_u32 s10, s6, s2
	s_addc_u32 s11, s7, s3
	s_sub_u32 s2, 0, s2
	s_subb_u32 s3, 0, s3
	s_add_u32 s2, s10, s2
	s_addc_u32 s3, s11, s3
	s_clause 0x6
	s_load_dwordx2 s[6:7], s[4:5], 0x0
	s_load_dwordx2 s[12:13], s[4:5], 0xac8
	s_load_dword s16, s[4:5], 0xaac
	s_load_dwordx2 s[8:9], s[4:5], 0xab8
	s_load_dword s4, s[2:3], 0x400
	;; [unrolled: 2-line block ×3, first 2 shown]
	v_add_nc_u32_e32 v1, 8, v0
	s_mov_b32 s18, exec_lo
	s_waitcnt lgkmcnt(0)
	s_mul_i32 s13, s4, s13
	v_cmpx_ge_u32_e64 s15, v1
	s_cbranch_execz .LBB7_5
; %bb.2:
	s_load_dword s0, s[0:1], 0x0
	v_add_nc_u32_e32 v2, 6, v0
	v_add_nc_u32_e32 v3, 5, v0
	;; [unrolled: 1-line block ×5, first 2 shown]
	s_mov_b32 s22, 0
	s_waitcnt lgkmcnt(0)
	s_mul_i32 s0, s0, s14
	s_mov_b32 s14, s9
	s_lshl_b32 s19, s0, 3
	s_cmp_eq_u32 s12, 1
	s_cselect_b32 s20, s17, s16
	v_cvt_f32_u32_e32 v1, s20
	s_sub_i32 s21, 0, s20
	v_rcp_iflag_f32_e32 v1, v1
	v_mul_f32_e32 v1, 0x4f7ffffe, v1
	v_cvt_u32_f32_e32 v7, v1
	v_mul_lo_u32 v1, s21, v7
	v_mul_hi_u32 v8, v7, v1
	v_add_nc_u32_e32 v1, 7, v0
	v_add_nc_u32_e32 v7, v7, v8
	;; [unrolled: 1-line block ×3, first 2 shown]
.LBB7_3:                                ; =>This Inner Loop Header: Depth=1
	global_load_dwordx2 v[9:10], v0, s[10:11]
	v_mul_hi_u32 v29, v7, v0
	v_mul_hi_u32 v20, v7, v8
	v_mul_hi_u32 v26, v7, v1
	v_mul_hi_u32 v21, v7, v6
	v_add_nc_u32_e32 v1, s19, v1
	v_mul_hi_u32 v22, v7, v5
	v_mul_hi_u32 v23, v7, v4
	v_add_nc_u32_e32 v11, 1, v0
	v_add_nc_u32_e32 v12, 2, v0
	v_mul_hi_u32 v24, v7, v3
	v_add_nc_u32_e32 v13, 3, v0
	v_mul_hi_u32 v25, v7, v2
	v_add_nc_u32_e32 v14, 4, v0
	v_add_nc_u32_e32 v15, 5, v0
	v_mad_u64_u32 v[18:19], null, s21, v29, v[0:1]
	v_add_nc_u32_e32 v16, 6, v0
	v_add_nc_u32_e32 v17, 7, v0
	v_not_b32_e32 v28, v20
	v_mad_u64_u32 v[19:20], null, s21, v20, v[11:12]
	v_not_b32_e32 v42, v21
	v_mad_u64_u32 v[20:21], null, s21, v21, v[12:13]
	v_not_b32_e32 v27, v29
	v_not_b32_e32 v30, v22
	v_mad_u64_u32 v[21:22], null, s21, v22, v[13:14]
	v_not_b32_e32 v41, v23
	v_mad_u64_u32 v[22:23], null, s21, v23, v[14:15]
	;; [unrolled: 2-line block ×5, first 2 shown]
	v_mad_u64_u32 v[26:27], null, s20, v27, v[0:1]
	v_mul_hi_u32 v31, v11, v7
	v_add_nc_u32_e32 v43, 1, v29
	v_cmp_le_u32_e32 vcc_lo, s20, v18
	v_mad_u64_u32 v[27:28], null, s20, v28, v[11:12]
	v_mul_hi_u32 v32, v12, v7
	v_mul_hi_u32 v36, v16, v7
	v_cndmask_b32_e32 v43, v29, v43, vcc_lo
	v_cndmask_b32_e32 v45, v18, v26, vcc_lo
	v_cmp_le_u32_e32 vcc_lo, s20, v19
	v_add_nc_u32_e32 v11, 1, v31
	v_mul_hi_u32 v33, v13, v7
	v_mul_hi_u32 v34, v14, v7
	;; [unrolled: 1-line block ×3, first 2 shown]
	v_cndmask_b32_e32 v47, v19, v27, vcc_lo
	v_mad_u64_u32 v[18:19], null, s20, v41, v[14:15]
	v_add_nc_u32_e32 v44, 1, v32
	v_cndmask_b32_e32 v11, v31, v11, vcc_lo
	v_cmp_le_u32_e32 vcc_lo, s20, v20
	v_mul_hi_u32 v37, v17, v7
	v_mad_u64_u32 v[28:29], null, s20, v42, v[12:13]
	v_mad_u64_u32 v[29:30], null, s20, v30, v[13:14]
	;; [unrolled: 1-line block ×3, first 2 shown]
	v_add_nc_u32_e32 v40, 1, v36
	v_mad_u64_u32 v[30:31], null, s20, v39, v[16:17]
	v_cmp_le_u32_e64 s4, s20, v24
	v_add_nc_u32_e32 v42, 1, v33
	v_cndmask_b32_e32 v27, v32, v44, vcc_lo
	v_cmp_le_u32_e64 s0, s20, v21
	v_mad_u64_u32 v[31:32], null, s20, v38, v[17:18]
	v_add_nc_u32_e32 v46, 1, v34
	v_add_nc_u32_e32 v19, 1, v35
	v_cmp_le_u32_e64 s1, s20, v22
	v_cmp_le_u32_e64 s2, s20, v23
	;; [unrolled: 1-line block ×3, first 2 shown]
	v_add_nc_u32_e32 v39, 1, v37
	v_cndmask_b32_e64 v32, v36, v40, s4
	v_add_nc_u32_e32 v36, 1, v43
	v_cndmask_b32_e32 v20, v20, v28, vcc_lo
	v_cmp_le_u32_e32 vcc_lo, s20, v45
	v_cndmask_b32_e64 v33, v33, v42, s0
	v_cndmask_b32_e64 v21, v21, v29, s0
	;; [unrolled: 1-line block ×8, first 2 shown]
	v_add_nc_u32_e32 v25, 1, v11
	v_cmp_le_u32_e64 s5, s20, v47
	v_cndmask_b32_e64 v35, v37, v39, s3
	v_add_nc_u32_e32 v26, 1, v27
	v_cndmask_b32_e32 v36, v43, v36, vcc_lo
	v_cmp_le_u32_e32 vcc_lo, s20, v20
	v_add_nc_u32_e32 v28, 1, v33
	v_cmp_le_u32_e64 s0, s20, v21
	v_add_nc_u32_e32 v29, 1, v34
	v_add_nc_u32_e32 v30, 1, v19
	v_cmp_le_u32_e64 s1, s20, v18
	v_cmp_le_u32_e64 s2, s20, v22
	v_add_nc_u32_e32 v31, 1, v32
	v_cmp_le_u32_e64 s3, s20, v23
	v_cndmask_b32_e64 v11, v11, v25, s5
	v_add_nc_u32_e32 v37, 1, v35
	v_cmp_le_u32_e64 s4, s20, v24
	v_cndmask_b32_e32 v21, v27, v26, vcc_lo
	v_cndmask_b32_e64 v22, v33, v28, s0
	v_cndmask_b32_e64 v23, v34, v29, s1
	;; [unrolled: 1-line block ×3, first 2 shown]
	v_mad_u64_u32 v[18:19], null, s21, v36, v[0:1]
	v_cndmask_b32_e64 v25, v32, v31, s3
	v_mad_u64_u32 v[19:20], null, s21, v11, v[0:1]
	v_cndmask_b32_e64 v26, v35, v37, s4
	v_mul_lo_u32 v20, v11, s8
	v_mad_u64_u32 v[11:12], null, s21, v21, v[12:13]
	v_mad_u64_u32 v[12:13], null, s21, v22, v[13:14]
	;; [unrolled: 1-line block ×5, first 2 shown]
	v_add_nc_u32_e32 v0, s19, v0
	v_mad_u64_u32 v[16:17], null, s21, v26, v[17:18]
	v_mul_lo_u32 v27, v36, s8
	v_mul_lo_u32 v29, v18, s9
	v_add_nc_u32_e32 v28, 8, v0
	v_mad_u64_u32 v[17:18], null, s9, v19, s[14:15]
	v_mul_lo_u32 v21, v21, s8
	v_mul_lo_u32 v11, v11, s9
	;; [unrolled: 1-line block ×12, first 2 shown]
	v_cmp_lt_u32_e32 vcc_lo, s15, v28
	v_add_nc_u32_e32 v2, s19, v2
	v_add_nc_u32_e32 v3, s19, v3
	;; [unrolled: 1-line block ×6, first 2 shown]
	v_add3_u32 v18, v29, v27, s13
	v_add3_u32 v17, v17, v20, s13
	v_add3_u32 v11, v11, v21, s13
	s_or_b32 s22, vcc_lo, s22
	v_add3_u32 v12, v12, v22, s13
	v_add3_u32 v13, v13, v23, s13
	v_add3_u32 v14, v14, v24, s13
	v_add3_u32 v15, v15, v25, s13
	v_add3_u32 v16, v16, v26, s13
	s_waitcnt vmcnt(0)
	v_lshrrev_b32_e32 v19, 8, v9
	v_lshrrev_b32_e32 v20, 24, v9
	;; [unrolled: 1-line block ×4, first 2 shown]
	global_store_byte v18, v9, s[6:7]
	global_store_byte v17, v19, s[6:7]
	global_store_byte_d16_hi v11, v9, s[6:7]
	global_store_byte v12, v20, s[6:7]
	global_store_byte v13, v10, s[6:7]
	;; [unrolled: 1-line block ×3, first 2 shown]
	global_store_byte_d16_hi v15, v10, s[6:7]
	global_store_byte v16, v22, s[6:7]
	s_andn2_b32 exec_lo, exec_lo, s22
	s_cbranch_execnz .LBB7_3
; %bb.4:
	s_or_b32 exec_lo, exec_lo, s22
.LBB7_5:
	s_or_b32 exec_lo, exec_lo, s18
	v_cmp_gt_u32_e32 vcc_lo, s15, v0
	s_and_b32 exec_lo, exec_lo, vcc_lo
	s_cbranch_execz .LBB7_8
; %bb.6:
	s_cmp_eq_u32 s12, 1
	s_mov_b32 s3, 0
	s_cselect_b32 s1, s17, s16
	v_cvt_f32_u32_e32 v1, s1
	s_sub_i32 s2, 0, s1
	v_rcp_iflag_f32_e32 v1, v1
	v_mul_f32_e32 v1, 0x4f7ffffe, v1
	v_cvt_u32_f32_e32 v1, v1
	v_mul_lo_u32 v2, s2, v1
	v_mul_hi_u32 v2, v1, v2
	v_add_nc_u32_e32 v4, v1, v2
	v_mov_b32_e32 v1, 0
	v_mad_u64_u32 v[2:3], null, v0, v4, 0
	s_inst_prefetch 0x1
	.p2align	6
.LBB7_7:                                ; =>This Inner Loop Header: Depth=1
	v_add_co_u32 v5, vcc_lo, s10, v0
	v_add_co_ci_u32_e64 v6, null, s11, v1, vcc_lo
	v_add_nc_u32_e32 v8, 1, v3
	v_add_co_u32 v2, s0, v2, v4
	global_load_ubyte v7, v[5:6], off
	v_mul_lo_u32 v5, s1, v3
	v_not_b32_e32 v6, v3
	v_sub_nc_u32_e32 v9, v0, v5
	v_mad_u64_u32 v[5:6], null, s1, v6, v[0:1]
	v_cmp_le_u32_e32 vcc_lo, s1, v9
	v_cndmask_b32_e32 v6, v3, v8, vcc_lo
	v_cndmask_b32_e32 v5, v9, v5, vcc_lo
	v_add_co_ci_u32_e64 v3, null, 0, v3, s0
	v_add_nc_u32_e32 v8, 1, v6
	v_cmp_le_u32_e32 vcc_lo, s1, v5
	v_cndmask_b32_e32 v8, v6, v8, vcc_lo
	v_mad_u64_u32 v[5:6], null, s2, v8, v[0:1]
	v_mul_lo_u32 v6, v8, s8
	v_add_co_u32 v0, vcc_lo, v0, 1
	v_add_co_ci_u32_e64 v1, null, 0, v1, vcc_lo
	v_mul_lo_u32 v5, v5, s9
	v_cmp_le_u32_e32 vcc_lo, s15, v0
	s_or_b32 s3, vcc_lo, s3
	v_add3_u32 v5, v5, v6, s13
	s_waitcnt vmcnt(0)
	global_store_byte v5, v7, s[6:7]
	s_andn2_b32 exec_lo, exec_lo, s3
	s_cbranch_execnz .LBB7_7
.LBB7_8:
	s_inst_prefetch 0x2
	s_endpgm
	.section	.rodata,"a",@progbits
	.p2align	6, 0x0
	.amdhsa_kernel _ZN2at6native12_GLOBAL__N_135CatArrayBatchedCopy_alignedK_contigINS1_10OpaqueTypeILj1EEEjLi2ELi128ELi1ELi8EEEvPT_NS1_25CatArrInputTensorMetadataIS5_T0_XT2_EXT3_EEENS1_16TensorSizeStrideIS8_Lj4EEEiS8_
		.amdhsa_group_segment_fixed_size 0
		.amdhsa_private_segment_fixed_size 0
		.amdhsa_kernarg_size 3024
		.amdhsa_user_sgpr_count 6
		.amdhsa_user_sgpr_private_segment_buffer 1
		.amdhsa_user_sgpr_dispatch_ptr 0
		.amdhsa_user_sgpr_queue_ptr 0
		.amdhsa_user_sgpr_kernarg_segment_ptr 1
		.amdhsa_user_sgpr_dispatch_id 0
		.amdhsa_user_sgpr_flat_scratch_init 0
		.amdhsa_user_sgpr_private_segment_size 0
		.amdhsa_wavefront_size32 1
		.amdhsa_uses_dynamic_stack 0
		.amdhsa_system_sgpr_private_segment_wavefront_offset 0
		.amdhsa_system_sgpr_workgroup_id_x 1
		.amdhsa_system_sgpr_workgroup_id_y 1
		.amdhsa_system_sgpr_workgroup_id_z 0
		.amdhsa_system_sgpr_workgroup_info 0
		.amdhsa_system_vgpr_workitem_id 0
		.amdhsa_next_free_vgpr 48
		.amdhsa_next_free_sgpr 23
		.amdhsa_reserve_vcc 1
		.amdhsa_reserve_flat_scratch 0
		.amdhsa_float_round_mode_32 0
		.amdhsa_float_round_mode_16_64 0
		.amdhsa_float_denorm_mode_32 3
		.amdhsa_float_denorm_mode_16_64 3
		.amdhsa_dx10_clamp 1
		.amdhsa_ieee_mode 1
		.amdhsa_fp16_overflow 0
		.amdhsa_workgroup_processor_mode 1
		.amdhsa_memory_ordered 1
		.amdhsa_forward_progress 1
		.amdhsa_shared_vgpr_count 0
		.amdhsa_exception_fp_ieee_invalid_op 0
		.amdhsa_exception_fp_denorm_src 0
		.amdhsa_exception_fp_ieee_div_zero 0
		.amdhsa_exception_fp_ieee_overflow 0
		.amdhsa_exception_fp_ieee_underflow 0
		.amdhsa_exception_fp_ieee_inexact 0
		.amdhsa_exception_int_div_zero 0
	.end_amdhsa_kernel
	.section	.text._ZN2at6native12_GLOBAL__N_135CatArrayBatchedCopy_alignedK_contigINS1_10OpaqueTypeILj1EEEjLi2ELi128ELi1ELi8EEEvPT_NS1_25CatArrInputTensorMetadataIS5_T0_XT2_EXT3_EEENS1_16TensorSizeStrideIS8_Lj4EEEiS8_,"axG",@progbits,_ZN2at6native12_GLOBAL__N_135CatArrayBatchedCopy_alignedK_contigINS1_10OpaqueTypeILj1EEEjLi2ELi128ELi1ELi8EEEvPT_NS1_25CatArrInputTensorMetadataIS5_T0_XT2_EXT3_EEENS1_16TensorSizeStrideIS8_Lj4EEEiS8_,comdat
.Lfunc_end7:
	.size	_ZN2at6native12_GLOBAL__N_135CatArrayBatchedCopy_alignedK_contigINS1_10OpaqueTypeILj1EEEjLi2ELi128ELi1ELi8EEEvPT_NS1_25CatArrInputTensorMetadataIS5_T0_XT2_EXT3_EEENS1_16TensorSizeStrideIS8_Lj4EEEiS8_, .Lfunc_end7-_ZN2at6native12_GLOBAL__N_135CatArrayBatchedCopy_alignedK_contigINS1_10OpaqueTypeILj1EEEjLi2ELi128ELi1ELi8EEEvPT_NS1_25CatArrInputTensorMetadataIS5_T0_XT2_EXT3_EEENS1_16TensorSizeStrideIS8_Lj4EEEiS8_
                                        ; -- End function
	.set _ZN2at6native12_GLOBAL__N_135CatArrayBatchedCopy_alignedK_contigINS1_10OpaqueTypeILj1EEEjLi2ELi128ELi1ELi8EEEvPT_NS1_25CatArrInputTensorMetadataIS5_T0_XT2_EXT3_EEENS1_16TensorSizeStrideIS8_Lj4EEEiS8_.num_vgpr, 48
	.set _ZN2at6native12_GLOBAL__N_135CatArrayBatchedCopy_alignedK_contigINS1_10OpaqueTypeILj1EEEjLi2ELi128ELi1ELi8EEEvPT_NS1_25CatArrInputTensorMetadataIS5_T0_XT2_EXT3_EEENS1_16TensorSizeStrideIS8_Lj4EEEiS8_.num_agpr, 0
	.set _ZN2at6native12_GLOBAL__N_135CatArrayBatchedCopy_alignedK_contigINS1_10OpaqueTypeILj1EEEjLi2ELi128ELi1ELi8EEEvPT_NS1_25CatArrInputTensorMetadataIS5_T0_XT2_EXT3_EEENS1_16TensorSizeStrideIS8_Lj4EEEiS8_.numbered_sgpr, 23
	.set _ZN2at6native12_GLOBAL__N_135CatArrayBatchedCopy_alignedK_contigINS1_10OpaqueTypeILj1EEEjLi2ELi128ELi1ELi8EEEvPT_NS1_25CatArrInputTensorMetadataIS5_T0_XT2_EXT3_EEENS1_16TensorSizeStrideIS8_Lj4EEEiS8_.num_named_barrier, 0
	.set _ZN2at6native12_GLOBAL__N_135CatArrayBatchedCopy_alignedK_contigINS1_10OpaqueTypeILj1EEEjLi2ELi128ELi1ELi8EEEvPT_NS1_25CatArrInputTensorMetadataIS5_T0_XT2_EXT3_EEENS1_16TensorSizeStrideIS8_Lj4EEEiS8_.private_seg_size, 0
	.set _ZN2at6native12_GLOBAL__N_135CatArrayBatchedCopy_alignedK_contigINS1_10OpaqueTypeILj1EEEjLi2ELi128ELi1ELi8EEEvPT_NS1_25CatArrInputTensorMetadataIS5_T0_XT2_EXT3_EEENS1_16TensorSizeStrideIS8_Lj4EEEiS8_.uses_vcc, 1
	.set _ZN2at6native12_GLOBAL__N_135CatArrayBatchedCopy_alignedK_contigINS1_10OpaqueTypeILj1EEEjLi2ELi128ELi1ELi8EEEvPT_NS1_25CatArrInputTensorMetadataIS5_T0_XT2_EXT3_EEENS1_16TensorSizeStrideIS8_Lj4EEEiS8_.uses_flat_scratch, 0
	.set _ZN2at6native12_GLOBAL__N_135CatArrayBatchedCopy_alignedK_contigINS1_10OpaqueTypeILj1EEEjLi2ELi128ELi1ELi8EEEvPT_NS1_25CatArrInputTensorMetadataIS5_T0_XT2_EXT3_EEENS1_16TensorSizeStrideIS8_Lj4EEEiS8_.has_dyn_sized_stack, 0
	.set _ZN2at6native12_GLOBAL__N_135CatArrayBatchedCopy_alignedK_contigINS1_10OpaqueTypeILj1EEEjLi2ELi128ELi1ELi8EEEvPT_NS1_25CatArrInputTensorMetadataIS5_T0_XT2_EXT3_EEENS1_16TensorSizeStrideIS8_Lj4EEEiS8_.has_recursion, 0
	.set _ZN2at6native12_GLOBAL__N_135CatArrayBatchedCopy_alignedK_contigINS1_10OpaqueTypeILj1EEEjLi2ELi128ELi1ELi8EEEvPT_NS1_25CatArrInputTensorMetadataIS5_T0_XT2_EXT3_EEENS1_16TensorSizeStrideIS8_Lj4EEEiS8_.has_indirect_call, 0
	.section	.AMDGPU.csdata,"",@progbits
; Kernel info:
; codeLenInByte = 1648
; TotalNumSgprs: 25
; NumVgprs: 48
; ScratchSize: 0
; MemoryBound: 0
; FloatMode: 240
; IeeeMode: 1
; LDSByteSize: 0 bytes/workgroup (compile time only)
; SGPRBlocks: 0
; VGPRBlocks: 5
; NumSGPRsForWavesPerEU: 25
; NumVGPRsForWavesPerEU: 48
; Occupancy: 16
; WaveLimiterHint : 1
; COMPUTE_PGM_RSRC2:SCRATCH_EN: 0
; COMPUTE_PGM_RSRC2:USER_SGPR: 6
; COMPUTE_PGM_RSRC2:TRAP_HANDLER: 0
; COMPUTE_PGM_RSRC2:TGID_X_EN: 1
; COMPUTE_PGM_RSRC2:TGID_Y_EN: 1
; COMPUTE_PGM_RSRC2:TGID_Z_EN: 0
; COMPUTE_PGM_RSRC2:TIDIG_COMP_CNT: 0
	.section	.text._ZN2at6native12_GLOBAL__N_126CatArrayBatchedCopy_contigINS1_10OpaqueTypeILj1EEEjLi2ELi128ELi1EEEvPT_NS1_25CatArrInputTensorMetadataIS5_T0_XT2_EXT3_EEENS1_16TensorSizeStrideIS8_Lj4EEEiS8_,"axG",@progbits,_ZN2at6native12_GLOBAL__N_126CatArrayBatchedCopy_contigINS1_10OpaqueTypeILj1EEEjLi2ELi128ELi1EEEvPT_NS1_25CatArrInputTensorMetadataIS5_T0_XT2_EXT3_EEENS1_16TensorSizeStrideIS8_Lj4EEEiS8_,comdat
	.globl	_ZN2at6native12_GLOBAL__N_126CatArrayBatchedCopy_contigINS1_10OpaqueTypeILj1EEEjLi2ELi128ELi1EEEvPT_NS1_25CatArrInputTensorMetadataIS5_T0_XT2_EXT3_EEENS1_16TensorSizeStrideIS8_Lj4EEEiS8_ ; -- Begin function _ZN2at6native12_GLOBAL__N_126CatArrayBatchedCopy_contigINS1_10OpaqueTypeILj1EEEjLi2ELi128ELi1EEEvPT_NS1_25CatArrInputTensorMetadataIS5_T0_XT2_EXT3_EEENS1_16TensorSizeStrideIS8_Lj4EEEiS8_
	.p2align	8
	.type	_ZN2at6native12_GLOBAL__N_126CatArrayBatchedCopy_contigINS1_10OpaqueTypeILj1EEEjLi2ELi128ELi1EEEvPT_NS1_25CatArrInputTensorMetadataIS5_T0_XT2_EXT3_EEENS1_16TensorSizeStrideIS8_Lj4EEEiS8_,@function
_ZN2at6native12_GLOBAL__N_126CatArrayBatchedCopy_contigINS1_10OpaqueTypeILj1EEEjLi2ELi128ELi1EEEvPT_NS1_25CatArrInputTensorMetadataIS5_T0_XT2_EXT3_EEENS1_16TensorSizeStrideIS8_Lj4EEEiS8_: ; @_ZN2at6native12_GLOBAL__N_126CatArrayBatchedCopy_contigINS1_10OpaqueTypeILj1EEEjLi2ELi128ELi1EEEvPT_NS1_25CatArrInputTensorMetadataIS5_T0_XT2_EXT3_EEENS1_16TensorSizeStrideIS8_Lj4EEEiS8_
; %bb.0:
	s_mov_b32 s0, s7
	s_load_dword s7, s[4:5], 0xadc
	s_mov_b32 s1, 0
	s_add_u32 s8, s4, 0xad0
	s_addc_u32 s9, s5, 0
	s_lshl_b64 s[2:3], s[0:1], 2
	s_mov_b32 s10, exec_lo
	s_waitcnt lgkmcnt(0)
	s_and_b32 s11, s7, 0xffff
	s_add_u32 s12, s4, s2
	s_addc_u32 s13, s5, s3
	v_mad_u64_u32 v[0:1], null, s6, s11, v[0:1]
	s_load_dword s0, s[12:13], 0x808
	s_add_u32 s6, s12, 8
	s_addc_u32 s7, s13, 0
	s_waitcnt lgkmcnt(0)
	v_cmpx_gt_u32_e64 s0, v0
	s_cbranch_execz .LBB8_3
; %bb.1:
	s_add_u32 s6, s6, s2
	s_addc_u32 s7, s7, s3
	s_sub_u32 s2, 0, s2
	s_subb_u32 s3, 0, s3
	s_add_u32 s12, s6, s2
	s_addc_u32 s13, s7, s3
	s_clause 0x5
	s_load_dwordx2 s[14:15], s[4:5], 0xac8
	s_load_dword s10, s[12:13], 0x600
	s_load_dword s16, s[4:5], 0xaac
	s_load_dwordx2 s[2:3], s[4:5], 0xab8
	s_load_dwordx2 s[4:5], s[4:5], 0x0
	s_load_dword s13, s[12:13], 0x400
	s_load_dword s9, s[8:9], 0x0
	s_load_dwordx2 s[6:7], s[6:7], 0x0
	s_waitcnt lgkmcnt(0)
	s_cmp_eq_u32 s14, 1
	s_cselect_b32 s10, s10, s16
	s_mul_i32 s8, s13, s15
	v_cvt_f32_u32_e32 v1, s10
	s_sub_i32 s12, 0, s10
	s_mul_i32 s9, s9, s11
	v_rcp_iflag_f32_e32 v1, v1
	v_mul_f32_e32 v1, 0x4f7ffffe, v1
	v_cvt_u32_f32_e32 v1, v1
	v_mul_lo_u32 v2, s12, v1
	v_mul_hi_u32 v2, v1, v2
	v_add_nc_u32_e32 v1, v1, v2
	.p2align	6
.LBB8_2:                                ; =>This Inner Loop Header: Depth=1
	global_load_ubyte v4, v0, s[6:7]
	v_mul_hi_u32 v5, v1, v0
	v_mul_lo_u32 v2, s10, v5
	v_not_b32_e32 v3, v5
	v_add_nc_u32_e32 v6, 1, v5
	v_sub_nc_u32_e32 v7, v0, v2
	v_mad_u64_u32 v[2:3], null, s10, v3, v[0:1]
	v_cmp_le_u32_e32 vcc_lo, s10, v7
	v_cndmask_b32_e32 v3, v5, v6, vcc_lo
	v_cndmask_b32_e32 v2, v7, v2, vcc_lo
	v_add_nc_u32_e32 v5, 1, v3
	v_cmp_le_u32_e32 vcc_lo, s10, v2
	v_cndmask_b32_e32 v5, v3, v5, vcc_lo
	v_mad_u64_u32 v[2:3], null, s12, v5, v[0:1]
	v_mul_lo_u32 v3, v5, s2
	v_add_nc_u32_e32 v0, s9, v0
	v_cmp_le_u32_e32 vcc_lo, s0, v0
	v_mul_lo_u32 v2, v2, s3
	s_or_b32 s1, vcc_lo, s1
	v_add3_u32 v2, v3, s8, v2
	s_waitcnt vmcnt(0)
	global_store_byte v2, v4, s[4:5]
	s_andn2_b32 exec_lo, exec_lo, s1
	s_cbranch_execnz .LBB8_2
.LBB8_3:
	s_endpgm
	.section	.rodata,"a",@progbits
	.p2align	6, 0x0
	.amdhsa_kernel _ZN2at6native12_GLOBAL__N_126CatArrayBatchedCopy_contigINS1_10OpaqueTypeILj1EEEjLi2ELi128ELi1EEEvPT_NS1_25CatArrInputTensorMetadataIS5_T0_XT2_EXT3_EEENS1_16TensorSizeStrideIS8_Lj4EEEiS8_
		.amdhsa_group_segment_fixed_size 0
		.amdhsa_private_segment_fixed_size 0
		.amdhsa_kernarg_size 3024
		.amdhsa_user_sgpr_count 6
		.amdhsa_user_sgpr_private_segment_buffer 1
		.amdhsa_user_sgpr_dispatch_ptr 0
		.amdhsa_user_sgpr_queue_ptr 0
		.amdhsa_user_sgpr_kernarg_segment_ptr 1
		.amdhsa_user_sgpr_dispatch_id 0
		.amdhsa_user_sgpr_flat_scratch_init 0
		.amdhsa_user_sgpr_private_segment_size 0
		.amdhsa_wavefront_size32 1
		.amdhsa_uses_dynamic_stack 0
		.amdhsa_system_sgpr_private_segment_wavefront_offset 0
		.amdhsa_system_sgpr_workgroup_id_x 1
		.amdhsa_system_sgpr_workgroup_id_y 1
		.amdhsa_system_sgpr_workgroup_id_z 0
		.amdhsa_system_sgpr_workgroup_info 0
		.amdhsa_system_vgpr_workitem_id 0
		.amdhsa_next_free_vgpr 8
		.amdhsa_next_free_sgpr 17
		.amdhsa_reserve_vcc 1
		.amdhsa_reserve_flat_scratch 0
		.amdhsa_float_round_mode_32 0
		.amdhsa_float_round_mode_16_64 0
		.amdhsa_float_denorm_mode_32 3
		.amdhsa_float_denorm_mode_16_64 3
		.amdhsa_dx10_clamp 1
		.amdhsa_ieee_mode 1
		.amdhsa_fp16_overflow 0
		.amdhsa_workgroup_processor_mode 1
		.amdhsa_memory_ordered 1
		.amdhsa_forward_progress 1
		.amdhsa_shared_vgpr_count 0
		.amdhsa_exception_fp_ieee_invalid_op 0
		.amdhsa_exception_fp_denorm_src 0
		.amdhsa_exception_fp_ieee_div_zero 0
		.amdhsa_exception_fp_ieee_overflow 0
		.amdhsa_exception_fp_ieee_underflow 0
		.amdhsa_exception_fp_ieee_inexact 0
		.amdhsa_exception_int_div_zero 0
	.end_amdhsa_kernel
	.section	.text._ZN2at6native12_GLOBAL__N_126CatArrayBatchedCopy_contigINS1_10OpaqueTypeILj1EEEjLi2ELi128ELi1EEEvPT_NS1_25CatArrInputTensorMetadataIS5_T0_XT2_EXT3_EEENS1_16TensorSizeStrideIS8_Lj4EEEiS8_,"axG",@progbits,_ZN2at6native12_GLOBAL__N_126CatArrayBatchedCopy_contigINS1_10OpaqueTypeILj1EEEjLi2ELi128ELi1EEEvPT_NS1_25CatArrInputTensorMetadataIS5_T0_XT2_EXT3_EEENS1_16TensorSizeStrideIS8_Lj4EEEiS8_,comdat
.Lfunc_end8:
	.size	_ZN2at6native12_GLOBAL__N_126CatArrayBatchedCopy_contigINS1_10OpaqueTypeILj1EEEjLi2ELi128ELi1EEEvPT_NS1_25CatArrInputTensorMetadataIS5_T0_XT2_EXT3_EEENS1_16TensorSizeStrideIS8_Lj4EEEiS8_, .Lfunc_end8-_ZN2at6native12_GLOBAL__N_126CatArrayBatchedCopy_contigINS1_10OpaqueTypeILj1EEEjLi2ELi128ELi1EEEvPT_NS1_25CatArrInputTensorMetadataIS5_T0_XT2_EXT3_EEENS1_16TensorSizeStrideIS8_Lj4EEEiS8_
                                        ; -- End function
	.set _ZN2at6native12_GLOBAL__N_126CatArrayBatchedCopy_contigINS1_10OpaqueTypeILj1EEEjLi2ELi128ELi1EEEvPT_NS1_25CatArrInputTensorMetadataIS5_T0_XT2_EXT3_EEENS1_16TensorSizeStrideIS8_Lj4EEEiS8_.num_vgpr, 8
	.set _ZN2at6native12_GLOBAL__N_126CatArrayBatchedCopy_contigINS1_10OpaqueTypeILj1EEEjLi2ELi128ELi1EEEvPT_NS1_25CatArrInputTensorMetadataIS5_T0_XT2_EXT3_EEENS1_16TensorSizeStrideIS8_Lj4EEEiS8_.num_agpr, 0
	.set _ZN2at6native12_GLOBAL__N_126CatArrayBatchedCopy_contigINS1_10OpaqueTypeILj1EEEjLi2ELi128ELi1EEEvPT_NS1_25CatArrInputTensorMetadataIS5_T0_XT2_EXT3_EEENS1_16TensorSizeStrideIS8_Lj4EEEiS8_.numbered_sgpr, 17
	.set _ZN2at6native12_GLOBAL__N_126CatArrayBatchedCopy_contigINS1_10OpaqueTypeILj1EEEjLi2ELi128ELi1EEEvPT_NS1_25CatArrInputTensorMetadataIS5_T0_XT2_EXT3_EEENS1_16TensorSizeStrideIS8_Lj4EEEiS8_.num_named_barrier, 0
	.set _ZN2at6native12_GLOBAL__N_126CatArrayBatchedCopy_contigINS1_10OpaqueTypeILj1EEEjLi2ELi128ELi1EEEvPT_NS1_25CatArrInputTensorMetadataIS5_T0_XT2_EXT3_EEENS1_16TensorSizeStrideIS8_Lj4EEEiS8_.private_seg_size, 0
	.set _ZN2at6native12_GLOBAL__N_126CatArrayBatchedCopy_contigINS1_10OpaqueTypeILj1EEEjLi2ELi128ELi1EEEvPT_NS1_25CatArrInputTensorMetadataIS5_T0_XT2_EXT3_EEENS1_16TensorSizeStrideIS8_Lj4EEEiS8_.uses_vcc, 1
	.set _ZN2at6native12_GLOBAL__N_126CatArrayBatchedCopy_contigINS1_10OpaqueTypeILj1EEEjLi2ELi128ELi1EEEvPT_NS1_25CatArrInputTensorMetadataIS5_T0_XT2_EXT3_EEENS1_16TensorSizeStrideIS8_Lj4EEEiS8_.uses_flat_scratch, 0
	.set _ZN2at6native12_GLOBAL__N_126CatArrayBatchedCopy_contigINS1_10OpaqueTypeILj1EEEjLi2ELi128ELi1EEEvPT_NS1_25CatArrInputTensorMetadataIS5_T0_XT2_EXT3_EEENS1_16TensorSizeStrideIS8_Lj4EEEiS8_.has_dyn_sized_stack, 0
	.set _ZN2at6native12_GLOBAL__N_126CatArrayBatchedCopy_contigINS1_10OpaqueTypeILj1EEEjLi2ELi128ELi1EEEvPT_NS1_25CatArrInputTensorMetadataIS5_T0_XT2_EXT3_EEENS1_16TensorSizeStrideIS8_Lj4EEEiS8_.has_recursion, 0
	.set _ZN2at6native12_GLOBAL__N_126CatArrayBatchedCopy_contigINS1_10OpaqueTypeILj1EEEjLi2ELi128ELi1EEEvPT_NS1_25CatArrInputTensorMetadataIS5_T0_XT2_EXT3_EEENS1_16TensorSizeStrideIS8_Lj4EEEiS8_.has_indirect_call, 0
	.section	.AMDGPU.csdata,"",@progbits
; Kernel info:
; codeLenInByte = 392
; TotalNumSgprs: 19
; NumVgprs: 8
; ScratchSize: 0
; MemoryBound: 0
; FloatMode: 240
; IeeeMode: 1
; LDSByteSize: 0 bytes/workgroup (compile time only)
; SGPRBlocks: 0
; VGPRBlocks: 0
; NumSGPRsForWavesPerEU: 19
; NumVGPRsForWavesPerEU: 8
; Occupancy: 16
; WaveLimiterHint : 1
; COMPUTE_PGM_RSRC2:SCRATCH_EN: 0
; COMPUTE_PGM_RSRC2:USER_SGPR: 6
; COMPUTE_PGM_RSRC2:TRAP_HANDLER: 0
; COMPUTE_PGM_RSRC2:TGID_X_EN: 1
; COMPUTE_PGM_RSRC2:TGID_Y_EN: 1
; COMPUTE_PGM_RSRC2:TGID_Z_EN: 0
; COMPUTE_PGM_RSRC2:TIDIG_COMP_CNT: 0
	.section	.text._ZN2at6native12_GLOBAL__N_119CatArrayBatchedCopyINS1_10OpaqueTypeILj1EEEjLi2ELi128ELi1EEEvPT_NS1_25CatArrInputTensorMetadataIS5_T0_XT2_EXT3_EEENS1_16TensorSizeStrideIS8_Lj4EEEiS8_,"axG",@progbits,_ZN2at6native12_GLOBAL__N_119CatArrayBatchedCopyINS1_10OpaqueTypeILj1EEEjLi2ELi128ELi1EEEvPT_NS1_25CatArrInputTensorMetadataIS5_T0_XT2_EXT3_EEENS1_16TensorSizeStrideIS8_Lj4EEEiS8_,comdat
	.globl	_ZN2at6native12_GLOBAL__N_119CatArrayBatchedCopyINS1_10OpaqueTypeILj1EEEjLi2ELi128ELi1EEEvPT_NS1_25CatArrInputTensorMetadataIS5_T0_XT2_EXT3_EEENS1_16TensorSizeStrideIS8_Lj4EEEiS8_ ; -- Begin function _ZN2at6native12_GLOBAL__N_119CatArrayBatchedCopyINS1_10OpaqueTypeILj1EEEjLi2ELi128ELi1EEEvPT_NS1_25CatArrInputTensorMetadataIS5_T0_XT2_EXT3_EEENS1_16TensorSizeStrideIS8_Lj4EEEiS8_
	.p2align	8
	.type	_ZN2at6native12_GLOBAL__N_119CatArrayBatchedCopyINS1_10OpaqueTypeILj1EEEjLi2ELi128ELi1EEEvPT_NS1_25CatArrInputTensorMetadataIS5_T0_XT2_EXT3_EEENS1_16TensorSizeStrideIS8_Lj4EEEiS8_,@function
_ZN2at6native12_GLOBAL__N_119CatArrayBatchedCopyINS1_10OpaqueTypeILj1EEEjLi2ELi128ELi1EEEvPT_NS1_25CatArrInputTensorMetadataIS5_T0_XT2_EXT3_EEENS1_16TensorSizeStrideIS8_Lj4EEEiS8_: ; @_ZN2at6native12_GLOBAL__N_119CatArrayBatchedCopyINS1_10OpaqueTypeILj1EEEjLi2ELi128ELi1EEEvPT_NS1_25CatArrInputTensorMetadataIS5_T0_XT2_EXT3_EEENS1_16TensorSizeStrideIS8_Lj4EEEiS8_
; %bb.0:
	s_load_dword s3, s[4:5], 0xadc
	s_mov_b32 s0, s7
	s_or_b32 s2, s4, 8
	s_mov_b32 s1, 0
	s_add_u32 s8, s4, 0xad0
	s_addc_u32 s9, s5, 0
	s_lshl_b64 s[10:11], s[0:1], 2
	s_waitcnt lgkmcnt(0)
	s_and_b32 s15, s3, 0xffff
	s_add_u32 s12, s2, s10
	s_addc_u32 s13, s5, s11
	v_mad_u64_u32 v[0:1], null, s6, s15, v[0:1]
	s_load_dword s14, s[12:13], 0x800
	s_mov_b32 s6, exec_lo
	s_waitcnt lgkmcnt(0)
	v_cmpx_gt_u32_e64 s14, v0
	s_cbranch_execz .LBB9_5
; %bb.1:
	v_mov_b32_e32 v1, 0x800
	s_add_u32 s6, s2, s0
	s_addc_u32 s7, s5, 0
	s_mov_b32 s3, s5
	global_load_ubyte v1, v1, s[6:7] offset:512
	s_waitcnt vmcnt(0)
	v_and_b32_e32 v1, 1, v1
	v_cmp_eq_u32_e32 vcc_lo, 1, v1
	s_xor_b32 s0, vcc_lo, -1
	s_add_u32 s16, s12, s10
	s_addc_u32 s17, s13, s11
	s_sub_u32 s6, 0, s10
	s_subb_u32 s7, 0, s11
	s_add_u32 s6, s16, s6
	s_addc_u32 s7, s17, s7
	s_clause 0x4
	s_load_dwordx2 s[18:19], s[4:5], 0xac8
	s_load_dword s11, s[6:7], 0x600
	s_load_dword s10, s[4:5], 0xaac
	;; [unrolled: 1-line block ×3, first 2 shown]
	s_load_dwordx2 s[2:3], s[2:3], 0xa90
	s_load_dword s20, s[8:9], 0x0
	s_waitcnt lgkmcnt(0)
	s_cmp_eq_u32 s18, 1
	s_load_dword s18, s[6:7], 0x400
	s_cselect_b32 s10, s11, s10
	s_cselect_b32 s11, s11, s12
	v_cvt_f32_u32_e32 v1, s10
	v_cvt_f32_u32_e32 v2, s11
	s_sub_i32 s12, 0, s10
	s_sub_i32 s13, 0, s11
	s_clause 0x2
	s_load_dwordx2 s[6:7], s[4:5], 0x0
	s_load_dwordx2 s[4:5], s[4:5], 0xab8
	;; [unrolled: 1-line block ×3, first 2 shown]
	v_rcp_iflag_f32_e32 v1, v1
	v_rcp_iflag_f32_e32 v2, v2
	s_mul_i32 s15, s20, s15
	v_mul_f32_e32 v1, 0x4f7ffffe, v1
	v_mul_f32_e32 v2, 0x4f7ffffe, v2
	s_waitcnt lgkmcnt(0)
	s_mul_i32 s16, s18, s19
	v_cvt_u32_f32_e32 v3, v1
	v_cvt_u32_f32_e32 v2, v2
	v_mul_lo_u32 v1, s12, v3
	v_mul_lo_u32 v4, s13, v2
	v_mul_hi_u32 v5, v3, v1
	v_mul_hi_u32 v6, v2, v4
	v_mov_b32_e32 v1, 0
	v_add_nc_u32_e32 v4, v3, v5
	v_add_nc_u32_e32 v5, v2, v6
	s_branch .LBB9_3
.LBB9_2:                                ;   in Loop: Header=BB9_3 Depth=1
	v_add_co_u32 v2, vcc_lo, s8, v2
	v_add_co_ci_u32_e64 v3, null, s9, v3, vcc_lo
	v_mul_hi_u32 v9, v4, v0
	global_load_ubyte v8, v[2:3], off
	v_not_b32_e32 v6, v9
	v_mad_u64_u32 v[2:3], null, s12, v9, v[0:1]
	v_add_nc_u32_e32 v3, 1, v9
	v_mad_u64_u32 v[6:7], null, s10, v6, v[0:1]
	v_cmp_le_u32_e32 vcc_lo, s10, v2
	v_cndmask_b32_e32 v3, v9, v3, vcc_lo
	v_cndmask_b32_e32 v2, v2, v6, vcc_lo
	v_add_nc_u32_e32 v6, 1, v3
	v_cmp_le_u32_e32 vcc_lo, s10, v2
	v_cndmask_b32_e32 v6, v3, v6, vcc_lo
	v_mad_u64_u32 v[2:3], null, s12, v6, v[0:1]
	v_mul_lo_u32 v3, v6, s4
	v_add_nc_u32_e32 v0, s15, v0
	v_mul_lo_u32 v2, v2, s5
	v_cmp_le_u32_e32 vcc_lo, s14, v0
	s_or_b32 s1, vcc_lo, s1
	v_add3_u32 v2, v2, v3, s16
	s_waitcnt vmcnt(0)
	global_store_byte v2, v8, s[6:7]
	s_andn2_b32 exec_lo, exec_lo, s1
	s_cbranch_execz .LBB9_5
.LBB9_3:                                ; =>This Inner Loop Header: Depth=1
	v_mov_b32_e32 v3, v1
	v_mov_b32_e32 v2, v0
	s_andn2_b32 vcc_lo, exec_lo, s0
	s_cbranch_vccnz .LBB9_2
; %bb.4:                                ;   in Loop: Header=BB9_3 Depth=1
	v_mul_hi_u32 v8, v5, v0
	v_not_b32_e32 v6, v8
	v_mad_u64_u32 v[2:3], null, s13, v8, v[0:1]
	v_add_nc_u32_e32 v3, 1, v8
	v_mad_u64_u32 v[6:7], null, s11, v6, v[0:1]
	v_cmp_le_u32_e32 vcc_lo, s11, v2
	v_cndmask_b32_e32 v3, v8, v3, vcc_lo
	v_cndmask_b32_e32 v2, v2, v6, vcc_lo
	v_add_nc_u32_e32 v6, 1, v3
	v_cmp_le_u32_e32 vcc_lo, s11, v2
	v_cndmask_b32_e32 v6, v3, v6, vcc_lo
	v_mad_u64_u32 v[2:3], null, s13, v6, v[0:1]
	v_mul_lo_u32 v3, v6, s2
	v_mad_u64_u32 v[2:3], null, v2, s3, v[3:4]
	v_mov_b32_e32 v3, v1
	s_branch .LBB9_2
.LBB9_5:
	s_endpgm
	.section	.rodata,"a",@progbits
	.p2align	6, 0x0
	.amdhsa_kernel _ZN2at6native12_GLOBAL__N_119CatArrayBatchedCopyINS1_10OpaqueTypeILj1EEEjLi2ELi128ELi1EEEvPT_NS1_25CatArrInputTensorMetadataIS5_T0_XT2_EXT3_EEENS1_16TensorSizeStrideIS8_Lj4EEEiS8_
		.amdhsa_group_segment_fixed_size 0
		.amdhsa_private_segment_fixed_size 0
		.amdhsa_kernarg_size 3024
		.amdhsa_user_sgpr_count 6
		.amdhsa_user_sgpr_private_segment_buffer 1
		.amdhsa_user_sgpr_dispatch_ptr 0
		.amdhsa_user_sgpr_queue_ptr 0
		.amdhsa_user_sgpr_kernarg_segment_ptr 1
		.amdhsa_user_sgpr_dispatch_id 0
		.amdhsa_user_sgpr_flat_scratch_init 0
		.amdhsa_user_sgpr_private_segment_size 0
		.amdhsa_wavefront_size32 1
		.amdhsa_uses_dynamic_stack 0
		.amdhsa_system_sgpr_private_segment_wavefront_offset 0
		.amdhsa_system_sgpr_workgroup_id_x 1
		.amdhsa_system_sgpr_workgroup_id_y 1
		.amdhsa_system_sgpr_workgroup_id_z 0
		.amdhsa_system_sgpr_workgroup_info 0
		.amdhsa_system_vgpr_workitem_id 0
		.amdhsa_next_free_vgpr 10
		.amdhsa_next_free_sgpr 21
		.amdhsa_reserve_vcc 1
		.amdhsa_reserve_flat_scratch 0
		.amdhsa_float_round_mode_32 0
		.amdhsa_float_round_mode_16_64 0
		.amdhsa_float_denorm_mode_32 3
		.amdhsa_float_denorm_mode_16_64 3
		.amdhsa_dx10_clamp 1
		.amdhsa_ieee_mode 1
		.amdhsa_fp16_overflow 0
		.amdhsa_workgroup_processor_mode 1
		.amdhsa_memory_ordered 1
		.amdhsa_forward_progress 1
		.amdhsa_shared_vgpr_count 0
		.amdhsa_exception_fp_ieee_invalid_op 0
		.amdhsa_exception_fp_denorm_src 0
		.amdhsa_exception_fp_ieee_div_zero 0
		.amdhsa_exception_fp_ieee_overflow 0
		.amdhsa_exception_fp_ieee_underflow 0
		.amdhsa_exception_fp_ieee_inexact 0
		.amdhsa_exception_int_div_zero 0
	.end_amdhsa_kernel
	.section	.text._ZN2at6native12_GLOBAL__N_119CatArrayBatchedCopyINS1_10OpaqueTypeILj1EEEjLi2ELi128ELi1EEEvPT_NS1_25CatArrInputTensorMetadataIS5_T0_XT2_EXT3_EEENS1_16TensorSizeStrideIS8_Lj4EEEiS8_,"axG",@progbits,_ZN2at6native12_GLOBAL__N_119CatArrayBatchedCopyINS1_10OpaqueTypeILj1EEEjLi2ELi128ELi1EEEvPT_NS1_25CatArrInputTensorMetadataIS5_T0_XT2_EXT3_EEENS1_16TensorSizeStrideIS8_Lj4EEEiS8_,comdat
.Lfunc_end9:
	.size	_ZN2at6native12_GLOBAL__N_119CatArrayBatchedCopyINS1_10OpaqueTypeILj1EEEjLi2ELi128ELi1EEEvPT_NS1_25CatArrInputTensorMetadataIS5_T0_XT2_EXT3_EEENS1_16TensorSizeStrideIS8_Lj4EEEiS8_, .Lfunc_end9-_ZN2at6native12_GLOBAL__N_119CatArrayBatchedCopyINS1_10OpaqueTypeILj1EEEjLi2ELi128ELi1EEEvPT_NS1_25CatArrInputTensorMetadataIS5_T0_XT2_EXT3_EEENS1_16TensorSizeStrideIS8_Lj4EEEiS8_
                                        ; -- End function
	.set _ZN2at6native12_GLOBAL__N_119CatArrayBatchedCopyINS1_10OpaqueTypeILj1EEEjLi2ELi128ELi1EEEvPT_NS1_25CatArrInputTensorMetadataIS5_T0_XT2_EXT3_EEENS1_16TensorSizeStrideIS8_Lj4EEEiS8_.num_vgpr, 10
	.set _ZN2at6native12_GLOBAL__N_119CatArrayBatchedCopyINS1_10OpaqueTypeILj1EEEjLi2ELi128ELi1EEEvPT_NS1_25CatArrInputTensorMetadataIS5_T0_XT2_EXT3_EEENS1_16TensorSizeStrideIS8_Lj4EEEiS8_.num_agpr, 0
	.set _ZN2at6native12_GLOBAL__N_119CatArrayBatchedCopyINS1_10OpaqueTypeILj1EEEjLi2ELi128ELi1EEEvPT_NS1_25CatArrInputTensorMetadataIS5_T0_XT2_EXT3_EEENS1_16TensorSizeStrideIS8_Lj4EEEiS8_.numbered_sgpr, 21
	.set _ZN2at6native12_GLOBAL__N_119CatArrayBatchedCopyINS1_10OpaqueTypeILj1EEEjLi2ELi128ELi1EEEvPT_NS1_25CatArrInputTensorMetadataIS5_T0_XT2_EXT3_EEENS1_16TensorSizeStrideIS8_Lj4EEEiS8_.num_named_barrier, 0
	.set _ZN2at6native12_GLOBAL__N_119CatArrayBatchedCopyINS1_10OpaqueTypeILj1EEEjLi2ELi128ELi1EEEvPT_NS1_25CatArrInputTensorMetadataIS5_T0_XT2_EXT3_EEENS1_16TensorSizeStrideIS8_Lj4EEEiS8_.private_seg_size, 0
	.set _ZN2at6native12_GLOBAL__N_119CatArrayBatchedCopyINS1_10OpaqueTypeILj1EEEjLi2ELi128ELi1EEEvPT_NS1_25CatArrInputTensorMetadataIS5_T0_XT2_EXT3_EEENS1_16TensorSizeStrideIS8_Lj4EEEiS8_.uses_vcc, 1
	.set _ZN2at6native12_GLOBAL__N_119CatArrayBatchedCopyINS1_10OpaqueTypeILj1EEEjLi2ELi128ELi1EEEvPT_NS1_25CatArrInputTensorMetadataIS5_T0_XT2_EXT3_EEENS1_16TensorSizeStrideIS8_Lj4EEEiS8_.uses_flat_scratch, 0
	.set _ZN2at6native12_GLOBAL__N_119CatArrayBatchedCopyINS1_10OpaqueTypeILj1EEEjLi2ELi128ELi1EEEvPT_NS1_25CatArrInputTensorMetadataIS5_T0_XT2_EXT3_EEENS1_16TensorSizeStrideIS8_Lj4EEEiS8_.has_dyn_sized_stack, 0
	.set _ZN2at6native12_GLOBAL__N_119CatArrayBatchedCopyINS1_10OpaqueTypeILj1EEEjLi2ELi128ELi1EEEvPT_NS1_25CatArrInputTensorMetadataIS5_T0_XT2_EXT3_EEENS1_16TensorSizeStrideIS8_Lj4EEEiS8_.has_recursion, 0
	.set _ZN2at6native12_GLOBAL__N_119CatArrayBatchedCopyINS1_10OpaqueTypeILj1EEEjLi2ELi128ELi1EEEvPT_NS1_25CatArrInputTensorMetadataIS5_T0_XT2_EXT3_EEENS1_16TensorSizeStrideIS8_Lj4EEEiS8_.has_indirect_call, 0
	.section	.AMDGPU.csdata,"",@progbits
; Kernel info:
; codeLenInByte = 624
; TotalNumSgprs: 23
; NumVgprs: 10
; ScratchSize: 0
; MemoryBound: 0
; FloatMode: 240
; IeeeMode: 1
; LDSByteSize: 0 bytes/workgroup (compile time only)
; SGPRBlocks: 0
; VGPRBlocks: 1
; NumSGPRsForWavesPerEU: 23
; NumVGPRsForWavesPerEU: 10
; Occupancy: 16
; WaveLimiterHint : 1
; COMPUTE_PGM_RSRC2:SCRATCH_EN: 0
; COMPUTE_PGM_RSRC2:USER_SGPR: 6
; COMPUTE_PGM_RSRC2:TRAP_HANDLER: 0
; COMPUTE_PGM_RSRC2:TGID_X_EN: 1
; COMPUTE_PGM_RSRC2:TGID_Y_EN: 1
; COMPUTE_PGM_RSRC2:TGID_Z_EN: 0
; COMPUTE_PGM_RSRC2:TIDIG_COMP_CNT: 0
	.section	.text._ZN2at6native12_GLOBAL__N_130CatArrayBatchedCopy_vectorizedINS1_10OpaqueTypeILj1EEEjLi3ELi128ELi1ELi16ELi16EEEvPcNS1_25CatArrInputTensorMetadataIT_T0_XT2_EXT3_EEENS1_16TensorSizeStrideIS8_Lj4EEEiS8_,"axG",@progbits,_ZN2at6native12_GLOBAL__N_130CatArrayBatchedCopy_vectorizedINS1_10OpaqueTypeILj1EEEjLi3ELi128ELi1ELi16ELi16EEEvPcNS1_25CatArrInputTensorMetadataIT_T0_XT2_EXT3_EEENS1_16TensorSizeStrideIS8_Lj4EEEiS8_,comdat
	.globl	_ZN2at6native12_GLOBAL__N_130CatArrayBatchedCopy_vectorizedINS1_10OpaqueTypeILj1EEEjLi3ELi128ELi1ELi16ELi16EEEvPcNS1_25CatArrInputTensorMetadataIT_T0_XT2_EXT3_EEENS1_16TensorSizeStrideIS8_Lj4EEEiS8_ ; -- Begin function _ZN2at6native12_GLOBAL__N_130CatArrayBatchedCopy_vectorizedINS1_10OpaqueTypeILj1EEEjLi3ELi128ELi1ELi16ELi16EEEvPcNS1_25CatArrInputTensorMetadataIT_T0_XT2_EXT3_EEENS1_16TensorSizeStrideIS8_Lj4EEEiS8_
	.p2align	8
	.type	_ZN2at6native12_GLOBAL__N_130CatArrayBatchedCopy_vectorizedINS1_10OpaqueTypeILj1EEEjLi3ELi128ELi1ELi16ELi16EEEvPcNS1_25CatArrInputTensorMetadataIT_T0_XT2_EXT3_EEENS1_16TensorSizeStrideIS8_Lj4EEEiS8_,@function
_ZN2at6native12_GLOBAL__N_130CatArrayBatchedCopy_vectorizedINS1_10OpaqueTypeILj1EEEjLi3ELi128ELi1ELi16ELi16EEEvPcNS1_25CatArrInputTensorMetadataIT_T0_XT2_EXT3_EEENS1_16TensorSizeStrideIS8_Lj4EEEiS8_: ; @_ZN2at6native12_GLOBAL__N_130CatArrayBatchedCopy_vectorizedINS1_10OpaqueTypeILj1EEEjLi3ELi128ELi1ELi16ELi16EEEvPcNS1_25CatArrInputTensorMetadataIT_T0_XT2_EXT3_EEENS1_16TensorSizeStrideIS8_Lj4EEEiS8_
; %bb.0:
	s_mov_b32 s0, s7
	s_load_dword s7, s[4:5], 0xadc
	s_mov_b32 s1, 0
	s_add_u32 s2, s4, 0xad0
	s_addc_u32 s3, s5, 0
	s_lshl_b64 s[8:9], s[0:1], 2
	s_waitcnt lgkmcnt(0)
	s_and_b32 s0, s7, 0xffff
	s_add_u32 s10, s4, s8
	s_addc_u32 s11, s5, s9
	v_mad_u64_u32 v[0:1], null, s6, s0, v[0:1]
	s_load_dword s12, s[10:11], 0x808
	s_add_u32 s7, s10, 8
	s_addc_u32 s10, s11, 0
	s_mov_b32 s11, exec_lo
	s_waitcnt lgkmcnt(0)
	s_lshr_b32 s6, s12, 4
	v_cmpx_gt_u32_e64 s6, v0
	s_cbranch_execz .LBB10_3
; %bb.1:
	s_add_u32 s14, s7, s8
	s_addc_u32 s15, s10, s9
	s_sub_u32 s7, 0, s8
	s_subb_u32 s9, 0, s9
	s_add_u32 s8, s14, s7
	s_addc_u32 s9, s15, s9
	s_clause 0x4
	s_load_dwordx2 s[12:13], s[4:5], 0xac8
	s_load_dword s7, s[8:9], 0x400
	s_load_dword s18, s[8:9], 0x600
	s_load_dwordx2 s[16:17], s[4:5], 0xaac
	s_load_dwordx4 s[8:11], s[4:5], 0xab8
	s_waitcnt lgkmcnt(0)
	s_mul_i32 s7, s7, s13
	s_mul_i32 s18, s18, s13
	s_and_b32 s7, s7, -16
	s_lshr_b32 s11, s18, 4
	s_cmp_eq_u32 s12, 2
	s_load_dwordx2 s[18:19], s[4:5], 0x0
	s_cselect_b32 s4, s11, s17
	s_cmp_eq_u32 s12, 1
	v_cvt_f32_u32_e32 v1, s4
	s_cselect_b32 s5, s11, s16
	s_load_dword s16, s[2:3], 0x0
	v_cvt_f32_u32_e32 v2, s5
	s_load_dwordx2 s[2:3], s[14:15], 0x0
	v_rcp_iflag_f32_e32 v1, v1
	v_rcp_iflag_f32_e32 v2, v2
	v_mul_f32_e32 v1, 0x4f7ffffe, v1
	s_waitcnt lgkmcnt(0)
	s_add_u32 s7, s18, s7
	v_mul_f32_e32 v2, 0x4f7ffffe, v2
	s_addc_u32 s11, s19, 0
	v_cvt_u32_f32_e32 v1, v1
	s_sub_i32 s12, 0, s4
	s_sub_i32 s13, 0, s5
	v_cvt_u32_f32_e32 v3, v2
	v_mul_lo_u32 v2, s12, v1
	v_mul_lo_u32 v4, s13, v3
	s_mul_i32 s13, s16, s0
	v_mul_hi_u32 v2, v1, v2
	v_mul_hi_u32 v4, v3, v4
	v_add_nc_u32_e32 v2, v1, v2
	v_mov_b32_e32 v1, 0
	v_add_nc_u32_e32 v3, v3, v4
.LBB10_2:                               ; =>This Inner Loop Header: Depth=1
	v_lshlrev_b64 v[4:5], 4, v[0:1]
	v_mul_hi_u32 v10, v2, v0
	v_add_co_u32 v4, vcc_lo, s2, v4
	v_add_co_ci_u32_e64 v5, null, s3, v5, vcc_lo
	v_mul_lo_u32 v11, s4, v10
	v_not_b32_e32 v8, v10
	v_add_nc_u32_e32 v12, 1, v10
	global_load_dwordx4 v[4:7], v[4:5], off
	v_mad_u64_u32 v[8:9], null, s4, v8, v[0:1]
	v_sub_nc_u32_e32 v9, v0, v11
	v_cmp_le_u32_e32 vcc_lo, s4, v9
	v_cndmask_b32_e32 v10, v10, v12, vcc_lo
	v_cndmask_b32_e32 v8, v9, v8, vcc_lo
	v_add_nc_u32_e32 v9, 1, v10
	v_cmp_le_u32_e32 vcc_lo, s4, v8
	v_cndmask_b32_e32 v10, v10, v9, vcc_lo
	v_mul_hi_u32 v8, v10, v3
	v_mul_lo_u32 v9, v8, s5
	v_add_nc_u32_e32 v11, 1, v8
	v_sub_nc_u32_e32 v9, v10, v9
	v_subrev_nc_u32_e32 v12, s5, v9
	v_cmp_le_u32_e32 vcc_lo, s5, v9
	v_cndmask_b32_e32 v8, v8, v11, vcc_lo
	v_cndmask_b32_e32 v9, v9, v12, vcc_lo
	v_add_nc_u32_e32 v11, 1, v8
	v_cmp_le_u32_e32 vcc_lo, s5, v9
	v_cndmask_b32_e32 v11, v8, v11, vcc_lo
	v_mad_u64_u32 v[8:9], null, s12, v10, v[0:1]
	v_add_nc_u32_e32 v0, s13, v0
	v_mul_lo_u32 v12, v11, s5
	v_cmp_le_u32_e32 vcc_lo, s6, v0
	v_mul_lo_u32 v8, v8, s10
	v_sub_nc_u32_e32 v9, v10, v12
	v_mul_lo_u32 v10, v11, s8
	s_or_b32 s1, vcc_lo, s1
	v_mul_lo_u32 v11, v9, s9
	v_mov_b32_e32 v9, v1
	v_add3_u32 v8, v8, v10, v11
	v_lshlrev_b64 v[8:9], 4, v[8:9]
	v_add_co_u32 v8, s0, s7, v8
	v_add_co_ci_u32_e64 v9, null, s11, v9, s0
	s_waitcnt vmcnt(0)
	global_store_dwordx4 v[8:9], v[4:7], off
	s_andn2_b32 exec_lo, exec_lo, s1
	s_cbranch_execnz .LBB10_2
.LBB10_3:
	s_endpgm
	.section	.rodata,"a",@progbits
	.p2align	6, 0x0
	.amdhsa_kernel _ZN2at6native12_GLOBAL__N_130CatArrayBatchedCopy_vectorizedINS1_10OpaqueTypeILj1EEEjLi3ELi128ELi1ELi16ELi16EEEvPcNS1_25CatArrInputTensorMetadataIT_T0_XT2_EXT3_EEENS1_16TensorSizeStrideIS8_Lj4EEEiS8_
		.amdhsa_group_segment_fixed_size 0
		.amdhsa_private_segment_fixed_size 0
		.amdhsa_kernarg_size 3024
		.amdhsa_user_sgpr_count 6
		.amdhsa_user_sgpr_private_segment_buffer 1
		.amdhsa_user_sgpr_dispatch_ptr 0
		.amdhsa_user_sgpr_queue_ptr 0
		.amdhsa_user_sgpr_kernarg_segment_ptr 1
		.amdhsa_user_sgpr_dispatch_id 0
		.amdhsa_user_sgpr_flat_scratch_init 0
		.amdhsa_user_sgpr_private_segment_size 0
		.amdhsa_wavefront_size32 1
		.amdhsa_uses_dynamic_stack 0
		.amdhsa_system_sgpr_private_segment_wavefront_offset 0
		.amdhsa_system_sgpr_workgroup_id_x 1
		.amdhsa_system_sgpr_workgroup_id_y 1
		.amdhsa_system_sgpr_workgroup_id_z 0
		.amdhsa_system_sgpr_workgroup_info 0
		.amdhsa_system_vgpr_workitem_id 0
		.amdhsa_next_free_vgpr 13
		.amdhsa_next_free_sgpr 20
		.amdhsa_reserve_vcc 1
		.amdhsa_reserve_flat_scratch 0
		.amdhsa_float_round_mode_32 0
		.amdhsa_float_round_mode_16_64 0
		.amdhsa_float_denorm_mode_32 3
		.amdhsa_float_denorm_mode_16_64 3
		.amdhsa_dx10_clamp 1
		.amdhsa_ieee_mode 1
		.amdhsa_fp16_overflow 0
		.amdhsa_workgroup_processor_mode 1
		.amdhsa_memory_ordered 1
		.amdhsa_forward_progress 1
		.amdhsa_shared_vgpr_count 0
		.amdhsa_exception_fp_ieee_invalid_op 0
		.amdhsa_exception_fp_denorm_src 0
		.amdhsa_exception_fp_ieee_div_zero 0
		.amdhsa_exception_fp_ieee_overflow 0
		.amdhsa_exception_fp_ieee_underflow 0
		.amdhsa_exception_fp_ieee_inexact 0
		.amdhsa_exception_int_div_zero 0
	.end_amdhsa_kernel
	.section	.text._ZN2at6native12_GLOBAL__N_130CatArrayBatchedCopy_vectorizedINS1_10OpaqueTypeILj1EEEjLi3ELi128ELi1ELi16ELi16EEEvPcNS1_25CatArrInputTensorMetadataIT_T0_XT2_EXT3_EEENS1_16TensorSizeStrideIS8_Lj4EEEiS8_,"axG",@progbits,_ZN2at6native12_GLOBAL__N_130CatArrayBatchedCopy_vectorizedINS1_10OpaqueTypeILj1EEEjLi3ELi128ELi1ELi16ELi16EEEvPcNS1_25CatArrInputTensorMetadataIT_T0_XT2_EXT3_EEENS1_16TensorSizeStrideIS8_Lj4EEEiS8_,comdat
.Lfunc_end10:
	.size	_ZN2at6native12_GLOBAL__N_130CatArrayBatchedCopy_vectorizedINS1_10OpaqueTypeILj1EEEjLi3ELi128ELi1ELi16ELi16EEEvPcNS1_25CatArrInputTensorMetadataIT_T0_XT2_EXT3_EEENS1_16TensorSizeStrideIS8_Lj4EEEiS8_, .Lfunc_end10-_ZN2at6native12_GLOBAL__N_130CatArrayBatchedCopy_vectorizedINS1_10OpaqueTypeILj1EEEjLi3ELi128ELi1ELi16ELi16EEEvPcNS1_25CatArrInputTensorMetadataIT_T0_XT2_EXT3_EEENS1_16TensorSizeStrideIS8_Lj4EEEiS8_
                                        ; -- End function
	.set _ZN2at6native12_GLOBAL__N_130CatArrayBatchedCopy_vectorizedINS1_10OpaqueTypeILj1EEEjLi3ELi128ELi1ELi16ELi16EEEvPcNS1_25CatArrInputTensorMetadataIT_T0_XT2_EXT3_EEENS1_16TensorSizeStrideIS8_Lj4EEEiS8_.num_vgpr, 13
	.set _ZN2at6native12_GLOBAL__N_130CatArrayBatchedCopy_vectorizedINS1_10OpaqueTypeILj1EEEjLi3ELi128ELi1ELi16ELi16EEEvPcNS1_25CatArrInputTensorMetadataIT_T0_XT2_EXT3_EEENS1_16TensorSizeStrideIS8_Lj4EEEiS8_.num_agpr, 0
	.set _ZN2at6native12_GLOBAL__N_130CatArrayBatchedCopy_vectorizedINS1_10OpaqueTypeILj1EEEjLi3ELi128ELi1ELi16ELi16EEEvPcNS1_25CatArrInputTensorMetadataIT_T0_XT2_EXT3_EEENS1_16TensorSizeStrideIS8_Lj4EEEiS8_.numbered_sgpr, 20
	.set _ZN2at6native12_GLOBAL__N_130CatArrayBatchedCopy_vectorizedINS1_10OpaqueTypeILj1EEEjLi3ELi128ELi1ELi16ELi16EEEvPcNS1_25CatArrInputTensorMetadataIT_T0_XT2_EXT3_EEENS1_16TensorSizeStrideIS8_Lj4EEEiS8_.num_named_barrier, 0
	.set _ZN2at6native12_GLOBAL__N_130CatArrayBatchedCopy_vectorizedINS1_10OpaqueTypeILj1EEEjLi3ELi128ELi1ELi16ELi16EEEvPcNS1_25CatArrInputTensorMetadataIT_T0_XT2_EXT3_EEENS1_16TensorSizeStrideIS8_Lj4EEEiS8_.private_seg_size, 0
	.set _ZN2at6native12_GLOBAL__N_130CatArrayBatchedCopy_vectorizedINS1_10OpaqueTypeILj1EEEjLi3ELi128ELi1ELi16ELi16EEEvPcNS1_25CatArrInputTensorMetadataIT_T0_XT2_EXT3_EEENS1_16TensorSizeStrideIS8_Lj4EEEiS8_.uses_vcc, 1
	.set _ZN2at6native12_GLOBAL__N_130CatArrayBatchedCopy_vectorizedINS1_10OpaqueTypeILj1EEEjLi3ELi128ELi1ELi16ELi16EEEvPcNS1_25CatArrInputTensorMetadataIT_T0_XT2_EXT3_EEENS1_16TensorSizeStrideIS8_Lj4EEEiS8_.uses_flat_scratch, 0
	.set _ZN2at6native12_GLOBAL__N_130CatArrayBatchedCopy_vectorizedINS1_10OpaqueTypeILj1EEEjLi3ELi128ELi1ELi16ELi16EEEvPcNS1_25CatArrInputTensorMetadataIT_T0_XT2_EXT3_EEENS1_16TensorSizeStrideIS8_Lj4EEEiS8_.has_dyn_sized_stack, 0
	.set _ZN2at6native12_GLOBAL__N_130CatArrayBatchedCopy_vectorizedINS1_10OpaqueTypeILj1EEEjLi3ELi128ELi1ELi16ELi16EEEvPcNS1_25CatArrInputTensorMetadataIT_T0_XT2_EXT3_EEENS1_16TensorSizeStrideIS8_Lj4EEEiS8_.has_recursion, 0
	.set _ZN2at6native12_GLOBAL__N_130CatArrayBatchedCopy_vectorizedINS1_10OpaqueTypeILj1EEEjLi3ELi128ELi1ELi16ELi16EEEvPcNS1_25CatArrInputTensorMetadataIT_T0_XT2_EXT3_EEENS1_16TensorSizeStrideIS8_Lj4EEEiS8_.has_indirect_call, 0
	.section	.AMDGPU.csdata,"",@progbits
; Kernel info:
; codeLenInByte = 596
; TotalNumSgprs: 22
; NumVgprs: 13
; ScratchSize: 0
; MemoryBound: 0
; FloatMode: 240
; IeeeMode: 1
; LDSByteSize: 0 bytes/workgroup (compile time only)
; SGPRBlocks: 0
; VGPRBlocks: 1
; NumSGPRsForWavesPerEU: 22
; NumVGPRsForWavesPerEU: 13
; Occupancy: 16
; WaveLimiterHint : 1
; COMPUTE_PGM_RSRC2:SCRATCH_EN: 0
; COMPUTE_PGM_RSRC2:USER_SGPR: 6
; COMPUTE_PGM_RSRC2:TRAP_HANDLER: 0
; COMPUTE_PGM_RSRC2:TGID_X_EN: 1
; COMPUTE_PGM_RSRC2:TGID_Y_EN: 1
; COMPUTE_PGM_RSRC2:TGID_Z_EN: 0
; COMPUTE_PGM_RSRC2:TIDIG_COMP_CNT: 0
	.section	.text._ZN2at6native12_GLOBAL__N_135CatArrayBatchedCopy_alignedK_contigINS1_10OpaqueTypeILj1EEEjLi3ELi128ELi1ELi16EEEvPT_NS1_25CatArrInputTensorMetadataIS5_T0_XT2_EXT3_EEENS1_16TensorSizeStrideIS8_Lj4EEEiS8_,"axG",@progbits,_ZN2at6native12_GLOBAL__N_135CatArrayBatchedCopy_alignedK_contigINS1_10OpaqueTypeILj1EEEjLi3ELi128ELi1ELi16EEEvPT_NS1_25CatArrInputTensorMetadataIS5_T0_XT2_EXT3_EEENS1_16TensorSizeStrideIS8_Lj4EEEiS8_,comdat
	.globl	_ZN2at6native12_GLOBAL__N_135CatArrayBatchedCopy_alignedK_contigINS1_10OpaqueTypeILj1EEEjLi3ELi128ELi1ELi16EEEvPT_NS1_25CatArrInputTensorMetadataIS5_T0_XT2_EXT3_EEENS1_16TensorSizeStrideIS8_Lj4EEEiS8_ ; -- Begin function _ZN2at6native12_GLOBAL__N_135CatArrayBatchedCopy_alignedK_contigINS1_10OpaqueTypeILj1EEEjLi3ELi128ELi1ELi16EEEvPT_NS1_25CatArrInputTensorMetadataIS5_T0_XT2_EXT3_EEENS1_16TensorSizeStrideIS8_Lj4EEEiS8_
	.p2align	8
	.type	_ZN2at6native12_GLOBAL__N_135CatArrayBatchedCopy_alignedK_contigINS1_10OpaqueTypeILj1EEEjLi3ELi128ELi1ELi16EEEvPT_NS1_25CatArrInputTensorMetadataIS5_T0_XT2_EXT3_EEENS1_16TensorSizeStrideIS8_Lj4EEEiS8_,@function
_ZN2at6native12_GLOBAL__N_135CatArrayBatchedCopy_alignedK_contigINS1_10OpaqueTypeILj1EEEjLi3ELi128ELi1ELi16EEEvPT_NS1_25CatArrInputTensorMetadataIS5_T0_XT2_EXT3_EEENS1_16TensorSizeStrideIS8_Lj4EEEiS8_: ; @_ZN2at6native12_GLOBAL__N_135CatArrayBatchedCopy_alignedK_contigINS1_10OpaqueTypeILj1EEEjLi3ELi128ELi1ELi16EEEvPT_NS1_25CatArrInputTensorMetadataIS5_T0_XT2_EXT3_EEENS1_16TensorSizeStrideIS8_Lj4EEEiS8_
; %bb.0:
	s_mov_b32 s2, s7
	s_load_dword s7, s[4:5], 0xadc
	s_mov_b32 s3, 0
	s_add_u32 s0, s4, 0xad0
	s_addc_u32 s1, s5, 0
	s_lshl_b64 s[2:3], s[2:3], 2
	s_waitcnt lgkmcnt(0)
	s_and_b32 s18, s7, 0xffff
	s_add_u32 s8, s4, s2
	s_addc_u32 s9, s5, s3
	s_mul_i32 s6, s6, s18
	s_load_dword s20, s[8:9], 0x808
	v_add_lshl_u32 v16, s6, v0, 4
	s_add_u32 s6, s8, 8
	s_addc_u32 s7, s9, 0
	s_mov_b32 s8, exec_lo
	s_waitcnt lgkmcnt(0)
	v_cmpx_gt_u32_e64 s20, v16
	s_cbranch_execz .LBB11_10
; %bb.1:
	s_add_u32 s10, s6, s2
	s_addc_u32 s11, s7, s3
	s_sub_u32 s2, 0, s2
	s_subb_u32 s3, 0, s3
	s_add_u32 s2, s10, s2
	s_addc_u32 s3, s11, s3
	s_clause 0x5
	s_load_dwordx2 s[8:9], s[4:5], 0x0
	s_load_dwordx2 s[12:13], s[4:5], 0xaac
	;; [unrolled: 1-line block ×3, first 2 shown]
	s_load_dwordx4 s[4:7], s[4:5], 0xab8
	s_load_dword s19, s[2:3], 0x400
	s_load_dwordx2 s[10:11], s[10:11], 0x0
	s_waitcnt lgkmcnt(0)
	s_load_dword s7, s[2:3], 0x600
	v_add_nc_u32_e32 v0, 16, v16
	s_mov_b64 s[16:17], 0
	s_mul_i32 s3, s19, s15
	s_mov_b32 s15, exec_lo
	v_cmpx_ge_u32_e64 s20, v0
	s_cbranch_execz .LBB11_7
; %bb.2:
	s_load_dword s0, s[0:1], 0x0
	v_mov_b32_e32 v17, 0
	v_add_nc_u32_e32 v19, 3, v16
	v_add_nc_u32_e32 v20, 2, v16
	;; [unrolled: 1-line block ×3, first 2 shown]
	s_mov_b32 s25, 0
	v_mov_b32_e32 v2, v17
	v_mov_b32_e32 v5, v17
	;; [unrolled: 1-line block ×10, first 2 shown]
	s_waitcnt lgkmcnt(0)
	s_mul_i32 s0, s0, s18
	s_lshl_b32 s21, s0, 4
	s_cmp_eq_u32 s14, 2
	s_cselect_b32 s22, s7, s13
	s_cmp_eq_u32 s14, 1
	v_cvt_f32_u32_e32 v0, s22
	s_cselect_b32 s23, s7, s12
	s_sub_i32 s24, 0, s22
	v_cvt_f32_u32_e32 v1, s23
	s_sub_i32 s0, 0, s23
	v_rcp_iflag_f32_e32 v0, v0
	v_rcp_iflag_f32_e32 v1, v1
	v_mul_f32_e32 v3, 0x4f7ffffe, v0
	v_mov_b32_e32 v0, v17
	v_mul_f32_e32 v4, 0x4f7ffffe, v1
	v_mov_b32_e32 v1, v17
	v_cvt_u32_f32_e32 v18, v3
	v_mov_b32_e32 v3, v17
	v_cvt_u32_f32_e32 v23, v4
	v_mov_b32_e32 v4, v17
	v_mul_lo_u32 v10, s24, v18
	v_mul_lo_u32 v11, s0, v23
	v_mul_hi_u32 v22, v18, v10
	v_mov_b32_e32 v10, v17
	v_mul_hi_u32 v24, v23, v11
	v_mov_b32_e32 v11, v17
	v_add_nc_u32_e32 v22, v18, v22
	v_mov_b32_e32 v18, v17
	v_mov_b32_e32 v17, v16
	v_add_nc_u32_e32 v23, v23, v24
.LBB11_3:                               ; =>This Loop Header: Depth=1
                                        ;     Child Loop BB11_4 Depth 2
	v_add_co_u32 v24, null, v16, s16
	v_mov_b32_e32 v25, v17
	v_mov_b32_e32 v26, v21
	v_mov_b32_e32 v27, v20
	v_mov_b32_e32 v28, v19
	s_mov_b64 s[18:19], 0
.LBB11_4:                               ;   Parent Loop BB11_3 Depth=1
                                        ; =>  This Inner Loop Header: Depth=2
	v_add_nc_u32_e32 v29, s18, v17
	v_mul_hi_u32 v32, v22, v28
	v_mul_hi_u32 v33, v22, v27
	;; [unrolled: 1-line block ×4, first 2 shown]
	v_add_nc_u32_e32 v30, 2, v29
	v_add_nc_u32_e32 v36, s18, v24
	v_mul_hi_u32 v37, v29, v22
	v_add_nc_u32_e32 v38, 1, v29
	v_mul_lo_u32 v39, s22, v32
	v_not_b32_e32 v40, v32
	v_mul_lo_u32 v41, s22, v33
	v_not_b32_e32 v42, v33
	;; [unrolled: 2-line block ×3, first 2 shown]
	v_not_b32_e32 v44, v35
	v_mad_u64_u32 v[32:33], null, s24, v35, v[29:30]
	v_mul_hi_u32 v35, v38, v22
	v_mul_lo_u32 v46, s22, v34
	v_mad_u64_u32 v[33:34], null, s22, v44, v[29:30]
	v_sub_nc_u32_e32 v34, v36, v43
	v_add_nc_u32_e32 v47, 1, v37
	v_cmp_le_u32_e32 vcc_lo, s22, v32
	v_sub_nc_u32_e32 v41, v36, v41
	v_mul_lo_u32 v40, s22, v40
	v_mul_lo_u32 v42, s22, v42
	v_add_nc_u32_e32 v31, 3, v29
	v_cndmask_b32_e32 v32, v32, v33, vcc_lo
	v_add_nc_u32_e32 v33, 1, v34
	v_mul_hi_u32 v38, v30, v22
	v_cndmask_b32_e32 v37, v37, v47, vcc_lo
	v_sub_nc_u32_e32 v39, v36, v39
	v_add_nc_u32_e32 v43, 1, v35
	v_add3_u32 v34, v46, v36, 1
	v_add_nc_u32_e32 v41, 2, v41
	v_cmp_le_u32_e32 vcc_lo, s22, v33
	v_mul_hi_u32 v45, v31, v22
	v_add3_u32 v42, v42, v36, 2
	v_add3_u32 v36, v40, v36, 3
	v_add_nc_u32_e32 v40, 1, v37
	v_cmp_le_u32_e64 s2, s22, v32
	v_add_nc_u32_e32 v44, 1, v38
	v_add_nc_u32_e32 v39, 3, v39
	v_cndmask_b32_e32 v35, v35, v43, vcc_lo
	v_cmp_le_u32_e64 s0, s22, v41
	v_cndmask_b32_e32 v34, v33, v34, vcc_lo
	v_cndmask_b32_e64 v37, v37, v40, s2
	v_add_nc_u32_e32 v47, 1, v45
	v_cmp_le_u32_e64 s1, s22, v39
	v_cndmask_b32_e64 v38, v38, v44, s0
	v_add_nc_u32_e32 v40, 1, v35
	v_cndmask_b32_e64 v41, v41, v42, s0
	v_cmp_le_u32_e32 vcc_lo, s22, v34
	v_mad_u64_u32 v[32:33], null, s24, v37, v[29:30]
	v_cndmask_b32_e64 v43, v45, v47, s1
	v_add_nc_u32_e32 v42, 1, v38
	v_cndmask_b32_e64 v36, v39, v36, s1
	v_cndmask_b32_e32 v34, v35, v40, vcc_lo
	v_cmp_le_u32_e32 vcc_lo, s22, v41
	v_mul_hi_u32 v44, v37, v23
	v_add_nc_u32_e32 v39, 1, v43
	s_mov_b32 m0, s18
	v_add_nc_u32_e32 v28, 4, v28
	v_cndmask_b32_e32 v35, v38, v42, vcc_lo
	v_cmp_le_u32_e32 vcc_lo, s22, v36
	v_mul_lo_u32 v38, v32, s6
	v_mad_u64_u32 v[32:33], null, s24, v34, v[29:30]
	v_mul_hi_u32 v33, v34, v23
	v_cndmask_b32_e32 v36, v43, v39, vcc_lo
	v_mul_lo_u32 v39, v44, s23
	v_mad_u64_u32 v[29:30], null, s24, v35, v[30:31]
	v_mul_hi_u32 v41, v35, v23
	v_mad_u64_u32 v[30:31], null, s24, v36, v[31:32]
	v_mad_u64_u32 v[31:32], null, s6, v32, s[6:7]
	v_mul_lo_u32 v32, v33, s23
	v_mul_hi_u32 v42, v36, v23
	v_sub_nc_u32_e32 v39, v37, v39
	v_mul_lo_u32 v45, v41, s23
	v_add_nc_u32_e32 v40, 1, v44
	v_add_nc_u32_e32 v43, 1, v33
	;; [unrolled: 1-line block ×3, first 2 shown]
	v_subrev_nc_u32_e32 v49, s23, v39
	v_cmp_le_u32_e32 vcc_lo, s23, v39
	v_sub_nc_u32_e32 v32, v34, v32
	v_mul_lo_u32 v47, v42, s23
	v_add_nc_u32_e32 v48, 1, v42
	v_mul_lo_u32 v29, v29, s6
	v_cndmask_b32_e32 v40, v44, v40, vcc_lo
	v_sub_nc_u32_e32 v44, v35, v45
	v_cndmask_b32_e32 v39, v39, v49, vcc_lo
	v_cmp_le_u32_e32 vcc_lo, s23, v32
	v_mul_lo_u32 v30, v30, s6
	v_sub_nc_u32_e32 v45, v36, v47
	v_cmp_le_u32_e64 s0, s23, v44
	v_add_nc_u32_e32 v47, 1, v40
	v_cndmask_b32_e32 v33, v33, v43, vcc_lo
	v_subrev_nc_u32_e32 v43, s23, v32
	v_cmp_le_u32_e64 s1, s23, v45
	v_cndmask_b32_e64 v41, v41, v46, s0
	v_subrev_nc_u32_e32 v46, s23, v44
	v_cmp_le_u32_e64 s2, s23, v39
	v_cndmask_b32_e32 v32, v32, v43, vcc_lo
	v_cndmask_b32_e64 v42, v42, v48, s1
	v_subrev_nc_u32_e32 v48, s23, v45
	v_cndmask_b32_e64 v43, v44, v46, s0
	v_cndmask_b32_e64 v39, v40, v47, s2
	v_add_nc_u32_e32 v40, 1, v33
	v_cmp_le_u32_e32 vcc_lo, s23, v32
	v_add_nc_u32_e32 v44, 1, v41
	v_cndmask_b32_e64 v45, v45, v48, s1
	v_add_nc_u32_e32 v46, 1, v42
	v_mul_lo_u32 v47, v39, s23
	v_cndmask_b32_e32 v32, v33, v40, vcc_lo
	v_cmp_le_u32_e32 vcc_lo, s23, v43
	v_mul_lo_u32 v39, v39, s4
	v_add_nc_u32_e32 v27, 4, v27
	v_add_nc_u32_e32 v26, 4, v26
	;; [unrolled: 1-line block ×3, first 2 shown]
	v_cndmask_b32_e32 v33, v41, v44, vcc_lo
	v_cmp_le_u32_e32 vcc_lo, s23, v45
	v_mul_lo_u32 v41, v32, s23
	v_sub_nc_u32_e32 v37, v37, v47
	v_mul_lo_u32 v32, v32, s4
	v_cndmask_b32_e32 v40, v42, v46, vcc_lo
	v_mul_lo_u32 v42, v33, s23
	v_mul_lo_u32 v37, v37, s5
	;; [unrolled: 1-line block ×3, first 2 shown]
	v_sub_nc_u32_e32 v34, v34, v41
	v_mul_lo_u32 v41, v40, s23
	v_sub_nc_u32_e32 v35, v35, v42
	v_mul_lo_u32 v34, v34, s5
	v_add3_u32 v37, v38, v39, v37
	v_mul_lo_u32 v38, v40, s4
	v_sub_nc_u32_e32 v36, v36, v41
	v_mul_lo_u32 v35, v35, s5
	v_movreld_b32_e32 v0, v37
	s_add_i32 m0, s18, 1
	v_add3_u32 v31, v31, v32, v34
	v_mul_lo_u32 v32, v36, s5
	v_add3_u32 v29, v29, v33, v35
	v_movreld_b32_e32 v0, v31
	s_add_i32 m0, s18, 2
	v_add3_u32 v30, v30, v38, v32
	v_movreld_b32_e32 v0, v29
	s_add_i32 m0, s18, 3
	s_add_u32 s18, s18, 4
	s_addc_u32 s19, s19, 0
	s_cmp_eq_u32 s18, 16
	v_movreld_b32_e32 v0, v30
	s_cbranch_scc0 .LBB11_4
; %bb.5:                                ;   in Loop: Header=BB11_3 Depth=1
	global_load_dwordx4 v[24:27], v17, s[10:11]
	v_add_co_u32 v17, vcc_lo, v17, s21
	v_add_co_ci_u32_e64 v18, null, 0, v18, vcc_lo
	v_add_nc_u32_e32 v28, s3, v0
	v_add_nc_u32_e32 v41, 16, v17
	;; [unrolled: 1-line block ×6, first 2 shown]
	v_cmp_lt_u32_e32 vcc_lo, s20, v41
	s_add_u32 s16, s16, s21
	v_add_nc_u32_e32 v30, s3, v2
	s_addc_u32 s17, s17, 0
	v_add_nc_u32_e32 v31, s3, v3
	s_or_b32 s25, vcc_lo, s25
	v_add_nc_u32_e32 v32, s3, v4
	v_add_nc_u32_e32 v33, s3, v5
	v_add_nc_u32_e32 v34, s3, v6
	v_add_nc_u32_e32 v35, s3, v7
	v_add_nc_u32_e32 v36, s3, v8
	v_add_nc_u32_e32 v37, s3, v9
	v_add_nc_u32_e32 v38, s3, v10
	v_add_nc_u32_e32 v39, s3, v11
	v_add_nc_u32_e32 v40, s3, v12
	v_add_nc_u32_e32 v42, s3, v13
	v_add_nc_u32_e32 v43, s3, v14
	v_add_nc_u32_e32 v44, s3, v15
	s_waitcnt vmcnt(0)
	v_lshrrev_b32_e32 v41, 8, v24
	v_lshrrev_b32_e32 v45, 24, v24
	;; [unrolled: 1-line block ×8, first 2 shown]
	global_store_byte v28, v24, s[8:9]
	global_store_byte v29, v41, s[8:9]
	global_store_byte_d16_hi v30, v24, s[8:9]
	global_store_byte v31, v45, s[8:9]
	global_store_byte v32, v25, s[8:9]
	global_store_byte v33, v46, s[8:9]
	global_store_byte_d16_hi v34, v25, s[8:9]
	global_store_byte v35, v47, s[8:9]
	;; [unrolled: 4-line block ×4, first 2 shown]
	s_andn2_b32 exec_lo, exec_lo, s25
	s_cbranch_execnz .LBB11_3
; %bb.6:
	s_or_b32 exec_lo, exec_lo, s25
	v_mov_b32_e32 v16, v17
.LBB11_7:
	s_or_b32 exec_lo, exec_lo, s15
	v_cmp_gt_u32_e32 vcc_lo, s20, v16
	s_and_b32 exec_lo, exec_lo, vcc_lo
	s_cbranch_execz .LBB11_10
; %bb.8:
	s_cmp_eq_u32 s14, 2
	v_mov_b32_e32 v17, 0
	s_waitcnt lgkmcnt(0)
	s_cselect_b32 s1, s7, s13
	s_cmp_eq_u32 s14, 1
	v_cvt_f32_u32_e32 v0, s1
	s_cselect_b32 s2, s7, s12
	s_sub_i32 s7, 0, s1
	v_cvt_f32_u32_e32 v1, s2
	s_sub_i32 s0, 0, s2
	v_rcp_iflag_f32_e32 v0, v0
	s_mov_b32 s12, 0
	v_rcp_iflag_f32_e32 v1, v1
	v_mul_f32_e32 v0, 0x4f7ffffe, v0
	v_mul_f32_e32 v1, 0x4f7ffffe, v1
	v_cvt_u32_f32_e32 v0, v0
	v_cvt_u32_f32_e32 v3, v1
	v_mul_lo_u32 v2, s7, v0
	v_mul_lo_u32 v4, s0, v3
	v_mul_hi_u32 v1, v0, v2
	v_mul_hi_u32 v4, v3, v4
	v_add_nc_u32_e32 v2, v0, v1
	v_add_nc_u32_e32 v3, v3, v4
	v_mad_u64_u32 v[0:1], null, v16, v2, 0
.LBB11_9:                               ; =>This Inner Loop Header: Depth=1
	v_add_co_u32 v4, vcc_lo, s10, v16
	v_add_co_ci_u32_e64 v5, null, s11, v17, vcc_lo
	v_mul_lo_u32 v7, s1, v1
	v_add_nc_u32_e32 v8, 1, v1
	v_add_co_u32 v0, s0, v0, v2
	global_load_ubyte v6, v[4:5], off
	v_not_b32_e32 v4, v1
	v_mad_u64_u32 v[4:5], null, s1, v4, v[16:17]
	v_sub_nc_u32_e32 v5, v16, v7
	v_cmp_le_u32_e32 vcc_lo, s1, v5
	v_cndmask_b32_e32 v7, v1, v8, vcc_lo
	v_cndmask_b32_e32 v4, v5, v4, vcc_lo
	v_add_co_ci_u32_e64 v1, null, 0, v1, s0
	v_add_nc_u32_e32 v5, 1, v7
	v_cmp_le_u32_e32 vcc_lo, s1, v4
	v_cndmask_b32_e32 v7, v7, v5, vcc_lo
	v_mul_hi_u32 v4, v7, v3
	v_mul_lo_u32 v5, v4, s2
	v_add_nc_u32_e32 v8, 1, v4
	v_sub_nc_u32_e32 v5, v7, v5
	v_subrev_nc_u32_e32 v9, s2, v5
	v_cmp_le_u32_e32 vcc_lo, s2, v5
	v_cndmask_b32_e32 v4, v4, v8, vcc_lo
	v_cndmask_b32_e32 v5, v5, v9, vcc_lo
	v_add_nc_u32_e32 v8, 1, v4
	v_cmp_le_u32_e32 vcc_lo, s2, v5
	v_cndmask_b32_e32 v8, v4, v8, vcc_lo
	v_mad_u64_u32 v[4:5], null, s7, v7, v[16:17]
	v_add_co_u32 v16, vcc_lo, v16, 1
	v_mul_lo_u32 v9, v8, s2
	v_mul_lo_u32 v5, v8, s4
	v_add_co_ci_u32_e64 v17, null, 0, v17, vcc_lo
	v_cmp_le_u32_e32 vcc_lo, s20, v16
	v_sub_nc_u32_e32 v7, v7, v9
	s_or_b32 s12, vcc_lo, s12
	s_waitcnt vmcnt(0)
	v_mad_u64_u32 v[4:5], null, v4, s6, v[5:6]
	v_mul_lo_u32 v5, v7, s5
	v_add3_u32 v4, v4, v5, s3
	global_store_byte v4, v6, s[8:9]
	s_andn2_b32 exec_lo, exec_lo, s12
	s_cbranch_execnz .LBB11_9
.LBB11_10:
	s_endpgm
	.section	.rodata,"a",@progbits
	.p2align	6, 0x0
	.amdhsa_kernel _ZN2at6native12_GLOBAL__N_135CatArrayBatchedCopy_alignedK_contigINS1_10OpaqueTypeILj1EEEjLi3ELi128ELi1ELi16EEEvPT_NS1_25CatArrInputTensorMetadataIS5_T0_XT2_EXT3_EEENS1_16TensorSizeStrideIS8_Lj4EEEiS8_
		.amdhsa_group_segment_fixed_size 0
		.amdhsa_private_segment_fixed_size 0
		.amdhsa_kernarg_size 3024
		.amdhsa_user_sgpr_count 6
		.amdhsa_user_sgpr_private_segment_buffer 1
		.amdhsa_user_sgpr_dispatch_ptr 0
		.amdhsa_user_sgpr_queue_ptr 0
		.amdhsa_user_sgpr_kernarg_segment_ptr 1
		.amdhsa_user_sgpr_dispatch_id 0
		.amdhsa_user_sgpr_flat_scratch_init 0
		.amdhsa_user_sgpr_private_segment_size 0
		.amdhsa_wavefront_size32 1
		.amdhsa_uses_dynamic_stack 0
		.amdhsa_system_sgpr_private_segment_wavefront_offset 0
		.amdhsa_system_sgpr_workgroup_id_x 1
		.amdhsa_system_sgpr_workgroup_id_y 1
		.amdhsa_system_sgpr_workgroup_id_z 0
		.amdhsa_system_sgpr_workgroup_info 0
		.amdhsa_system_vgpr_workitem_id 0
		.amdhsa_next_free_vgpr 52
		.amdhsa_next_free_sgpr 26
		.amdhsa_reserve_vcc 1
		.amdhsa_reserve_flat_scratch 0
		.amdhsa_float_round_mode_32 0
		.amdhsa_float_round_mode_16_64 0
		.amdhsa_float_denorm_mode_32 3
		.amdhsa_float_denorm_mode_16_64 3
		.amdhsa_dx10_clamp 1
		.amdhsa_ieee_mode 1
		.amdhsa_fp16_overflow 0
		.amdhsa_workgroup_processor_mode 1
		.amdhsa_memory_ordered 1
		.amdhsa_forward_progress 1
		.amdhsa_shared_vgpr_count 0
		.amdhsa_exception_fp_ieee_invalid_op 0
		.amdhsa_exception_fp_denorm_src 0
		.amdhsa_exception_fp_ieee_div_zero 0
		.amdhsa_exception_fp_ieee_overflow 0
		.amdhsa_exception_fp_ieee_underflow 0
		.amdhsa_exception_fp_ieee_inexact 0
		.amdhsa_exception_int_div_zero 0
	.end_amdhsa_kernel
	.section	.text._ZN2at6native12_GLOBAL__N_135CatArrayBatchedCopy_alignedK_contigINS1_10OpaqueTypeILj1EEEjLi3ELi128ELi1ELi16EEEvPT_NS1_25CatArrInputTensorMetadataIS5_T0_XT2_EXT3_EEENS1_16TensorSizeStrideIS8_Lj4EEEiS8_,"axG",@progbits,_ZN2at6native12_GLOBAL__N_135CatArrayBatchedCopy_alignedK_contigINS1_10OpaqueTypeILj1EEEjLi3ELi128ELi1ELi16EEEvPT_NS1_25CatArrInputTensorMetadataIS5_T0_XT2_EXT3_EEENS1_16TensorSizeStrideIS8_Lj4EEEiS8_,comdat
.Lfunc_end11:
	.size	_ZN2at6native12_GLOBAL__N_135CatArrayBatchedCopy_alignedK_contigINS1_10OpaqueTypeILj1EEEjLi3ELi128ELi1ELi16EEEvPT_NS1_25CatArrInputTensorMetadataIS5_T0_XT2_EXT3_EEENS1_16TensorSizeStrideIS8_Lj4EEEiS8_, .Lfunc_end11-_ZN2at6native12_GLOBAL__N_135CatArrayBatchedCopy_alignedK_contigINS1_10OpaqueTypeILj1EEEjLi3ELi128ELi1ELi16EEEvPT_NS1_25CatArrInputTensorMetadataIS5_T0_XT2_EXT3_EEENS1_16TensorSizeStrideIS8_Lj4EEEiS8_
                                        ; -- End function
	.set _ZN2at6native12_GLOBAL__N_135CatArrayBatchedCopy_alignedK_contigINS1_10OpaqueTypeILj1EEEjLi3ELi128ELi1ELi16EEEvPT_NS1_25CatArrInputTensorMetadataIS5_T0_XT2_EXT3_EEENS1_16TensorSizeStrideIS8_Lj4EEEiS8_.num_vgpr, 52
	.set _ZN2at6native12_GLOBAL__N_135CatArrayBatchedCopy_alignedK_contigINS1_10OpaqueTypeILj1EEEjLi3ELi128ELi1ELi16EEEvPT_NS1_25CatArrInputTensorMetadataIS5_T0_XT2_EXT3_EEENS1_16TensorSizeStrideIS8_Lj4EEEiS8_.num_agpr, 0
	.set _ZN2at6native12_GLOBAL__N_135CatArrayBatchedCopy_alignedK_contigINS1_10OpaqueTypeILj1EEEjLi3ELi128ELi1ELi16EEEvPT_NS1_25CatArrInputTensorMetadataIS5_T0_XT2_EXT3_EEENS1_16TensorSizeStrideIS8_Lj4EEEiS8_.numbered_sgpr, 26
	.set _ZN2at6native12_GLOBAL__N_135CatArrayBatchedCopy_alignedK_contigINS1_10OpaqueTypeILj1EEEjLi3ELi128ELi1ELi16EEEvPT_NS1_25CatArrInputTensorMetadataIS5_T0_XT2_EXT3_EEENS1_16TensorSizeStrideIS8_Lj4EEEiS8_.num_named_barrier, 0
	.set _ZN2at6native12_GLOBAL__N_135CatArrayBatchedCopy_alignedK_contigINS1_10OpaqueTypeILj1EEEjLi3ELi128ELi1ELi16EEEvPT_NS1_25CatArrInputTensorMetadataIS5_T0_XT2_EXT3_EEENS1_16TensorSizeStrideIS8_Lj4EEEiS8_.private_seg_size, 0
	.set _ZN2at6native12_GLOBAL__N_135CatArrayBatchedCopy_alignedK_contigINS1_10OpaqueTypeILj1EEEjLi3ELi128ELi1ELi16EEEvPT_NS1_25CatArrInputTensorMetadataIS5_T0_XT2_EXT3_EEENS1_16TensorSizeStrideIS8_Lj4EEEiS8_.uses_vcc, 1
	.set _ZN2at6native12_GLOBAL__N_135CatArrayBatchedCopy_alignedK_contigINS1_10OpaqueTypeILj1EEEjLi3ELi128ELi1ELi16EEEvPT_NS1_25CatArrInputTensorMetadataIS5_T0_XT2_EXT3_EEENS1_16TensorSizeStrideIS8_Lj4EEEiS8_.uses_flat_scratch, 0
	.set _ZN2at6native12_GLOBAL__N_135CatArrayBatchedCopy_alignedK_contigINS1_10OpaqueTypeILj1EEEjLi3ELi128ELi1ELi16EEEvPT_NS1_25CatArrInputTensorMetadataIS5_T0_XT2_EXT3_EEENS1_16TensorSizeStrideIS8_Lj4EEEiS8_.has_dyn_sized_stack, 0
	.set _ZN2at6native12_GLOBAL__N_135CatArrayBatchedCopy_alignedK_contigINS1_10OpaqueTypeILj1EEEjLi3ELi128ELi1ELi16EEEvPT_NS1_25CatArrInputTensorMetadataIS5_T0_XT2_EXT3_EEENS1_16TensorSizeStrideIS8_Lj4EEEiS8_.has_recursion, 0
	.set _ZN2at6native12_GLOBAL__N_135CatArrayBatchedCopy_alignedK_contigINS1_10OpaqueTypeILj1EEEjLi3ELi128ELi1ELi16EEEvPT_NS1_25CatArrInputTensorMetadataIS5_T0_XT2_EXT3_EEENS1_16TensorSizeStrideIS8_Lj4EEEiS8_.has_indirect_call, 0
	.section	.AMDGPU.csdata,"",@progbits
; Kernel info:
; codeLenInByte = 2012
; TotalNumSgprs: 28
; NumVgprs: 52
; ScratchSize: 0
; MemoryBound: 0
; FloatMode: 240
; IeeeMode: 1
; LDSByteSize: 0 bytes/workgroup (compile time only)
; SGPRBlocks: 0
; VGPRBlocks: 6
; NumSGPRsForWavesPerEU: 28
; NumVGPRsForWavesPerEU: 52
; Occupancy: 16
; WaveLimiterHint : 1
; COMPUTE_PGM_RSRC2:SCRATCH_EN: 0
; COMPUTE_PGM_RSRC2:USER_SGPR: 6
; COMPUTE_PGM_RSRC2:TRAP_HANDLER: 0
; COMPUTE_PGM_RSRC2:TGID_X_EN: 1
; COMPUTE_PGM_RSRC2:TGID_Y_EN: 1
; COMPUTE_PGM_RSRC2:TGID_Z_EN: 0
; COMPUTE_PGM_RSRC2:TIDIG_COMP_CNT: 0
	.section	.text._ZN2at6native12_GLOBAL__N_135CatArrayBatchedCopy_alignedK_contigINS1_10OpaqueTypeILj1EEEjLi3ELi128ELi1ELi8EEEvPT_NS1_25CatArrInputTensorMetadataIS5_T0_XT2_EXT3_EEENS1_16TensorSizeStrideIS8_Lj4EEEiS8_,"axG",@progbits,_ZN2at6native12_GLOBAL__N_135CatArrayBatchedCopy_alignedK_contigINS1_10OpaqueTypeILj1EEEjLi3ELi128ELi1ELi8EEEvPT_NS1_25CatArrInputTensorMetadataIS5_T0_XT2_EXT3_EEENS1_16TensorSizeStrideIS8_Lj4EEEiS8_,comdat
	.globl	_ZN2at6native12_GLOBAL__N_135CatArrayBatchedCopy_alignedK_contigINS1_10OpaqueTypeILj1EEEjLi3ELi128ELi1ELi8EEEvPT_NS1_25CatArrInputTensorMetadataIS5_T0_XT2_EXT3_EEENS1_16TensorSizeStrideIS8_Lj4EEEiS8_ ; -- Begin function _ZN2at6native12_GLOBAL__N_135CatArrayBatchedCopy_alignedK_contigINS1_10OpaqueTypeILj1EEEjLi3ELi128ELi1ELi8EEEvPT_NS1_25CatArrInputTensorMetadataIS5_T0_XT2_EXT3_EEENS1_16TensorSizeStrideIS8_Lj4EEEiS8_
	.p2align	8
	.type	_ZN2at6native12_GLOBAL__N_135CatArrayBatchedCopy_alignedK_contigINS1_10OpaqueTypeILj1EEEjLi3ELi128ELi1ELi8EEEvPT_NS1_25CatArrInputTensorMetadataIS5_T0_XT2_EXT3_EEENS1_16TensorSizeStrideIS8_Lj4EEEiS8_,@function
_ZN2at6native12_GLOBAL__N_135CatArrayBatchedCopy_alignedK_contigINS1_10OpaqueTypeILj1EEEjLi3ELi128ELi1ELi8EEEvPT_NS1_25CatArrInputTensorMetadataIS5_T0_XT2_EXT3_EEENS1_16TensorSizeStrideIS8_Lj4EEEiS8_: ; @_ZN2at6native12_GLOBAL__N_135CatArrayBatchedCopy_alignedK_contigINS1_10OpaqueTypeILj1EEEjLi3ELi128ELi1ELi8EEEvPT_NS1_25CatArrInputTensorMetadataIS5_T0_XT2_EXT3_EEENS1_16TensorSizeStrideIS8_Lj4EEEiS8_
; %bb.0:
	s_mov_b32 s2, s7
	s_load_dword s7, s[4:5], 0xadc
	s_mov_b32 s3, 0
	s_add_u32 s0, s4, 0xad0
	s_addc_u32 s1, s5, 0
	s_lshl_b64 s[2:3], s[2:3], 2
	s_waitcnt lgkmcnt(0)
	s_and_b32 s21, s7, 0xffff
	s_add_u32 s8, s4, s2
	s_addc_u32 s9, s5, s3
	s_mul_i32 s6, s6, s21
	s_load_dword s7, s[8:9], 0x808
	v_add_lshl_u32 v0, s6, v0, 3
	s_add_u32 s6, s8, 8
	s_addc_u32 s8, s9, 0
	s_mov_b32 s9, exec_lo
	s_waitcnt lgkmcnt(0)
	v_cmpx_gt_u32_e64 s7, v0
	s_cbranch_execz .LBB12_8
; %bb.1:
	s_add_u32 s14, s6, s2
	s_addc_u32 s15, s8, s3
	s_sub_u32 s2, 0, s2
	s_subb_u32 s3, 0, s3
	s_add_u32 s2, s14, s2
	s_addc_u32 s3, s15, s3
	s_clause 0x3
	s_load_dwordx2 s[12:13], s[4:5], 0x0
	s_load_dwordx2 s[16:17], s[4:5], 0xaac
	;; [unrolled: 1-line block ×3, first 2 shown]
	s_load_dwordx4 s[8:11], s[4:5], 0xab8
	s_waitcnt lgkmcnt(0)
	s_clause 0x2
	s_load_dword s11, s[2:3], 0x400
	s_load_dwordx2 s[14:15], s[14:15], 0x0
	s_load_dword s20, s[2:3], 0x600
	v_add_nc_u32_e32 v1, 8, v0
	s_waitcnt lgkmcnt(0)
	s_mul_i32 s11, s11, s19
	s_mov_b32 s19, exec_lo
	v_cmpx_ge_u32_e64 s7, v1
	s_cbranch_execz .LBB12_5
; %bb.2:
	s_load_dword s0, s[0:1], 0x0
	v_add_nc_u32_e32 v5, 5, v0
	v_add_nc_u32_e32 v6, 4, v0
	;; [unrolled: 1-line block ×5, first 2 shown]
	s_mov_b32 s25, 0
	s_waitcnt lgkmcnt(0)
	s_mul_i32 s0, s0, s21
	s_lshl_b32 s21, s0, 3
	s_cmp_eq_u32 s18, 2
	s_cselect_b32 s22, s20, s17
	s_cmp_eq_u32 s18, 1
	v_cvt_f32_u32_e32 v1, s22
	s_cselect_b32 s23, s20, s16
	s_sub_i32 s24, 0, s22
	v_cvt_f32_u32_e32 v2, s23
	s_sub_i32 s0, 0, s23
	v_rcp_iflag_f32_e32 v1, v1
	v_rcp_iflag_f32_e32 v2, v2
	v_mul_f32_e32 v1, 0x4f7ffffe, v1
	v_mul_f32_e32 v2, 0x4f7ffffe, v2
	v_cvt_u32_f32_e32 v1, v1
	v_cvt_u32_f32_e32 v2, v2
	v_mul_lo_u32 v3, s24, v1
	v_mul_lo_u32 v4, s0, v2
	v_mul_hi_u32 v9, v1, v3
	v_add_nc_u32_e32 v3, 7, v0
	v_mul_hi_u32 v10, v2, v4
	v_add_nc_u32_e32 v4, 6, v0
	v_add_nc_u32_e32 v9, v1, v9
	;; [unrolled: 1-line block ×3, first 2 shown]
.LBB12_3:                               ; =>This Inner Loop Header: Depth=1
	global_load_dwordx2 v[1:2], v0, s[14:15]
	v_mul_hi_u32 v30, v9, v0
	v_mul_hi_u32 v21, v9, v11
	;; [unrolled: 1-line block ×5, first 2 shown]
	v_add_nc_u32_e32 v12, 1, v0
	v_add_nc_u32_e32 v13, 2, v0
	v_mul_hi_u32 v25, v9, v5
	v_add_nc_u32_e32 v14, 3, v0
	v_mul_hi_u32 v26, v9, v4
	;; [unrolled: 2-line block ×3, first 2 shown]
	v_add_nc_u32_e32 v16, 5, v0
	v_add_nc_u32_e32 v17, 6, v0
	;; [unrolled: 1-line block ×3, first 2 shown]
	v_not_b32_e32 v28, v21
	v_not_b32_e32 v43, v22
	;; [unrolled: 1-line block ×8, first 2 shown]
	v_mul_hi_u32 v31, v12, v9
	v_mul_hi_u32 v33, v14, v9
	v_add_nc_u32_e32 v44, 1, v30
	v_mul_hi_u32 v32, v13, v9
	v_mul_hi_u32 v35, v16, v9
	;; [unrolled: 1-line block ×5, first 2 shown]
	v_add_nc_u32_e32 v3, s21, v3
	v_add_nc_u32_e32 v4, s21, v4
	;; [unrolled: 1-line block ×8, first 2 shown]
	s_waitcnt vmcnt(0)
	v_mad_u64_u32 v[19:20], null, s24, v30, v[0:1]
	v_mad_u64_u32 v[20:21], null, s24, v21, v[12:13]
	;; [unrolled: 1-line block ×10, first 2 shown]
	v_cmp_le_u32_e32 vcc_lo, s22, v19
	v_cmp_le_u32_e64 s0, s22, v22
	v_cmp_le_u32_e64 s2, s22, v24
	;; [unrolled: 1-line block ×4, first 2 shown]
	v_cndmask_b32_e32 v12, v30, v44, vcc_lo
	v_cndmask_b32_e32 v44, v19, v28, vcc_lo
	v_cmp_le_u32_e32 vcc_lo, s22, v20
	v_add_nc_u32_e32 v30, 1, v31
	v_mad_u64_u32 v[28:29], null, s22, v43, v[13:14]
	v_add_nc_u32_e32 v43, 1, v33
	v_cndmask_b32_e32 v27, v20, v27, vcc_lo
	v_mad_u64_u32 v[19:20], null, s22, v41, v[15:16]
	v_cndmask_b32_e32 v46, v31, v30, vcc_lo
	v_mad_u64_u32 v[29:30], null, s22, v42, v[14:15]
	v_add_nc_u32_e32 v20, 1, v35
	v_cmp_le_u32_e32 vcc_lo, s22, v21
	v_mad_u64_u32 v[30:31], null, s22, v40, v[16:17]
	v_cndmask_b32_e64 v40, v33, v43, s0
	v_add_nc_u32_e32 v33, 1, v36
	v_cndmask_b32_e32 v41, v32, v45, vcc_lo
	v_mad_u64_u32 v[31:32], null, s22, v39, v[17:18]
	v_cndmask_b32_e64 v20, v35, v20, s2
	v_add_nc_u32_e32 v35, 1, v37
	v_cndmask_b32_e64 v36, v36, v33, s3
	v_mad_u64_u32 v[32:33], null, s22, v38, v[18:19]
	v_add_nc_u32_e32 v42, 1, v34
	v_cmp_le_u32_e64 s1, s22, v23
	v_cndmask_b32_e64 v33, v37, v35, s4
	v_add_nc_u32_e32 v35, 1, v12
	v_cndmask_b32_e32 v21, v21, v28, vcc_lo
	v_cmp_le_u32_e32 vcc_lo, s22, v44
	v_cndmask_b32_e64 v34, v34, v42, s1
	v_cndmask_b32_e64 v22, v22, v29, s0
	;; [unrolled: 1-line block ×6, first 2 shown]
	v_add_nc_u32_e32 v26, 1, v46
	v_cmp_le_u32_e64 s5, s22, v27
	v_cndmask_b32_e32 v35, v12, v35, vcc_lo
	v_add_nc_u32_e32 v28, 1, v41
	v_add_nc_u32_e32 v29, 1, v40
	;; [unrolled: 1-line block ×4, first 2 shown]
	v_cmp_le_u32_e32 vcc_lo, s22, v21
	v_cmp_le_u32_e64 s0, s22, v22
	v_cmp_le_u32_e64 s1, s22, v19
	;; [unrolled: 1-line block ×3, first 2 shown]
	v_cndmask_b32_e64 v26, v46, v26, s5
	v_mul_hi_u32 v22, v35, v10
	v_add_nc_u32_e32 v32, 1, v36
	v_add_nc_u32_e32 v37, 1, v33
	v_cmp_le_u32_e64 s3, s22, v24
	v_cmp_le_u32_e64 s4, s22, v25
	v_cndmask_b32_e32 v27, v41, v28, vcc_lo
	v_cndmask_b32_e64 v28, v40, v29, s0
	v_cndmask_b32_e64 v29, v34, v30, s1
	;; [unrolled: 1-line block ×3, first 2 shown]
	v_mad_u64_u32 v[19:20], null, s24, v35, v[0:1]
	v_mad_u64_u32 v[20:21], null, s24, v26, v[0:1]
	v_mul_hi_u32 v21, v26, v10
	v_add_nc_u32_e32 v0, s21, v0
	v_cndmask_b32_e64 v31, v36, v32, s3
	v_cndmask_b32_e64 v32, v33, v37, s4
	v_mul_lo_u32 v37, v22, s23
	v_mul_hi_u32 v23, v27, v10
	v_add_nc_u32_e32 v36, 8, v0
	v_mul_lo_u32 v39, s10, v20
	v_mul_lo_u32 v20, v21, s23
	v_mul_hi_u32 v24, v28, v10
	v_mul_hi_u32 v25, v29, v10
	v_cmp_lt_u32_e32 vcc_lo, s7, v36
	v_sub_nc_u32_e32 v37, v35, v37
	v_mul_lo_u32 v41, v23, s23
	v_add_nc_u32_e32 v38, 1, v22
	v_mul_hi_u32 v33, v30, v10
	s_or_b32 s25, vcc_lo, s25
	v_sub_nc_u32_e32 v20, v26, v20
	v_cmp_le_u32_e32 vcc_lo, s23, v37
	v_mul_lo_u32 v43, v24, s23
	v_add_nc_u32_e32 v40, 1, v21
	v_sub_nc_u32_e32 v41, v27, v41
	v_cmp_le_u32_e64 s0, s23, v20
	v_cndmask_b32_e32 v22, v22, v38, vcc_lo
	v_subrev_nc_u32_e32 v38, s23, v37
	v_mul_lo_u32 v45, v25, s23
	v_mad_u64_u32 v[12:13], null, s24, v27, v[13:14]
	v_mad_u64_u32 v[13:14], null, s24, v28, v[14:15]
	v_mul_hi_u32 v34, v31, v10
	v_mad_u64_u32 v[14:15], null, s24, v29, v[15:16]
	v_add_nc_u32_e32 v42, 1, v23
	v_sub_nc_u32_e32 v43, v28, v43
	v_cndmask_b32_e64 v21, v21, v40, s0
	v_subrev_nc_u32_e32 v40, s23, v20
	v_cmp_le_u32_e64 s1, s23, v41
	v_cndmask_b32_e32 v37, v37, v38, vcc_lo
	v_mad_u64_u32 v[15:16], null, s24, v30, v[16:17]
	v_mad_u64_u32 v[16:17], null, s24, v31, v[17:18]
	v_mul_lo_u32 v47, v33, s23
	v_mad_u64_u32 v[17:18], null, s24, v32, v[18:19]
	v_mul_hi_u32 v18, v32, v10
	v_add_nc_u32_e32 v44, 1, v24
	v_sub_nc_u32_e32 v45, v29, v45
	v_cndmask_b32_e64 v23, v23, v42, s1
	v_subrev_nc_u32_e32 v42, s23, v41
	v_cmp_le_u32_e64 s2, s23, v43
	v_add_nc_u32_e32 v38, 1, v22
	v_cndmask_b32_e64 v20, v20, v40, s0
	v_cmp_le_u32_e32 vcc_lo, s23, v37
	v_mul_lo_u32 v49, v34, s23
	v_add_nc_u32_e32 v46, 1, v25
	v_sub_nc_u32_e32 v47, v30, v47
	v_cndmask_b32_e64 v24, v24, v44, s2
	v_subrev_nc_u32_e32 v44, s23, v43
	v_cmp_le_u32_e64 s3, s23, v45
	v_add_nc_u32_e32 v40, 1, v21
	v_cndmask_b32_e64 v41, v41, v42, s1
	v_cndmask_b32_e32 v22, v22, v38, vcc_lo
	v_cmp_le_u32_e32 vcc_lo, s23, v20
	v_mul_lo_u32 v51, v18, s23
	v_add_nc_u32_e32 v48, 1, v33
	v_sub_nc_u32_e32 v49, v31, v49
	v_cndmask_b32_e64 v25, v25, v46, s3
	v_subrev_nc_u32_e32 v46, s23, v45
	v_cmp_le_u32_e64 s4, s23, v47
	v_add_nc_u32_e32 v42, 1, v23
	v_cndmask_b32_e64 v43, v43, v44, s2
	v_cndmask_b32_e32 v20, v21, v40, vcc_lo
	v_cmp_le_u32_e32 vcc_lo, s23, v41
	v_add_nc_u32_e32 v50, 1, v34
	v_sub_nc_u32_e32 v51, v32, v51
	v_cndmask_b32_e64 v33, v33, v48, s4
	v_subrev_nc_u32_e32 v48, s23, v47
	v_cmp_le_u32_e64 s5, s23, v49
	v_add_nc_u32_e32 v44, 1, v24
	v_cndmask_b32_e64 v45, v45, v46, s3
	v_cndmask_b32_e32 v21, v23, v42, vcc_lo
	v_cmp_le_u32_e32 vcc_lo, s23, v43
	v_add_nc_u32_e32 v36, 1, v18
	v_cndmask_b32_e64 v34, v34, v50, s5
	v_subrev_nc_u32_e32 v50, s23, v49
	v_cmp_le_u32_e64 s6, s23, v51
	v_add_nc_u32_e32 v46, 1, v25
	v_cndmask_b32_e64 v47, v47, v48, s4
	v_cndmask_b32_e32 v23, v24, v44, vcc_lo
	v_cmp_le_u32_e32 vcc_lo, s23, v45
	v_cndmask_b32_e64 v18, v18, v36, s6
	v_subrev_nc_u32_e32 v36, s23, v51
	v_add_nc_u32_e32 v48, 1, v33
	v_cndmask_b32_e64 v49, v49, v50, s5
	v_cndmask_b32_e32 v24, v25, v46, vcc_lo
	v_cmp_le_u32_e32 vcc_lo, s23, v47
	v_add_nc_u32_e32 v50, 1, v34
	v_cndmask_b32_e64 v36, v51, v36, s6
	v_add_nc_u32_e32 v51, 1, v18
	v_mul_lo_u32 v37, v20, s23
	v_cndmask_b32_e32 v25, v33, v48, vcc_lo
	v_cmp_le_u32_e32 vcc_lo, s23, v49
	v_mul_lo_u32 v38, v20, s8
	v_mul_lo_u32 v40, v21, s23
	;; [unrolled: 1-line block ×4, first 2 shown]
	v_cndmask_b32_e32 v33, v34, v50, vcc_lo
	v_cmp_le_u32_e32 vcc_lo, s23, v36
	v_mul_lo_u32 v36, v22, s23
	v_mul_lo_u32 v41, v23, s23
	;; [unrolled: 1-line block ×4, first 2 shown]
	v_cndmask_b32_e32 v34, v18, v51, vcc_lo
	v_mul_lo_u32 v18, v22, s8
	v_mul_lo_u32 v22, v24, s8
	;; [unrolled: 1-line block ×7, first 2 shown]
	v_sub_nc_u32_e32 v26, v26, v37
	v_mad_u64_u32 v[18:19], null, v19, s10, v[18:19]
	v_sub_nc_u32_e32 v34, v35, v36
	v_mad_u64_u32 v[19:20], null, v12, s10, v[20:21]
	v_mad_u64_u32 v[12:13], null, v13, s10, v[21:22]
	v_sub_nc_u32_e32 v20, v28, v41
	v_mad_u64_u32 v[13:14], null, v14, s10, v[22:23]
	v_sub_nc_u32_e32 v27, v27, v40
	;; [unrolled: 2-line block ×3, first 2 shown]
	v_mad_u64_u32 v[15:16], null, v16, s10, v[24:25]
	v_mad_u64_u32 v[16:17], null, v17, s10, v[25:26]
	v_sub_nc_u32_e32 v22, v30, v43
	v_sub_nc_u32_e32 v23, v31, v44
	;; [unrolled: 1-line block ×3, first 2 shown]
	v_mul_lo_u32 v17, v34, s9
	v_mul_lo_u32 v25, v26, s9
	;; [unrolled: 1-line block ×5, first 2 shown]
	v_add3_u32 v35, v39, s10, v38
	v_mul_lo_u32 v22, v22, s9
	v_mul_lo_u32 v23, v23, s9
	;; [unrolled: 1-line block ×3, first 2 shown]
	v_add3_u32 v17, v18, v17, s11
	v_add3_u32 v18, v35, v25, s11
	;; [unrolled: 1-line block ×3, first 2 shown]
	v_lshrrev_b32_e32 v20, 8, v1
	v_add3_u32 v19, v19, v26, s11
	v_add3_u32 v13, v13, v21, s11
	v_lshrrev_b32_e32 v21, 24, v1
	v_add3_u32 v14, v14, v22, s11
	v_add3_u32 v15, v15, v23, s11
	;; [unrolled: 1-line block ×3, first 2 shown]
	v_lshrrev_b32_e32 v22, 8, v2
	v_lshrrev_b32_e32 v23, 24, v2
	global_store_byte v17, v1, s[12:13]
	global_store_byte v18, v20, s[12:13]
	global_store_byte_d16_hi v19, v1, s[12:13]
	global_store_byte v12, v21, s[12:13]
	global_store_byte v13, v2, s[12:13]
	;; [unrolled: 1-line block ×3, first 2 shown]
	global_store_byte_d16_hi v15, v2, s[12:13]
	global_store_byte v16, v23, s[12:13]
	s_andn2_b32 exec_lo, exec_lo, s25
	s_cbranch_execnz .LBB12_3
; %bb.4:
	s_or_b32 exec_lo, exec_lo, s25
.LBB12_5:
	s_or_b32 exec_lo, exec_lo, s19
	v_cmp_gt_u32_e32 vcc_lo, s7, v0
	s_and_b32 exec_lo, exec_lo, vcc_lo
	s_cbranch_execz .LBB12_8
; %bb.6:
	s_cmp_eq_u32 s18, 2
	s_mov_b32 s4, 0
	s_cselect_b32 s1, s20, s17
	s_cmp_eq_u32 s18, 1
	v_cvt_f32_u32_e32 v1, s1
	s_cselect_b32 s2, s20, s16
	s_sub_i32 s3, 0, s1
	v_cvt_f32_u32_e32 v2, s2
	s_sub_i32 s0, 0, s2
	v_rcp_iflag_f32_e32 v1, v1
	v_rcp_iflag_f32_e32 v2, v2
	v_mul_f32_e32 v1, 0x4f7ffffe, v1
	v_mul_f32_e32 v2, 0x4f7ffffe, v2
	v_cvt_u32_f32_e32 v1, v1
	v_cvt_u32_f32_e32 v5, v2
	v_mul_lo_u32 v3, s3, v1
	v_mul_hi_u32 v2, v1, v3
	v_mul_lo_u32 v3, s0, v5
	v_add_nc_u32_e32 v4, v1, v2
	v_mul_hi_u32 v6, v5, v3
	v_mov_b32_e32 v1, 0
	v_mad_u64_u32 v[2:3], null, v0, v4, 0
	v_add_nc_u32_e32 v5, v5, v6
.LBB12_7:                               ; =>This Inner Loop Header: Depth=1
	v_add_co_u32 v6, vcc_lo, s14, v0
	v_add_co_ci_u32_e64 v7, null, s15, v1, vcc_lo
	v_mul_lo_u32 v9, s1, v3
	v_add_nc_u32_e32 v10, 1, v3
	v_add_co_u32 v2, s0, v2, v4
	global_load_ubyte v8, v[6:7], off
	v_not_b32_e32 v6, v3
	v_mad_u64_u32 v[6:7], null, s1, v6, v[0:1]
	v_sub_nc_u32_e32 v7, v0, v9
	v_cmp_le_u32_e32 vcc_lo, s1, v7
	v_cndmask_b32_e32 v9, v3, v10, vcc_lo
	v_cndmask_b32_e32 v6, v7, v6, vcc_lo
	v_add_co_ci_u32_e64 v3, null, 0, v3, s0
	v_add_nc_u32_e32 v7, 1, v9
	v_cmp_le_u32_e32 vcc_lo, s1, v6
	v_cndmask_b32_e32 v9, v9, v7, vcc_lo
	v_mul_hi_u32 v6, v9, v5
	v_mul_lo_u32 v7, v6, s2
	v_add_nc_u32_e32 v10, 1, v6
	v_sub_nc_u32_e32 v7, v9, v7
	v_subrev_nc_u32_e32 v11, s2, v7
	v_cmp_le_u32_e32 vcc_lo, s2, v7
	v_cndmask_b32_e32 v6, v6, v10, vcc_lo
	v_cndmask_b32_e32 v7, v7, v11, vcc_lo
	v_add_nc_u32_e32 v10, 1, v6
	v_cmp_le_u32_e32 vcc_lo, s2, v7
	v_cndmask_b32_e32 v10, v6, v10, vcc_lo
	v_mad_u64_u32 v[6:7], null, s3, v9, v[0:1]
	v_add_co_u32 v0, vcc_lo, v0, 1
	v_mul_lo_u32 v11, v10, s2
	v_mul_lo_u32 v7, v10, s8
	v_add_co_ci_u32_e64 v1, null, 0, v1, vcc_lo
	v_cmp_le_u32_e32 vcc_lo, s7, v0
	v_sub_nc_u32_e32 v9, v9, v11
	s_or_b32 s4, vcc_lo, s4
	s_waitcnt vmcnt(0)
	v_mad_u64_u32 v[6:7], null, v6, s10, v[7:8]
	v_mul_lo_u32 v7, v9, s9
	v_add3_u32 v6, v6, v7, s11
	global_store_byte v6, v8, s[12:13]
	s_andn2_b32 exec_lo, exec_lo, s4
	s_cbranch_execnz .LBB12_7
.LBB12_8:
	s_endpgm
	.section	.rodata,"a",@progbits
	.p2align	6, 0x0
	.amdhsa_kernel _ZN2at6native12_GLOBAL__N_135CatArrayBatchedCopy_alignedK_contigINS1_10OpaqueTypeILj1EEEjLi3ELi128ELi1ELi8EEEvPT_NS1_25CatArrInputTensorMetadataIS5_T0_XT2_EXT3_EEENS1_16TensorSizeStrideIS8_Lj4EEEiS8_
		.amdhsa_group_segment_fixed_size 0
		.amdhsa_private_segment_fixed_size 0
		.amdhsa_kernarg_size 3024
		.amdhsa_user_sgpr_count 6
		.amdhsa_user_sgpr_private_segment_buffer 1
		.amdhsa_user_sgpr_dispatch_ptr 0
		.amdhsa_user_sgpr_queue_ptr 0
		.amdhsa_user_sgpr_kernarg_segment_ptr 1
		.amdhsa_user_sgpr_dispatch_id 0
		.amdhsa_user_sgpr_flat_scratch_init 0
		.amdhsa_user_sgpr_private_segment_size 0
		.amdhsa_wavefront_size32 1
		.amdhsa_uses_dynamic_stack 0
		.amdhsa_system_sgpr_private_segment_wavefront_offset 0
		.amdhsa_system_sgpr_workgroup_id_x 1
		.amdhsa_system_sgpr_workgroup_id_y 1
		.amdhsa_system_sgpr_workgroup_id_z 0
		.amdhsa_system_sgpr_workgroup_info 0
		.amdhsa_system_vgpr_workitem_id 0
		.amdhsa_next_free_vgpr 52
		.amdhsa_next_free_sgpr 26
		.amdhsa_reserve_vcc 1
		.amdhsa_reserve_flat_scratch 0
		.amdhsa_float_round_mode_32 0
		.amdhsa_float_round_mode_16_64 0
		.amdhsa_float_denorm_mode_32 3
		.amdhsa_float_denorm_mode_16_64 3
		.amdhsa_dx10_clamp 1
		.amdhsa_ieee_mode 1
		.amdhsa_fp16_overflow 0
		.amdhsa_workgroup_processor_mode 1
		.amdhsa_memory_ordered 1
		.amdhsa_forward_progress 1
		.amdhsa_shared_vgpr_count 0
		.amdhsa_exception_fp_ieee_invalid_op 0
		.amdhsa_exception_fp_denorm_src 0
		.amdhsa_exception_fp_ieee_div_zero 0
		.amdhsa_exception_fp_ieee_overflow 0
		.amdhsa_exception_fp_ieee_underflow 0
		.amdhsa_exception_fp_ieee_inexact 0
		.amdhsa_exception_int_div_zero 0
	.end_amdhsa_kernel
	.section	.text._ZN2at6native12_GLOBAL__N_135CatArrayBatchedCopy_alignedK_contigINS1_10OpaqueTypeILj1EEEjLi3ELi128ELi1ELi8EEEvPT_NS1_25CatArrInputTensorMetadataIS5_T0_XT2_EXT3_EEENS1_16TensorSizeStrideIS8_Lj4EEEiS8_,"axG",@progbits,_ZN2at6native12_GLOBAL__N_135CatArrayBatchedCopy_alignedK_contigINS1_10OpaqueTypeILj1EEEjLi3ELi128ELi1ELi8EEEvPT_NS1_25CatArrInputTensorMetadataIS5_T0_XT2_EXT3_EEENS1_16TensorSizeStrideIS8_Lj4EEEiS8_,comdat
.Lfunc_end12:
	.size	_ZN2at6native12_GLOBAL__N_135CatArrayBatchedCopy_alignedK_contigINS1_10OpaqueTypeILj1EEEjLi3ELi128ELi1ELi8EEEvPT_NS1_25CatArrInputTensorMetadataIS5_T0_XT2_EXT3_EEENS1_16TensorSizeStrideIS8_Lj4EEEiS8_, .Lfunc_end12-_ZN2at6native12_GLOBAL__N_135CatArrayBatchedCopy_alignedK_contigINS1_10OpaqueTypeILj1EEEjLi3ELi128ELi1ELi8EEEvPT_NS1_25CatArrInputTensorMetadataIS5_T0_XT2_EXT3_EEENS1_16TensorSizeStrideIS8_Lj4EEEiS8_
                                        ; -- End function
	.set _ZN2at6native12_GLOBAL__N_135CatArrayBatchedCopy_alignedK_contigINS1_10OpaqueTypeILj1EEEjLi3ELi128ELi1ELi8EEEvPT_NS1_25CatArrInputTensorMetadataIS5_T0_XT2_EXT3_EEENS1_16TensorSizeStrideIS8_Lj4EEEiS8_.num_vgpr, 52
	.set _ZN2at6native12_GLOBAL__N_135CatArrayBatchedCopy_alignedK_contigINS1_10OpaqueTypeILj1EEEjLi3ELi128ELi1ELi8EEEvPT_NS1_25CatArrInputTensorMetadataIS5_T0_XT2_EXT3_EEENS1_16TensorSizeStrideIS8_Lj4EEEiS8_.num_agpr, 0
	.set _ZN2at6native12_GLOBAL__N_135CatArrayBatchedCopy_alignedK_contigINS1_10OpaqueTypeILj1EEEjLi3ELi128ELi1ELi8EEEvPT_NS1_25CatArrInputTensorMetadataIS5_T0_XT2_EXT3_EEENS1_16TensorSizeStrideIS8_Lj4EEEiS8_.numbered_sgpr, 26
	.set _ZN2at6native12_GLOBAL__N_135CatArrayBatchedCopy_alignedK_contigINS1_10OpaqueTypeILj1EEEjLi3ELi128ELi1ELi8EEEvPT_NS1_25CatArrInputTensorMetadataIS5_T0_XT2_EXT3_EEENS1_16TensorSizeStrideIS8_Lj4EEEiS8_.num_named_barrier, 0
	.set _ZN2at6native12_GLOBAL__N_135CatArrayBatchedCopy_alignedK_contigINS1_10OpaqueTypeILj1EEEjLi3ELi128ELi1ELi8EEEvPT_NS1_25CatArrInputTensorMetadataIS5_T0_XT2_EXT3_EEENS1_16TensorSizeStrideIS8_Lj4EEEiS8_.private_seg_size, 0
	.set _ZN2at6native12_GLOBAL__N_135CatArrayBatchedCopy_alignedK_contigINS1_10OpaqueTypeILj1EEEjLi3ELi128ELi1ELi8EEEvPT_NS1_25CatArrInputTensorMetadataIS5_T0_XT2_EXT3_EEENS1_16TensorSizeStrideIS8_Lj4EEEiS8_.uses_vcc, 1
	.set _ZN2at6native12_GLOBAL__N_135CatArrayBatchedCopy_alignedK_contigINS1_10OpaqueTypeILj1EEEjLi3ELi128ELi1ELi8EEEvPT_NS1_25CatArrInputTensorMetadataIS5_T0_XT2_EXT3_EEENS1_16TensorSizeStrideIS8_Lj4EEEiS8_.uses_flat_scratch, 0
	.set _ZN2at6native12_GLOBAL__N_135CatArrayBatchedCopy_alignedK_contigINS1_10OpaqueTypeILj1EEEjLi3ELi128ELi1ELi8EEEvPT_NS1_25CatArrInputTensorMetadataIS5_T0_XT2_EXT3_EEENS1_16TensorSizeStrideIS8_Lj4EEEiS8_.has_dyn_sized_stack, 0
	.set _ZN2at6native12_GLOBAL__N_135CatArrayBatchedCopy_alignedK_contigINS1_10OpaqueTypeILj1EEEjLi3ELi128ELi1ELi8EEEvPT_NS1_25CatArrInputTensorMetadataIS5_T0_XT2_EXT3_EEENS1_16TensorSizeStrideIS8_Lj4EEEiS8_.has_recursion, 0
	.set _ZN2at6native12_GLOBAL__N_135CatArrayBatchedCopy_alignedK_contigINS1_10OpaqueTypeILj1EEEjLi3ELi128ELi1ELi8EEEvPT_NS1_25CatArrInputTensorMetadataIS5_T0_XT2_EXT3_EEENS1_16TensorSizeStrideIS8_Lj4EEEiS8_.has_indirect_call, 0
	.section	.AMDGPU.csdata,"",@progbits
; Kernel info:
; codeLenInByte = 2468
; TotalNumSgprs: 28
; NumVgprs: 52
; ScratchSize: 0
; MemoryBound: 0
; FloatMode: 240
; IeeeMode: 1
; LDSByteSize: 0 bytes/workgroup (compile time only)
; SGPRBlocks: 0
; VGPRBlocks: 6
; NumSGPRsForWavesPerEU: 28
; NumVGPRsForWavesPerEU: 52
; Occupancy: 16
; WaveLimiterHint : 1
; COMPUTE_PGM_RSRC2:SCRATCH_EN: 0
; COMPUTE_PGM_RSRC2:USER_SGPR: 6
; COMPUTE_PGM_RSRC2:TRAP_HANDLER: 0
; COMPUTE_PGM_RSRC2:TGID_X_EN: 1
; COMPUTE_PGM_RSRC2:TGID_Y_EN: 1
; COMPUTE_PGM_RSRC2:TGID_Z_EN: 0
; COMPUTE_PGM_RSRC2:TIDIG_COMP_CNT: 0
	.section	.text._ZN2at6native12_GLOBAL__N_126CatArrayBatchedCopy_contigINS1_10OpaqueTypeILj1EEEjLi3ELi128ELi1EEEvPT_NS1_25CatArrInputTensorMetadataIS5_T0_XT2_EXT3_EEENS1_16TensorSizeStrideIS8_Lj4EEEiS8_,"axG",@progbits,_ZN2at6native12_GLOBAL__N_126CatArrayBatchedCopy_contigINS1_10OpaqueTypeILj1EEEjLi3ELi128ELi1EEEvPT_NS1_25CatArrInputTensorMetadataIS5_T0_XT2_EXT3_EEENS1_16TensorSizeStrideIS8_Lj4EEEiS8_,comdat
	.globl	_ZN2at6native12_GLOBAL__N_126CatArrayBatchedCopy_contigINS1_10OpaqueTypeILj1EEEjLi3ELi128ELi1EEEvPT_NS1_25CatArrInputTensorMetadataIS5_T0_XT2_EXT3_EEENS1_16TensorSizeStrideIS8_Lj4EEEiS8_ ; -- Begin function _ZN2at6native12_GLOBAL__N_126CatArrayBatchedCopy_contigINS1_10OpaqueTypeILj1EEEjLi3ELi128ELi1EEEvPT_NS1_25CatArrInputTensorMetadataIS5_T0_XT2_EXT3_EEENS1_16TensorSizeStrideIS8_Lj4EEEiS8_
	.p2align	8
	.type	_ZN2at6native12_GLOBAL__N_126CatArrayBatchedCopy_contigINS1_10OpaqueTypeILj1EEEjLi3ELi128ELi1EEEvPT_NS1_25CatArrInputTensorMetadataIS5_T0_XT2_EXT3_EEENS1_16TensorSizeStrideIS8_Lj4EEEiS8_,@function
_ZN2at6native12_GLOBAL__N_126CatArrayBatchedCopy_contigINS1_10OpaqueTypeILj1EEEjLi3ELi128ELi1EEEvPT_NS1_25CatArrInputTensorMetadataIS5_T0_XT2_EXT3_EEENS1_16TensorSizeStrideIS8_Lj4EEEiS8_: ; @_ZN2at6native12_GLOBAL__N_126CatArrayBatchedCopy_contigINS1_10OpaqueTypeILj1EEEjLi3ELi128ELi1EEEvPT_NS1_25CatArrInputTensorMetadataIS5_T0_XT2_EXT3_EEENS1_16TensorSizeStrideIS8_Lj4EEEiS8_
; %bb.0:
	s_load_dword s2, s[4:5], 0xadc
	s_mov_b32 s8, s7
	s_mov_b32 s9, 0
	s_add_u32 s10, s4, 0xad0
	s_addc_u32 s11, s5, 0
	s_lshl_b64 s[0:1], s[8:9], 2
	s_waitcnt lgkmcnt(0)
	s_and_b32 s14, s2, 0xffff
	s_add_u32 s2, s4, s0
	s_addc_u32 s3, s5, s1
	v_mad_u64_u32 v[0:1], null, s6, s14, v[0:1]
	s_load_dword s12, s[2:3], 0x808
	s_add_u32 s2, s2, 8
	s_addc_u32 s3, s3, 0
	s_mov_b32 s6, exec_lo
	s_waitcnt lgkmcnt(0)
	v_cmpx_gt_u32_e64 s12, v0
	s_cbranch_execz .LBB13_3
; %bb.1:
	s_add_u32 s6, s2, s0
	s_addc_u32 s7, s3, s1
	s_sub_u32 s0, 0, s0
	s_load_dwordx2 s[16:17], s[4:5], 0xac8
	s_subb_u32 s1, 0, s1
	s_add_u32 s18, s6, s0
	s_addc_u32 s19, s7, s1
	s_clause 0x2
	s_load_dwordx2 s[20:21], s[4:5], 0xaac
	s_load_dword s8, s[18:19], 0x600
	s_load_dwordx4 s[0:3], s[4:5], 0xab8
	s_waitcnt lgkmcnt(0)
	s_cmp_eq_u32 s16, 2
	s_cselect_b32 s3, s8, s21
	s_cmp_eq_u32 s16, 1
	v_cvt_f32_u32_e32 v1, s3
	s_cselect_b32 s13, s8, s20
	s_clause 0x1
	s_load_dwordx2 s[4:5], s[4:5], 0x0
	s_load_dword s8, s[18:19], 0x400
	v_cvt_f32_u32_e32 v2, s13
	s_load_dword s11, s[10:11], 0x0
	v_rcp_iflag_f32_e32 v1, v1
	s_sub_i32 s10, 0, s3
	s_sub_i32 s15, 0, s13
	v_rcp_iflag_f32_e32 v2, v2
	s_load_dwordx2 s[6:7], s[6:7], 0x0
	v_mul_f32_e32 v1, 0x4f7ffffe, v1
	v_mul_f32_e32 v2, 0x4f7ffffe, v2
	v_cvt_u32_f32_e32 v1, v1
	s_waitcnt lgkmcnt(0)
	s_mul_i32 s8, s8, s17
	v_cvt_u32_f32_e32 v2, v2
	s_mul_i32 s11, s11, s14
	v_mul_lo_u32 v3, s10, v1
	v_mul_lo_u32 v4, s15, v2
	v_mul_hi_u32 v3, v1, v3
	v_mul_hi_u32 v4, v2, v4
	v_add_nc_u32_e32 v1, v1, v3
	v_add_nc_u32_e32 v2, v2, v4
.LBB13_2:                               ; =>This Inner Loop Header: Depth=1
	global_load_ubyte v5, v0, s[6:7]
	v_mul_hi_u32 v6, v1, v0
	v_mul_lo_u32 v3, s3, v6
	v_not_b32_e32 v4, v6
	v_add_nc_u32_e32 v7, 1, v6
	v_sub_nc_u32_e32 v8, v0, v3
	v_mad_u64_u32 v[3:4], null, s3, v4, v[0:1]
	v_cmp_le_u32_e32 vcc_lo, s3, v8
	v_cndmask_b32_e32 v4, v6, v7, vcc_lo
	v_cndmask_b32_e32 v3, v8, v3, vcc_lo
	v_add_nc_u32_e32 v6, 1, v4
	v_cmp_le_u32_e32 vcc_lo, s3, v3
	v_cndmask_b32_e32 v6, v4, v6, vcc_lo
	v_mul_hi_u32 v3, v6, v2
	v_mul_lo_u32 v4, v3, s13
	v_add_nc_u32_e32 v7, 1, v3
	v_sub_nc_u32_e32 v4, v6, v4
	v_subrev_nc_u32_e32 v8, s13, v4
	v_cmp_le_u32_e32 vcc_lo, s13, v4
	v_cndmask_b32_e32 v3, v3, v7, vcc_lo
	v_cndmask_b32_e32 v4, v4, v8, vcc_lo
	v_add_nc_u32_e32 v7, 1, v3
	v_cmp_le_u32_e32 vcc_lo, s13, v4
	v_cndmask_b32_e32 v7, v3, v7, vcc_lo
	v_mad_u64_u32 v[3:4], null, s10, v6, v[0:1]
	v_add_nc_u32_e32 v0, s11, v0
	v_mul_lo_u32 v8, v7, s13
	v_cmp_le_u32_e32 vcc_lo, s12, v0
	v_sub_nc_u32_e32 v6, v6, v8
	v_mul_lo_u32 v8, v3, s2
	v_mad_u64_u32 v[3:4], null, v7, s0, s[8:9]
	s_or_b32 s9, vcc_lo, s9
	v_mul_lo_u32 v4, v6, s1
	v_add3_u32 v3, v3, v8, v4
	s_waitcnt vmcnt(0)
	global_store_byte v3, v5, s[4:5]
	s_andn2_b32 exec_lo, exec_lo, s9
	s_cbranch_execnz .LBB13_2
.LBB13_3:
	s_endpgm
	.section	.rodata,"a",@progbits
	.p2align	6, 0x0
	.amdhsa_kernel _ZN2at6native12_GLOBAL__N_126CatArrayBatchedCopy_contigINS1_10OpaqueTypeILj1EEEjLi3ELi128ELi1EEEvPT_NS1_25CatArrInputTensorMetadataIS5_T0_XT2_EXT3_EEENS1_16TensorSizeStrideIS8_Lj4EEEiS8_
		.amdhsa_group_segment_fixed_size 0
		.amdhsa_private_segment_fixed_size 0
		.amdhsa_kernarg_size 3024
		.amdhsa_user_sgpr_count 6
		.amdhsa_user_sgpr_private_segment_buffer 1
		.amdhsa_user_sgpr_dispatch_ptr 0
		.amdhsa_user_sgpr_queue_ptr 0
		.amdhsa_user_sgpr_kernarg_segment_ptr 1
		.amdhsa_user_sgpr_dispatch_id 0
		.amdhsa_user_sgpr_flat_scratch_init 0
		.amdhsa_user_sgpr_private_segment_size 0
		.amdhsa_wavefront_size32 1
		.amdhsa_uses_dynamic_stack 0
		.amdhsa_system_sgpr_private_segment_wavefront_offset 0
		.amdhsa_system_sgpr_workgroup_id_x 1
		.amdhsa_system_sgpr_workgroup_id_y 1
		.amdhsa_system_sgpr_workgroup_id_z 0
		.amdhsa_system_sgpr_workgroup_info 0
		.amdhsa_system_vgpr_workitem_id 0
		.amdhsa_next_free_vgpr 9
		.amdhsa_next_free_sgpr 22
		.amdhsa_reserve_vcc 1
		.amdhsa_reserve_flat_scratch 0
		.amdhsa_float_round_mode_32 0
		.amdhsa_float_round_mode_16_64 0
		.amdhsa_float_denorm_mode_32 3
		.amdhsa_float_denorm_mode_16_64 3
		.amdhsa_dx10_clamp 1
		.amdhsa_ieee_mode 1
		.amdhsa_fp16_overflow 0
		.amdhsa_workgroup_processor_mode 1
		.amdhsa_memory_ordered 1
		.amdhsa_forward_progress 1
		.amdhsa_shared_vgpr_count 0
		.amdhsa_exception_fp_ieee_invalid_op 0
		.amdhsa_exception_fp_denorm_src 0
		.amdhsa_exception_fp_ieee_div_zero 0
		.amdhsa_exception_fp_ieee_overflow 0
		.amdhsa_exception_fp_ieee_underflow 0
		.amdhsa_exception_fp_ieee_inexact 0
		.amdhsa_exception_int_div_zero 0
	.end_amdhsa_kernel
	.section	.text._ZN2at6native12_GLOBAL__N_126CatArrayBatchedCopy_contigINS1_10OpaqueTypeILj1EEEjLi3ELi128ELi1EEEvPT_NS1_25CatArrInputTensorMetadataIS5_T0_XT2_EXT3_EEENS1_16TensorSizeStrideIS8_Lj4EEEiS8_,"axG",@progbits,_ZN2at6native12_GLOBAL__N_126CatArrayBatchedCopy_contigINS1_10OpaqueTypeILj1EEEjLi3ELi128ELi1EEEvPT_NS1_25CatArrInputTensorMetadataIS5_T0_XT2_EXT3_EEENS1_16TensorSizeStrideIS8_Lj4EEEiS8_,comdat
.Lfunc_end13:
	.size	_ZN2at6native12_GLOBAL__N_126CatArrayBatchedCopy_contigINS1_10OpaqueTypeILj1EEEjLi3ELi128ELi1EEEvPT_NS1_25CatArrInputTensorMetadataIS5_T0_XT2_EXT3_EEENS1_16TensorSizeStrideIS8_Lj4EEEiS8_, .Lfunc_end13-_ZN2at6native12_GLOBAL__N_126CatArrayBatchedCopy_contigINS1_10OpaqueTypeILj1EEEjLi3ELi128ELi1EEEvPT_NS1_25CatArrInputTensorMetadataIS5_T0_XT2_EXT3_EEENS1_16TensorSizeStrideIS8_Lj4EEEiS8_
                                        ; -- End function
	.set _ZN2at6native12_GLOBAL__N_126CatArrayBatchedCopy_contigINS1_10OpaqueTypeILj1EEEjLi3ELi128ELi1EEEvPT_NS1_25CatArrInputTensorMetadataIS5_T0_XT2_EXT3_EEENS1_16TensorSizeStrideIS8_Lj4EEEiS8_.num_vgpr, 9
	.set _ZN2at6native12_GLOBAL__N_126CatArrayBatchedCopy_contigINS1_10OpaqueTypeILj1EEEjLi3ELi128ELi1EEEvPT_NS1_25CatArrInputTensorMetadataIS5_T0_XT2_EXT3_EEENS1_16TensorSizeStrideIS8_Lj4EEEiS8_.num_agpr, 0
	.set _ZN2at6native12_GLOBAL__N_126CatArrayBatchedCopy_contigINS1_10OpaqueTypeILj1EEEjLi3ELi128ELi1EEEvPT_NS1_25CatArrInputTensorMetadataIS5_T0_XT2_EXT3_EEENS1_16TensorSizeStrideIS8_Lj4EEEiS8_.numbered_sgpr, 22
	.set _ZN2at6native12_GLOBAL__N_126CatArrayBatchedCopy_contigINS1_10OpaqueTypeILj1EEEjLi3ELi128ELi1EEEvPT_NS1_25CatArrInputTensorMetadataIS5_T0_XT2_EXT3_EEENS1_16TensorSizeStrideIS8_Lj4EEEiS8_.num_named_barrier, 0
	.set _ZN2at6native12_GLOBAL__N_126CatArrayBatchedCopy_contigINS1_10OpaqueTypeILj1EEEjLi3ELi128ELi1EEEvPT_NS1_25CatArrInputTensorMetadataIS5_T0_XT2_EXT3_EEENS1_16TensorSizeStrideIS8_Lj4EEEiS8_.private_seg_size, 0
	.set _ZN2at6native12_GLOBAL__N_126CatArrayBatchedCopy_contigINS1_10OpaqueTypeILj1EEEjLi3ELi128ELi1EEEvPT_NS1_25CatArrInputTensorMetadataIS5_T0_XT2_EXT3_EEENS1_16TensorSizeStrideIS8_Lj4EEEiS8_.uses_vcc, 1
	.set _ZN2at6native12_GLOBAL__N_126CatArrayBatchedCopy_contigINS1_10OpaqueTypeILj1EEEjLi3ELi128ELi1EEEvPT_NS1_25CatArrInputTensorMetadataIS5_T0_XT2_EXT3_EEENS1_16TensorSizeStrideIS8_Lj4EEEiS8_.uses_flat_scratch, 0
	.set _ZN2at6native12_GLOBAL__N_126CatArrayBatchedCopy_contigINS1_10OpaqueTypeILj1EEEjLi3ELi128ELi1EEEvPT_NS1_25CatArrInputTensorMetadataIS5_T0_XT2_EXT3_EEENS1_16TensorSizeStrideIS8_Lj4EEEiS8_.has_dyn_sized_stack, 0
	.set _ZN2at6native12_GLOBAL__N_126CatArrayBatchedCopy_contigINS1_10OpaqueTypeILj1EEEjLi3ELi128ELi1EEEvPT_NS1_25CatArrInputTensorMetadataIS5_T0_XT2_EXT3_EEENS1_16TensorSizeStrideIS8_Lj4EEEiS8_.has_recursion, 0
	.set _ZN2at6native12_GLOBAL__N_126CatArrayBatchedCopy_contigINS1_10OpaqueTypeILj1EEEjLi3ELi128ELi1EEEvPT_NS1_25CatArrInputTensorMetadataIS5_T0_XT2_EXT3_EEENS1_16TensorSizeStrideIS8_Lj4EEEiS8_.has_indirect_call, 0
	.section	.AMDGPU.csdata,"",@progbits
; Kernel info:
; codeLenInByte = 520
; TotalNumSgprs: 24
; NumVgprs: 9
; ScratchSize: 0
; MemoryBound: 0
; FloatMode: 240
; IeeeMode: 1
; LDSByteSize: 0 bytes/workgroup (compile time only)
; SGPRBlocks: 0
; VGPRBlocks: 1
; NumSGPRsForWavesPerEU: 24
; NumVGPRsForWavesPerEU: 9
; Occupancy: 16
; WaveLimiterHint : 1
; COMPUTE_PGM_RSRC2:SCRATCH_EN: 0
; COMPUTE_PGM_RSRC2:USER_SGPR: 6
; COMPUTE_PGM_RSRC2:TRAP_HANDLER: 0
; COMPUTE_PGM_RSRC2:TGID_X_EN: 1
; COMPUTE_PGM_RSRC2:TGID_Y_EN: 1
; COMPUTE_PGM_RSRC2:TGID_Z_EN: 0
; COMPUTE_PGM_RSRC2:TIDIG_COMP_CNT: 0
	.section	.text._ZN2at6native12_GLOBAL__N_119CatArrayBatchedCopyINS1_10OpaqueTypeILj1EEEjLi3ELi128ELi1EEEvPT_NS1_25CatArrInputTensorMetadataIS5_T0_XT2_EXT3_EEENS1_16TensorSizeStrideIS8_Lj4EEEiS8_,"axG",@progbits,_ZN2at6native12_GLOBAL__N_119CatArrayBatchedCopyINS1_10OpaqueTypeILj1EEEjLi3ELi128ELi1EEEvPT_NS1_25CatArrInputTensorMetadataIS5_T0_XT2_EXT3_EEENS1_16TensorSizeStrideIS8_Lj4EEEiS8_,comdat
	.globl	_ZN2at6native12_GLOBAL__N_119CatArrayBatchedCopyINS1_10OpaqueTypeILj1EEEjLi3ELi128ELi1EEEvPT_NS1_25CatArrInputTensorMetadataIS5_T0_XT2_EXT3_EEENS1_16TensorSizeStrideIS8_Lj4EEEiS8_ ; -- Begin function _ZN2at6native12_GLOBAL__N_119CatArrayBatchedCopyINS1_10OpaqueTypeILj1EEEjLi3ELi128ELi1EEEvPT_NS1_25CatArrInputTensorMetadataIS5_T0_XT2_EXT3_EEENS1_16TensorSizeStrideIS8_Lj4EEEiS8_
	.p2align	8
	.type	_ZN2at6native12_GLOBAL__N_119CatArrayBatchedCopyINS1_10OpaqueTypeILj1EEEjLi3ELi128ELi1EEEvPT_NS1_25CatArrInputTensorMetadataIS5_T0_XT2_EXT3_EEENS1_16TensorSizeStrideIS8_Lj4EEEiS8_,@function
_ZN2at6native12_GLOBAL__N_119CatArrayBatchedCopyINS1_10OpaqueTypeILj1EEEjLi3ELi128ELi1EEEvPT_NS1_25CatArrInputTensorMetadataIS5_T0_XT2_EXT3_EEENS1_16TensorSizeStrideIS8_Lj4EEEiS8_: ; @_ZN2at6native12_GLOBAL__N_119CatArrayBatchedCopyINS1_10OpaqueTypeILj1EEEjLi3ELi128ELi1EEEvPT_NS1_25CatArrInputTensorMetadataIS5_T0_XT2_EXT3_EEENS1_16TensorSizeStrideIS8_Lj4EEEiS8_
; %bb.0:
	s_load_dword s2, s[4:5], 0xadc
	s_mov_b32 s12, s7
	s_or_b32 s8, s4, 8
	s_mov_b32 s13, 0
	s_add_u32 s14, s4, 0xad0
	s_addc_u32 s15, s5, 0
	s_lshl_b64 s[0:1], s[12:13], 2
	s_waitcnt lgkmcnt(0)
	s_and_b32 s20, s2, 0xffff
	s_add_u32 s2, s8, s0
	s_addc_u32 s3, s5, s1
	v_mad_u64_u32 v[0:1], null, s6, s20, v[0:1]
	s_load_dword s16, s[2:3], 0x800
	s_mov_b32 s6, exec_lo
	s_waitcnt lgkmcnt(0)
	v_cmpx_gt_u32_e64 s16, v0
	s_cbranch_execz .LBB14_5
; %bb.1:
	v_mov_b32_e32 v1, 0x800
	s_add_u32 s6, s8, s12
	s_addc_u32 s7, s5, 0
	s_mov_b32 s9, s5
	global_load_ubyte v1, v1, s[6:7] offset:512
	s_waitcnt vmcnt(0)
	v_and_b32_e32 v1, 1, v1
	v_cmp_eq_u32_e32 vcc_lo, 1, v1
	s_xor_b32 s12, vcc_lo, -1
	s_add_u32 s6, s2, s0
	s_addc_u32 s7, s3, s1
	s_sub_u32 s0, 0, s0
	s_subb_u32 s1, 0, s1
	s_add_u32 s22, s6, s0
	s_addc_u32 s23, s7, s1
	s_clause 0x4
	s_load_dwordx2 s[24:25], s[4:5], 0xac8
	s_load_dword s19, s[22:23], 0x600
	s_load_dwordx2 s[10:11], s[4:5], 0xaac
	s_load_dwordx2 s[26:27], s[4:5], 0xa8c
	s_load_dwordx4 s[0:3], s[4:5], 0xab8
	s_waitcnt lgkmcnt(0)
	s_cmp_eq_u32 s24, 2
	s_cselect_b32 s3, s19, s11
	s_cselect_b32 s17, s19, s27
	s_cmp_eq_u32 s24, 1
	v_cvt_f32_u32_e32 v1, s3
	s_cselect_b32 s18, s19, s10
	s_cselect_b32 s19, s19, s26
	v_cvt_f32_u32_e32 v2, s17
	v_cvt_f32_u32_e32 v3, s18
	;; [unrolled: 1-line block ×3, first 2 shown]
	v_rcp_iflag_f32_e32 v1, v1
	s_clause 0x1
	s_load_dwordx4 s[8:11], s[8:9], 0xa90
	s_load_dword s21, s[22:23], 0x400
	s_load_dword s22, s[14:15], 0x0
	v_rcp_iflag_f32_e32 v2, v2
	v_rcp_iflag_f32_e32 v3, v3
	;; [unrolled: 1-line block ×3, first 2 shown]
	s_waitcnt lgkmcnt(0)
	s_sub_i32 s11, 0, s3
	s_sub_i32 s14, 0, s17
	;; [unrolled: 1-line block ×4, first 2 shown]
	s_clause 0x1
	s_load_dwordx2 s[4:5], s[4:5], 0x0
	s_load_dwordx2 s[6:7], s[6:7], 0x0
	v_mul_f32_e32 v1, 0x4f7ffffe, v1
	v_mul_f32_e32 v2, 0x4f7ffffe, v2
	;; [unrolled: 1-line block ×4, first 2 shown]
	v_cvt_u32_f32_e32 v5, v1
	v_cvt_u32_f32_e32 v2, v2
	;; [unrolled: 1-line block ×4, first 2 shown]
	v_mul_lo_u32 v1, s11, v5
	s_mul_i32 s20, s22, s20
	v_mul_lo_u32 v4, s14, v2
	v_mul_lo_u32 v6, s15, v3
	;; [unrolled: 1-line block ×3, first 2 shown]
	s_mul_i32 s15, s21, s25
	v_mul_hi_u32 v9, v5, v1
	v_mov_b32_e32 v1, 0
	v_mul_hi_u32 v10, v2, v4
	v_mul_hi_u32 v6, v3, v6
	;; [unrolled: 1-line block ×3, first 2 shown]
	v_add_nc_u32_e32 v4, v5, v9
	v_add_nc_u32_e32 v5, v2, v10
	;; [unrolled: 1-line block ×4, first 2 shown]
	s_branch .LBB14_3
.LBB14_2:                               ;   in Loop: Header=BB14_3 Depth=1
	s_waitcnt lgkmcnt(0)
	v_add_co_u32 v2, vcc_lo, s6, v2
	v_add_co_ci_u32_e64 v3, null, s7, v3, vcc_lo
	v_mul_hi_u32 v11, v4, v0
	global_load_ubyte v10, v[2:3], off
	v_not_b32_e32 v8, v11
	v_mad_u64_u32 v[2:3], null, s11, v11, v[0:1]
	v_add_nc_u32_e32 v3, 1, v11
	v_mad_u64_u32 v[8:9], null, s3, v8, v[0:1]
	v_cmp_le_u32_e32 vcc_lo, s3, v2
	v_cndmask_b32_e32 v3, v11, v3, vcc_lo
	v_cndmask_b32_e32 v2, v2, v8, vcc_lo
	v_add_nc_u32_e32 v8, 1, v3
	v_cmp_le_u32_e32 vcc_lo, s3, v2
	v_cndmask_b32_e32 v8, v3, v8, vcc_lo
	v_mul_hi_u32 v2, v8, v6
	v_mul_lo_u32 v3, v2, s18
	v_add_nc_u32_e32 v9, 1, v2
	v_sub_nc_u32_e32 v3, v8, v3
	v_subrev_nc_u32_e32 v11, s18, v3
	v_cmp_le_u32_e32 vcc_lo, s18, v3
	v_cndmask_b32_e32 v2, v2, v9, vcc_lo
	v_cndmask_b32_e32 v3, v3, v11, vcc_lo
	v_add_nc_u32_e32 v9, 1, v2
	v_cmp_le_u32_e32 vcc_lo, s18, v3
	v_cndmask_b32_e32 v9, v2, v9, vcc_lo
	v_mad_u64_u32 v[2:3], null, s11, v8, v[0:1]
	v_add_nc_u32_e32 v0, s20, v0
	v_mul_lo_u32 v11, v9, s18
	v_mul_lo_u32 v3, v9, s0
	v_cmp_le_u32_e32 vcc_lo, s16, v0
	v_sub_nc_u32_e32 v8, v8, v11
	v_mad_u64_u32 v[2:3], null, v2, s2, v[3:4]
	s_or_b32 s13, vcc_lo, s13
	v_mul_lo_u32 v8, v8, s1
	v_add3_u32 v2, v2, v8, s15
	s_waitcnt vmcnt(0)
	global_store_byte v2, v10, s[4:5]
	s_andn2_b32 exec_lo, exec_lo, s13
	s_cbranch_execz .LBB14_5
.LBB14_3:                               ; =>This Inner Loop Header: Depth=1
	v_mov_b32_e32 v3, v1
	v_mov_b32_e32 v2, v0
	s_andn2_b32 vcc_lo, exec_lo, s12
	s_cbranch_vccnz .LBB14_2
; %bb.4:                                ;   in Loop: Header=BB14_3 Depth=1
	v_mul_hi_u32 v10, v5, v0
	v_not_b32_e32 v8, v10
	v_mad_u64_u32 v[2:3], null, s14, v10, v[0:1]
	v_add_nc_u32_e32 v3, 1, v10
	v_mad_u64_u32 v[8:9], null, s17, v8, v[0:1]
	v_cmp_le_u32_e32 vcc_lo, s17, v2
	v_cndmask_b32_e32 v3, v10, v3, vcc_lo
	v_cndmask_b32_e32 v2, v2, v8, vcc_lo
	v_add_nc_u32_e32 v8, 1, v3
	v_cmp_le_u32_e32 vcc_lo, s17, v2
	v_cndmask_b32_e32 v8, v3, v8, vcc_lo
	v_mul_hi_u32 v2, v8, v7
	v_mul_lo_u32 v3, v2, s19
	v_add_nc_u32_e32 v9, 1, v2
	v_sub_nc_u32_e32 v3, v8, v3
	v_subrev_nc_u32_e32 v10, s19, v3
	v_cmp_le_u32_e32 vcc_lo, s19, v3
	v_cndmask_b32_e32 v2, v2, v9, vcc_lo
	v_cndmask_b32_e32 v3, v3, v10, vcc_lo
	v_add_nc_u32_e32 v9, 1, v2
	v_cmp_le_u32_e32 vcc_lo, s19, v3
	v_cndmask_b32_e32 v9, v2, v9, vcc_lo
	v_mad_u64_u32 v[2:3], null, s14, v8, v[0:1]
	v_mul_lo_u32 v10, v9, s19
	v_mul_lo_u32 v2, v2, s10
	v_sub_nc_u32_e32 v3, v8, v10
	v_mul_lo_u32 v8, v9, s8
	v_mul_lo_u32 v3, v3, s9
	v_add3_u32 v2, v2, v8, v3
	v_mov_b32_e32 v3, v1
	s_branch .LBB14_2
.LBB14_5:
	s_endpgm
	.section	.rodata,"a",@progbits
	.p2align	6, 0x0
	.amdhsa_kernel _ZN2at6native12_GLOBAL__N_119CatArrayBatchedCopyINS1_10OpaqueTypeILj1EEEjLi3ELi128ELi1EEEvPT_NS1_25CatArrInputTensorMetadataIS5_T0_XT2_EXT3_EEENS1_16TensorSizeStrideIS8_Lj4EEEiS8_
		.amdhsa_group_segment_fixed_size 0
		.amdhsa_private_segment_fixed_size 0
		.amdhsa_kernarg_size 3024
		.amdhsa_user_sgpr_count 6
		.amdhsa_user_sgpr_private_segment_buffer 1
		.amdhsa_user_sgpr_dispatch_ptr 0
		.amdhsa_user_sgpr_queue_ptr 0
		.amdhsa_user_sgpr_kernarg_segment_ptr 1
		.amdhsa_user_sgpr_dispatch_id 0
		.amdhsa_user_sgpr_flat_scratch_init 0
		.amdhsa_user_sgpr_private_segment_size 0
		.amdhsa_wavefront_size32 1
		.amdhsa_uses_dynamic_stack 0
		.amdhsa_system_sgpr_private_segment_wavefront_offset 0
		.amdhsa_system_sgpr_workgroup_id_x 1
		.amdhsa_system_sgpr_workgroup_id_y 1
		.amdhsa_system_sgpr_workgroup_id_z 0
		.amdhsa_system_sgpr_workgroup_info 0
		.amdhsa_system_vgpr_workitem_id 0
		.amdhsa_next_free_vgpr 12
		.amdhsa_next_free_sgpr 28
		.amdhsa_reserve_vcc 1
		.amdhsa_reserve_flat_scratch 0
		.amdhsa_float_round_mode_32 0
		.amdhsa_float_round_mode_16_64 0
		.amdhsa_float_denorm_mode_32 3
		.amdhsa_float_denorm_mode_16_64 3
		.amdhsa_dx10_clamp 1
		.amdhsa_ieee_mode 1
		.amdhsa_fp16_overflow 0
		.amdhsa_workgroup_processor_mode 1
		.amdhsa_memory_ordered 1
		.amdhsa_forward_progress 1
		.amdhsa_shared_vgpr_count 0
		.amdhsa_exception_fp_ieee_invalid_op 0
		.amdhsa_exception_fp_denorm_src 0
		.amdhsa_exception_fp_ieee_div_zero 0
		.amdhsa_exception_fp_ieee_overflow 0
		.amdhsa_exception_fp_ieee_underflow 0
		.amdhsa_exception_fp_ieee_inexact 0
		.amdhsa_exception_int_div_zero 0
	.end_amdhsa_kernel
	.section	.text._ZN2at6native12_GLOBAL__N_119CatArrayBatchedCopyINS1_10OpaqueTypeILj1EEEjLi3ELi128ELi1EEEvPT_NS1_25CatArrInputTensorMetadataIS5_T0_XT2_EXT3_EEENS1_16TensorSizeStrideIS8_Lj4EEEiS8_,"axG",@progbits,_ZN2at6native12_GLOBAL__N_119CatArrayBatchedCopyINS1_10OpaqueTypeILj1EEEjLi3ELi128ELi1EEEvPT_NS1_25CatArrInputTensorMetadataIS5_T0_XT2_EXT3_EEENS1_16TensorSizeStrideIS8_Lj4EEEiS8_,comdat
.Lfunc_end14:
	.size	_ZN2at6native12_GLOBAL__N_119CatArrayBatchedCopyINS1_10OpaqueTypeILj1EEEjLi3ELi128ELi1EEEvPT_NS1_25CatArrInputTensorMetadataIS5_T0_XT2_EXT3_EEENS1_16TensorSizeStrideIS8_Lj4EEEiS8_, .Lfunc_end14-_ZN2at6native12_GLOBAL__N_119CatArrayBatchedCopyINS1_10OpaqueTypeILj1EEEjLi3ELi128ELi1EEEvPT_NS1_25CatArrInputTensorMetadataIS5_T0_XT2_EXT3_EEENS1_16TensorSizeStrideIS8_Lj4EEEiS8_
                                        ; -- End function
	.set _ZN2at6native12_GLOBAL__N_119CatArrayBatchedCopyINS1_10OpaqueTypeILj1EEEjLi3ELi128ELi1EEEvPT_NS1_25CatArrInputTensorMetadataIS5_T0_XT2_EXT3_EEENS1_16TensorSizeStrideIS8_Lj4EEEiS8_.num_vgpr, 12
	.set _ZN2at6native12_GLOBAL__N_119CatArrayBatchedCopyINS1_10OpaqueTypeILj1EEEjLi3ELi128ELi1EEEvPT_NS1_25CatArrInputTensorMetadataIS5_T0_XT2_EXT3_EEENS1_16TensorSizeStrideIS8_Lj4EEEiS8_.num_agpr, 0
	.set _ZN2at6native12_GLOBAL__N_119CatArrayBatchedCopyINS1_10OpaqueTypeILj1EEEjLi3ELi128ELi1EEEvPT_NS1_25CatArrInputTensorMetadataIS5_T0_XT2_EXT3_EEENS1_16TensorSizeStrideIS8_Lj4EEEiS8_.numbered_sgpr, 28
	.set _ZN2at6native12_GLOBAL__N_119CatArrayBatchedCopyINS1_10OpaqueTypeILj1EEEjLi3ELi128ELi1EEEvPT_NS1_25CatArrInputTensorMetadataIS5_T0_XT2_EXT3_EEENS1_16TensorSizeStrideIS8_Lj4EEEiS8_.num_named_barrier, 0
	.set _ZN2at6native12_GLOBAL__N_119CatArrayBatchedCopyINS1_10OpaqueTypeILj1EEEjLi3ELi128ELi1EEEvPT_NS1_25CatArrInputTensorMetadataIS5_T0_XT2_EXT3_EEENS1_16TensorSizeStrideIS8_Lj4EEEiS8_.private_seg_size, 0
	.set _ZN2at6native12_GLOBAL__N_119CatArrayBatchedCopyINS1_10OpaqueTypeILj1EEEjLi3ELi128ELi1EEEvPT_NS1_25CatArrInputTensorMetadataIS5_T0_XT2_EXT3_EEENS1_16TensorSizeStrideIS8_Lj4EEEiS8_.uses_vcc, 1
	.set _ZN2at6native12_GLOBAL__N_119CatArrayBatchedCopyINS1_10OpaqueTypeILj1EEEjLi3ELi128ELi1EEEvPT_NS1_25CatArrInputTensorMetadataIS5_T0_XT2_EXT3_EEENS1_16TensorSizeStrideIS8_Lj4EEEiS8_.uses_flat_scratch, 0
	.set _ZN2at6native12_GLOBAL__N_119CatArrayBatchedCopyINS1_10OpaqueTypeILj1EEEjLi3ELi128ELi1EEEvPT_NS1_25CatArrInputTensorMetadataIS5_T0_XT2_EXT3_EEENS1_16TensorSizeStrideIS8_Lj4EEEiS8_.has_dyn_sized_stack, 0
	.set _ZN2at6native12_GLOBAL__N_119CatArrayBatchedCopyINS1_10OpaqueTypeILj1EEEjLi3ELi128ELi1EEEvPT_NS1_25CatArrInputTensorMetadataIS5_T0_XT2_EXT3_EEENS1_16TensorSizeStrideIS8_Lj4EEEiS8_.has_recursion, 0
	.set _ZN2at6native12_GLOBAL__N_119CatArrayBatchedCopyINS1_10OpaqueTypeILj1EEEjLi3ELi128ELi1EEEvPT_NS1_25CatArrInputTensorMetadataIS5_T0_XT2_EXT3_EEENS1_16TensorSizeStrideIS8_Lj4EEEiS8_.has_indirect_call, 0
	.section	.AMDGPU.csdata,"",@progbits
; Kernel info:
; codeLenInByte = 884
; TotalNumSgprs: 30
; NumVgprs: 12
; ScratchSize: 0
; MemoryBound: 0
; FloatMode: 240
; IeeeMode: 1
; LDSByteSize: 0 bytes/workgroup (compile time only)
; SGPRBlocks: 0
; VGPRBlocks: 1
; NumSGPRsForWavesPerEU: 30
; NumVGPRsForWavesPerEU: 12
; Occupancy: 16
; WaveLimiterHint : 1
; COMPUTE_PGM_RSRC2:SCRATCH_EN: 0
; COMPUTE_PGM_RSRC2:USER_SGPR: 6
; COMPUTE_PGM_RSRC2:TRAP_HANDLER: 0
; COMPUTE_PGM_RSRC2:TGID_X_EN: 1
; COMPUTE_PGM_RSRC2:TGID_Y_EN: 1
; COMPUTE_PGM_RSRC2:TGID_Z_EN: 0
; COMPUTE_PGM_RSRC2:TIDIG_COMP_CNT: 0
	.section	.text._ZN2at6native12_GLOBAL__N_130CatArrayBatchedCopy_vectorizedINS1_10OpaqueTypeILj1EEEjLi4ELi128ELi1ELi16ELi16EEEvPcNS1_25CatArrInputTensorMetadataIT_T0_XT2_EXT3_EEENS1_16TensorSizeStrideIS8_Lj4EEEiS8_,"axG",@progbits,_ZN2at6native12_GLOBAL__N_130CatArrayBatchedCopy_vectorizedINS1_10OpaqueTypeILj1EEEjLi4ELi128ELi1ELi16ELi16EEEvPcNS1_25CatArrInputTensorMetadataIT_T0_XT2_EXT3_EEENS1_16TensorSizeStrideIS8_Lj4EEEiS8_,comdat
	.globl	_ZN2at6native12_GLOBAL__N_130CatArrayBatchedCopy_vectorizedINS1_10OpaqueTypeILj1EEEjLi4ELi128ELi1ELi16ELi16EEEvPcNS1_25CatArrInputTensorMetadataIT_T0_XT2_EXT3_EEENS1_16TensorSizeStrideIS8_Lj4EEEiS8_ ; -- Begin function _ZN2at6native12_GLOBAL__N_130CatArrayBatchedCopy_vectorizedINS1_10OpaqueTypeILj1EEEjLi4ELi128ELi1ELi16ELi16EEEvPcNS1_25CatArrInputTensorMetadataIT_T0_XT2_EXT3_EEENS1_16TensorSizeStrideIS8_Lj4EEEiS8_
	.p2align	8
	.type	_ZN2at6native12_GLOBAL__N_130CatArrayBatchedCopy_vectorizedINS1_10OpaqueTypeILj1EEEjLi4ELi128ELi1ELi16ELi16EEEvPcNS1_25CatArrInputTensorMetadataIT_T0_XT2_EXT3_EEENS1_16TensorSizeStrideIS8_Lj4EEEiS8_,@function
_ZN2at6native12_GLOBAL__N_130CatArrayBatchedCopy_vectorizedINS1_10OpaqueTypeILj1EEEjLi4ELi128ELi1ELi16ELi16EEEvPcNS1_25CatArrInputTensorMetadataIT_T0_XT2_EXT3_EEENS1_16TensorSizeStrideIS8_Lj4EEEiS8_: ; @_ZN2at6native12_GLOBAL__N_130CatArrayBatchedCopy_vectorizedINS1_10OpaqueTypeILj1EEEjLi4ELi128ELi1ELi16ELi16EEEvPcNS1_25CatArrInputTensorMetadataIT_T0_XT2_EXT3_EEENS1_16TensorSizeStrideIS8_Lj4EEEiS8_
; %bb.0:
	s_mov_b32 s0, s7
	s_load_dword s7, s[4:5], 0xadc
	s_mov_b32 s1, 0
	s_add_u32 s2, s4, 0xad0
	s_addc_u32 s3, s5, 0
	s_lshl_b64 s[8:9], s[0:1], 2
	s_waitcnt lgkmcnt(0)
	s_and_b32 s0, s7, 0xffff
	s_add_u32 s10, s4, s8
	s_addc_u32 s11, s5, s9
	v_mad_u64_u32 v[0:1], null, s6, s0, v[0:1]
	s_load_dword s12, s[10:11], 0x808
	s_add_u32 s6, s10, 8
	s_addc_u32 s7, s11, 0
	s_mov_b32 s11, exec_lo
	s_waitcnt lgkmcnt(0)
	s_lshr_b32 s10, s12, 4
	v_cmpx_gt_u32_e64 s10, v0
	s_cbranch_execz .LBB15_3
; %bb.1:
	s_add_u32 s16, s6, s8
	s_addc_u32 s17, s7, s9
	s_sub_u32 s6, 0, s8
	s_subb_u32 s7, 0, s9
	s_add_u32 s6, s16, s6
	s_addc_u32 s7, s17, s7
	s_clause 0x3
	s_load_dwordx2 s[18:19], s[4:5], 0xac8
	s_load_dword s8, s[6:7], 0x400
	s_load_dword s6, s[6:7], 0x600
	s_load_dwordx4 s[12:15], s[4:5], 0xaac
	s_waitcnt lgkmcnt(0)
	s_mul_i32 s8, s8, s19
	s_mul_i32 s6, s6, s19
	s_and_b32 s19, s8, -16
	s_lshr_b32 s6, s6, 4
	s_cmp_eq_u32 s18, 3
	s_cselect_b32 s8, s6, s14
	s_cmp_eq_u32 s18, 2
	v_cvt_f32_u32_e32 v1, s8
	s_cselect_b32 s9, s6, s13
	s_cmp_eq_u32 s18, 1
	v_cvt_f32_u32_e32 v2, s9
	s_cselect_b32 s11, s6, s12
	s_load_dwordx2 s[14:15], s[4:5], 0x0
	v_cvt_f32_u32_e32 v3, s11
	v_rcp_iflag_f32_e32 v1, v1
	v_rcp_iflag_f32_e32 v2, v2
	s_load_dword s18, s[2:3], 0x0
	s_load_dwordx4 s[4:7], s[4:5], 0xab8
	v_rcp_iflag_f32_e32 v3, v3
	v_mul_f32_e32 v1, 0x4f7ffffe, v1
	v_mul_f32_e32 v2, 0x4f7ffffe, v2
	;; [unrolled: 1-line block ×3, first 2 shown]
	v_cvt_u32_f32_e32 v1, v1
	v_cvt_u32_f32_e32 v4, v2
	s_waitcnt lgkmcnt(0)
	s_add_u32 s12, s14, s19
	v_cvt_u32_f32_e32 v5, v3
	s_addc_u32 s13, s15, 0
	s_sub_i32 s14, 0, s8
	s_sub_i32 s2, 0, s9
	;; [unrolled: 1-line block ×3, first 2 shown]
	v_mul_lo_u32 v2, s14, v1
	v_mul_lo_u32 v3, s2, v4
	;; [unrolled: 1-line block ×3, first 2 shown]
	s_load_dwordx2 s[2:3], s[16:17], 0x0
	s_mul_i32 s15, s18, s0
	v_mul_hi_u32 v2, v1, v2
	v_mul_hi_u32 v3, v4, v3
	;; [unrolled: 1-line block ×3, first 2 shown]
	v_add_nc_u32_e32 v2, v1, v2
	v_mov_b32_e32 v1, 0
	v_add_nc_u32_e32 v3, v4, v3
	v_add_nc_u32_e32 v4, v5, v6
.LBB15_2:                               ; =>This Inner Loop Header: Depth=1
	v_lshlrev_b64 v[5:6], 4, v[0:1]
	v_mul_hi_u32 v11, v2, v0
	s_waitcnt lgkmcnt(0)
	v_add_co_u32 v5, vcc_lo, s2, v5
	v_add_co_ci_u32_e64 v6, null, s3, v6, vcc_lo
	v_mul_lo_u32 v12, s8, v11
	v_not_b32_e32 v9, v11
	v_add_nc_u32_e32 v13, 1, v11
	global_load_dwordx4 v[5:8], v[5:6], off
	v_mad_u64_u32 v[9:10], null, s8, v9, v[0:1]
	v_sub_nc_u32_e32 v10, v0, v12
	v_cmp_le_u32_e32 vcc_lo, s8, v10
	v_cndmask_b32_e32 v11, v11, v13, vcc_lo
	v_cndmask_b32_e32 v9, v10, v9, vcc_lo
	v_add_nc_u32_e32 v10, 1, v11
	v_cmp_le_u32_e32 vcc_lo, s8, v9
	v_cndmask_b32_e32 v11, v11, v10, vcc_lo
	v_mul_hi_u32 v12, v11, v3
	v_mad_u64_u32 v[9:10], null, s14, v11, v[0:1]
	v_add_nc_u32_e32 v0, s15, v0
	v_mul_lo_u32 v10, v12, s9
	v_add_nc_u32_e32 v13, 1, v12
	v_mul_lo_u32 v9, v9, s7
	v_sub_nc_u32_e32 v10, v11, v10
	v_subrev_nc_u32_e32 v14, s9, v10
	v_cmp_le_u32_e32 vcc_lo, s9, v10
	v_cndmask_b32_e32 v12, v12, v13, vcc_lo
	v_cndmask_b32_e32 v10, v10, v14, vcc_lo
	v_add_nc_u32_e32 v13, 1, v12
	v_cmp_le_u32_e32 vcc_lo, s9, v10
	v_cndmask_b32_e32 v10, v12, v13, vcc_lo
	v_mul_hi_u32 v12, v10, v4
	v_mul_lo_u32 v13, v12, s11
	v_add_nc_u32_e32 v14, 1, v12
	v_sub_nc_u32_e32 v13, v10, v13
	v_subrev_nc_u32_e32 v15, s11, v13
	v_cmp_le_u32_e32 vcc_lo, s11, v13
	v_cndmask_b32_e32 v12, v12, v14, vcc_lo
	v_cndmask_b32_e32 v13, v13, v15, vcc_lo
	v_add_nc_u32_e32 v14, 1, v12
	v_cmp_le_u32_e32 vcc_lo, s11, v13
	v_mul_lo_u32 v13, v10, s9
	v_cndmask_b32_e32 v12, v12, v14, vcc_lo
	v_cmp_le_u32_e32 vcc_lo, s10, v0
	v_sub_nc_u32_e32 v11, v11, v13
	v_mul_lo_u32 v14, v12, s11
	s_or_b32 s1, vcc_lo, s1
	v_mul_lo_u32 v11, v11, s6
	v_sub_nc_u32_e32 v13, v10, v14
	v_mad_u64_u32 v[9:10], null, v12, s4, v[9:10]
	v_mov_b32_e32 v10, v1
	v_mul_lo_u32 v12, v13, s5
	v_add3_u32 v9, v9, v11, v12
	v_lshlrev_b64 v[9:10], 4, v[9:10]
	v_add_co_u32 v9, s0, s12, v9
	v_add_co_ci_u32_e64 v10, null, s13, v10, s0
	s_waitcnt vmcnt(0)
	global_store_dwordx4 v[9:10], v[5:8], off
	s_andn2_b32 exec_lo, exec_lo, s1
	s_cbranch_execnz .LBB15_2
.LBB15_3:
	s_endpgm
	.section	.rodata,"a",@progbits
	.p2align	6, 0x0
	.amdhsa_kernel _ZN2at6native12_GLOBAL__N_130CatArrayBatchedCopy_vectorizedINS1_10OpaqueTypeILj1EEEjLi4ELi128ELi1ELi16ELi16EEEvPcNS1_25CatArrInputTensorMetadataIT_T0_XT2_EXT3_EEENS1_16TensorSizeStrideIS8_Lj4EEEiS8_
		.amdhsa_group_segment_fixed_size 0
		.amdhsa_private_segment_fixed_size 0
		.amdhsa_kernarg_size 3024
		.amdhsa_user_sgpr_count 6
		.amdhsa_user_sgpr_private_segment_buffer 1
		.amdhsa_user_sgpr_dispatch_ptr 0
		.amdhsa_user_sgpr_queue_ptr 0
		.amdhsa_user_sgpr_kernarg_segment_ptr 1
		.amdhsa_user_sgpr_dispatch_id 0
		.amdhsa_user_sgpr_flat_scratch_init 0
		.amdhsa_user_sgpr_private_segment_size 0
		.amdhsa_wavefront_size32 1
		.amdhsa_uses_dynamic_stack 0
		.amdhsa_system_sgpr_private_segment_wavefront_offset 0
		.amdhsa_system_sgpr_workgroup_id_x 1
		.amdhsa_system_sgpr_workgroup_id_y 1
		.amdhsa_system_sgpr_workgroup_id_z 0
		.amdhsa_system_sgpr_workgroup_info 0
		.amdhsa_system_vgpr_workitem_id 0
		.amdhsa_next_free_vgpr 16
		.amdhsa_next_free_sgpr 20
		.amdhsa_reserve_vcc 1
		.amdhsa_reserve_flat_scratch 0
		.amdhsa_float_round_mode_32 0
		.amdhsa_float_round_mode_16_64 0
		.amdhsa_float_denorm_mode_32 3
		.amdhsa_float_denorm_mode_16_64 3
		.amdhsa_dx10_clamp 1
		.amdhsa_ieee_mode 1
		.amdhsa_fp16_overflow 0
		.amdhsa_workgroup_processor_mode 1
		.amdhsa_memory_ordered 1
		.amdhsa_forward_progress 1
		.amdhsa_shared_vgpr_count 0
		.amdhsa_exception_fp_ieee_invalid_op 0
		.amdhsa_exception_fp_denorm_src 0
		.amdhsa_exception_fp_ieee_div_zero 0
		.amdhsa_exception_fp_ieee_overflow 0
		.amdhsa_exception_fp_ieee_underflow 0
		.amdhsa_exception_fp_ieee_inexact 0
		.amdhsa_exception_int_div_zero 0
	.end_amdhsa_kernel
	.section	.text._ZN2at6native12_GLOBAL__N_130CatArrayBatchedCopy_vectorizedINS1_10OpaqueTypeILj1EEEjLi4ELi128ELi1ELi16ELi16EEEvPcNS1_25CatArrInputTensorMetadataIT_T0_XT2_EXT3_EEENS1_16TensorSizeStrideIS8_Lj4EEEiS8_,"axG",@progbits,_ZN2at6native12_GLOBAL__N_130CatArrayBatchedCopy_vectorizedINS1_10OpaqueTypeILj1EEEjLi4ELi128ELi1ELi16ELi16EEEvPcNS1_25CatArrInputTensorMetadataIT_T0_XT2_EXT3_EEENS1_16TensorSizeStrideIS8_Lj4EEEiS8_,comdat
.Lfunc_end15:
	.size	_ZN2at6native12_GLOBAL__N_130CatArrayBatchedCopy_vectorizedINS1_10OpaqueTypeILj1EEEjLi4ELi128ELi1ELi16ELi16EEEvPcNS1_25CatArrInputTensorMetadataIT_T0_XT2_EXT3_EEENS1_16TensorSizeStrideIS8_Lj4EEEiS8_, .Lfunc_end15-_ZN2at6native12_GLOBAL__N_130CatArrayBatchedCopy_vectorizedINS1_10OpaqueTypeILj1EEEjLi4ELi128ELi1ELi16ELi16EEEvPcNS1_25CatArrInputTensorMetadataIT_T0_XT2_EXT3_EEENS1_16TensorSizeStrideIS8_Lj4EEEiS8_
                                        ; -- End function
	.set _ZN2at6native12_GLOBAL__N_130CatArrayBatchedCopy_vectorizedINS1_10OpaqueTypeILj1EEEjLi4ELi128ELi1ELi16ELi16EEEvPcNS1_25CatArrInputTensorMetadataIT_T0_XT2_EXT3_EEENS1_16TensorSizeStrideIS8_Lj4EEEiS8_.num_vgpr, 16
	.set _ZN2at6native12_GLOBAL__N_130CatArrayBatchedCopy_vectorizedINS1_10OpaqueTypeILj1EEEjLi4ELi128ELi1ELi16ELi16EEEvPcNS1_25CatArrInputTensorMetadataIT_T0_XT2_EXT3_EEENS1_16TensorSizeStrideIS8_Lj4EEEiS8_.num_agpr, 0
	.set _ZN2at6native12_GLOBAL__N_130CatArrayBatchedCopy_vectorizedINS1_10OpaqueTypeILj1EEEjLi4ELi128ELi1ELi16ELi16EEEvPcNS1_25CatArrInputTensorMetadataIT_T0_XT2_EXT3_EEENS1_16TensorSizeStrideIS8_Lj4EEEiS8_.numbered_sgpr, 20
	.set _ZN2at6native12_GLOBAL__N_130CatArrayBatchedCopy_vectorizedINS1_10OpaqueTypeILj1EEEjLi4ELi128ELi1ELi16ELi16EEEvPcNS1_25CatArrInputTensorMetadataIT_T0_XT2_EXT3_EEENS1_16TensorSizeStrideIS8_Lj4EEEiS8_.num_named_barrier, 0
	.set _ZN2at6native12_GLOBAL__N_130CatArrayBatchedCopy_vectorizedINS1_10OpaqueTypeILj1EEEjLi4ELi128ELi1ELi16ELi16EEEvPcNS1_25CatArrInputTensorMetadataIT_T0_XT2_EXT3_EEENS1_16TensorSizeStrideIS8_Lj4EEEiS8_.private_seg_size, 0
	.set _ZN2at6native12_GLOBAL__N_130CatArrayBatchedCopy_vectorizedINS1_10OpaqueTypeILj1EEEjLi4ELi128ELi1ELi16ELi16EEEvPcNS1_25CatArrInputTensorMetadataIT_T0_XT2_EXT3_EEENS1_16TensorSizeStrideIS8_Lj4EEEiS8_.uses_vcc, 1
	.set _ZN2at6native12_GLOBAL__N_130CatArrayBatchedCopy_vectorizedINS1_10OpaqueTypeILj1EEEjLi4ELi128ELi1ELi16ELi16EEEvPcNS1_25CatArrInputTensorMetadataIT_T0_XT2_EXT3_EEENS1_16TensorSizeStrideIS8_Lj4EEEiS8_.uses_flat_scratch, 0
	.set _ZN2at6native12_GLOBAL__N_130CatArrayBatchedCopy_vectorizedINS1_10OpaqueTypeILj1EEEjLi4ELi128ELi1ELi16ELi16EEEvPcNS1_25CatArrInputTensorMetadataIT_T0_XT2_EXT3_EEENS1_16TensorSizeStrideIS8_Lj4EEEiS8_.has_dyn_sized_stack, 0
	.set _ZN2at6native12_GLOBAL__N_130CatArrayBatchedCopy_vectorizedINS1_10OpaqueTypeILj1EEEjLi4ELi128ELi1ELi16ELi16EEEvPcNS1_25CatArrInputTensorMetadataIT_T0_XT2_EXT3_EEENS1_16TensorSizeStrideIS8_Lj4EEEiS8_.has_recursion, 0
	.set _ZN2at6native12_GLOBAL__N_130CatArrayBatchedCopy_vectorizedINS1_10OpaqueTypeILj1EEEjLi4ELi128ELi1ELi16ELi16EEEvPcNS1_25CatArrInputTensorMetadataIT_T0_XT2_EXT3_EEENS1_16TensorSizeStrideIS8_Lj4EEEiS8_.has_indirect_call, 0
	.section	.AMDGPU.csdata,"",@progbits
; Kernel info:
; codeLenInByte = 724
; TotalNumSgprs: 22
; NumVgprs: 16
; ScratchSize: 0
; MemoryBound: 0
; FloatMode: 240
; IeeeMode: 1
; LDSByteSize: 0 bytes/workgroup (compile time only)
; SGPRBlocks: 0
; VGPRBlocks: 1
; NumSGPRsForWavesPerEU: 22
; NumVGPRsForWavesPerEU: 16
; Occupancy: 16
; WaveLimiterHint : 1
; COMPUTE_PGM_RSRC2:SCRATCH_EN: 0
; COMPUTE_PGM_RSRC2:USER_SGPR: 6
; COMPUTE_PGM_RSRC2:TRAP_HANDLER: 0
; COMPUTE_PGM_RSRC2:TGID_X_EN: 1
; COMPUTE_PGM_RSRC2:TGID_Y_EN: 1
; COMPUTE_PGM_RSRC2:TGID_Z_EN: 0
; COMPUTE_PGM_RSRC2:TIDIG_COMP_CNT: 0
	.section	.text._ZN2at6native12_GLOBAL__N_135CatArrayBatchedCopy_alignedK_contigINS1_10OpaqueTypeILj1EEEjLi4ELi128ELi1ELi16EEEvPT_NS1_25CatArrInputTensorMetadataIS5_T0_XT2_EXT3_EEENS1_16TensorSizeStrideIS8_Lj4EEEiS8_,"axG",@progbits,_ZN2at6native12_GLOBAL__N_135CatArrayBatchedCopy_alignedK_contigINS1_10OpaqueTypeILj1EEEjLi4ELi128ELi1ELi16EEEvPT_NS1_25CatArrInputTensorMetadataIS5_T0_XT2_EXT3_EEENS1_16TensorSizeStrideIS8_Lj4EEEiS8_,comdat
	.globl	_ZN2at6native12_GLOBAL__N_135CatArrayBatchedCopy_alignedK_contigINS1_10OpaqueTypeILj1EEEjLi4ELi128ELi1ELi16EEEvPT_NS1_25CatArrInputTensorMetadataIS5_T0_XT2_EXT3_EEENS1_16TensorSizeStrideIS8_Lj4EEEiS8_ ; -- Begin function _ZN2at6native12_GLOBAL__N_135CatArrayBatchedCopy_alignedK_contigINS1_10OpaqueTypeILj1EEEjLi4ELi128ELi1ELi16EEEvPT_NS1_25CatArrInputTensorMetadataIS5_T0_XT2_EXT3_EEENS1_16TensorSizeStrideIS8_Lj4EEEiS8_
	.p2align	8
	.type	_ZN2at6native12_GLOBAL__N_135CatArrayBatchedCopy_alignedK_contigINS1_10OpaqueTypeILj1EEEjLi4ELi128ELi1ELi16EEEvPT_NS1_25CatArrInputTensorMetadataIS5_T0_XT2_EXT3_EEENS1_16TensorSizeStrideIS8_Lj4EEEiS8_,@function
_ZN2at6native12_GLOBAL__N_135CatArrayBatchedCopy_alignedK_contigINS1_10OpaqueTypeILj1EEEjLi4ELi128ELi1ELi16EEEvPT_NS1_25CatArrInputTensorMetadataIS5_T0_XT2_EXT3_EEENS1_16TensorSizeStrideIS8_Lj4EEEiS8_: ; @_ZN2at6native12_GLOBAL__N_135CatArrayBatchedCopy_alignedK_contigINS1_10OpaqueTypeILj1EEEjLi4ELi128ELi1ELi16EEEvPT_NS1_25CatArrInputTensorMetadataIS5_T0_XT2_EXT3_EEENS1_16TensorSizeStrideIS8_Lj4EEEiS8_
; %bb.0:
	s_mov_b32 s2, s7
	s_load_dword s7, s[4:5], 0xadc
	s_mov_b32 s3, 0
	s_add_u32 s0, s4, 0xad0
	s_addc_u32 s1, s5, 0
	s_lshl_b64 s[16:17], s[2:3], 2
	s_waitcnt lgkmcnt(0)
	s_and_b32 s7, s7, 0xffff
	s_add_u32 s2, s4, s16
	s_addc_u32 s3, s5, s17
	s_mul_i32 s6, s6, s7
	s_load_dword s18, s[2:3], 0x808
	v_add_lshl_u32 v16, s6, v0, 4
	s_add_u32 s6, s2, 8
	s_addc_u32 s19, s3, 0
	s_mov_b32 s2, exec_lo
	s_waitcnt lgkmcnt(0)
	v_cmpx_gt_u32_e64 s18, v16
	s_cbranch_execz .LBB16_10
; %bb.1:
	s_add_u32 s20, s6, s16
	s_addc_u32 s21, s19, s17
	s_sub_u32 s6, 0, s16
	s_subb_u32 s17, 0, s17
	s_add_u32 s16, s20, s6
	s_addc_u32 s17, s21, s17
	s_clause 0x5
	s_load_dwordx2 s[2:3], s[4:5], 0x0
	s_load_dwordx8 s[8:15], s[4:5], 0xaac
	s_load_dword s6, s[4:5], 0xacc
	s_load_dword s19, s[16:17], 0x400
	s_load_dwordx2 s[4:5], s[20:21], 0x0
	s_load_dword s17, s[16:17], 0x600
	v_add_nc_u32_e32 v0, 16, v16
	s_waitcnt lgkmcnt(0)
	s_mul_i32 s16, s19, s6
	s_mov_b32 s19, exec_lo
	v_cmpx_ge_u32_e64 s18, v0
	s_cbranch_execz .LBB16_7
; %bb.2:
	s_load_dword s0, s[0:1], 0x0
	v_mov_b32_e32 v17, 0
	v_add_nc_u32_e32 v18, 1, v16
	s_mov_b32 s24, 0
	v_mov_b32_e32 v3, v17
	v_mov_b32_e32 v8, v17
	;; [unrolled: 1-line block ×5, first 2 shown]
	s_waitcnt lgkmcnt(0)
	s_mul_i32 s0, s0, s7
	s_lshl_b32 s1, s0, 4
	s_cmp_eq_u32 s15, 3
	s_cselect_b32 s20, s17, s10
	s_cmp_eq_u32 s15, 2
	v_cvt_f32_u32_e32 v0, s20
	s_cselect_b32 s21, s17, s9
	s_cmp_eq_u32 s15, 1
	v_cvt_f32_u32_e32 v1, s21
	s_cselect_b32 s22, s17, s8
	v_rcp_iflag_f32_e32 v4, v0
	v_cvt_f32_u32_e32 v2, s22
	s_sub_i32 s23, 0, s20
	v_rcp_iflag_f32_e32 v5, v1
	s_sub_i32 s0, 0, s21
	s_sub_i32 s6, 0, s22
	v_rcp_iflag_f32_e32 v6, v2
	v_mov_b32_e32 v0, v17
	v_mov_b32_e32 v1, v17
	;; [unrolled: 1-line block ×3, first 2 shown]
	v_mul_f32_e32 v7, 0x4f7ffffe, v4
	v_mov_b32_e32 v4, v17
	v_mul_f32_e32 v5, 0x4f7ffffe, v5
	v_cvt_u32_f32_e32 v15, v7
	v_mul_f32_e32 v6, 0x4f7ffffe, v6
	v_mov_b32_e32 v7, v17
	v_cvt_u32_f32_e32 v20, v5
	v_mov_b32_e32 v5, v17
	v_mul_lo_u32 v10, s23, v15
	v_cvt_u32_f32_e32 v21, v6
	v_mov_b32_e32 v6, v17
	v_mul_lo_u32 v11, s0, v20
	v_mul_lo_u32 v12, s6, v21
	v_mul_hi_u32 v19, v15, v10
	v_mov_b32_e32 v10, v17
	v_mul_hi_u32 v22, v20, v11
	v_mov_b32_e32 v11, v17
	v_mul_hi_u32 v23, v21, v12
	v_mov_b32_e32 v12, v17
	v_add_nc_u32_e32 v19, v15, v19
	v_mov_b32_e32 v15, v17
	v_add_nc_u32_e32 v20, v20, v22
	v_add_nc_u32_e32 v21, v21, v23
.LBB16_3:                               ; =>This Loop Header: Depth=1
                                        ;     Child Loop BB16_4 Depth 2
	v_mov_b32_e32 v22, v16
	v_mov_b32_e32 v23, v18
	s_mov_b64 s[6:7], 0
.LBB16_4:                               ;   Parent Loop BB16_3 Depth=1
                                        ; =>  This Inner Loop Header: Depth=2
	v_mul_hi_u32 v25, v19, v22
	v_mul_hi_u32 v27, v19, v23
	v_add_nc_u32_e32 v24, s6, v16
	s_mov_b32 m0, s6
	v_add_nc_u32_e32 v23, 2, v23
	v_add_nc_u32_e32 v22, 2, v22
	v_mul_hi_u32 v28, v24, v19
	v_not_b32_e32 v31, v25
	v_mad_u64_u32 v[25:26], null, s23, v25, v[24:25]
	v_mul_lo_u32 v30, s20, v27
	v_add_nc_u32_e32 v29, 1, v24
	v_not_b32_e32 v32, v27
	v_add_nc_u32_e32 v33, 1, v28
	v_mad_u64_u32 v[26:27], null, s20, v31, v[24:25]
	v_sub_nc_u32_e32 v30, v18, v30
	v_cmp_le_u32_e32 vcc_lo, s20, v25
	v_mul_hi_u32 v29, v29, v19
	v_mul_lo_u32 v27, s20, v32
	v_add_nc_u32_e32 v30, s6, v30
	v_cndmask_b32_e32 v28, v28, v33, vcc_lo
	v_cndmask_b32_e32 v25, v25, v26, vcc_lo
	v_add_nc_u32_e32 v31, 1, v29
	v_add3_u32 v26, v18, v27, s6
	v_add_nc_u32_e32 v27, 1, v28
	v_cmp_le_u32_e32 vcc_lo, s20, v30
	v_cmp_le_u32_e64 s0, s20, v25
	v_cndmask_b32_e32 v29, v29, v31, vcc_lo
	v_cndmask_b32_e64 v28, v28, v27, s0
	v_cndmask_b32_e32 v27, v30, v26, vcc_lo
	v_add_nc_u32_e32 v30, 1, v29
	v_mul_hi_u32 v31, v28, v20
	v_cmp_le_u32_e32 vcc_lo, s20, v27
	v_mad_u64_u32 v[25:26], null, s23, v28, v[24:25]
	v_cndmask_b32_e32 v29, v29, v30, vcc_lo
	v_mul_lo_u32 v30, v31, s21
	v_mul_hi_u32 v32, v29, v20
	v_mad_u64_u32 v[26:27], null, s23, v29, v[24:25]
	v_mul_lo_u32 v24, v25, s14
	v_add_nc_u32_e32 v27, 1, v31
	v_sub_nc_u32_e32 v25, v28, v30
	v_mul_lo_u32 v30, v32, s21
	v_add_nc_u32_e32 v33, 1, v32
	v_subrev_nc_u32_e32 v34, s21, v25
	v_cmp_le_u32_e32 vcc_lo, s21, v25
	v_mul_lo_u32 v26, s14, v26
	v_sub_nc_u32_e32 v30, v29, v30
	v_cndmask_b32_e32 v27, v31, v27, vcc_lo
	v_cndmask_b32_e32 v25, v25, v34, vcc_lo
	v_cmp_le_u32_e32 vcc_lo, s21, v30
	v_add_nc_u32_e32 v31, 1, v27
	v_cmp_le_u32_e64 s0, s21, v25
	v_cndmask_b32_e32 v32, v32, v33, vcc_lo
	v_subrev_nc_u32_e32 v33, s21, v30
	v_cndmask_b32_e64 v25, v27, v31, s0
	v_cndmask_b32_e32 v27, v30, v33, vcc_lo
	v_add_nc_u32_e32 v30, 1, v32
	v_mul_hi_u32 v31, v25, v21
	v_mul_lo_u32 v33, v25, s21
	v_cmp_le_u32_e32 vcc_lo, s21, v27
	v_cndmask_b32_e32 v27, v32, v30, vcc_lo
	v_mul_lo_u32 v30, v31, s22
	v_add_nc_u32_e32 v34, 1, v31
	v_sub_nc_u32_e32 v28, v28, v33
	v_mul_hi_u32 v32, v27, v21
	v_mul_lo_u32 v35, v27, s21
	v_mul_lo_u32 v28, v28, s13
	v_sub_nc_u32_e32 v30, v25, v30
	v_mul_lo_u32 v36, v32, s22
	v_subrev_nc_u32_e32 v38, s22, v30
	v_cmp_le_u32_e32 vcc_lo, s22, v30
	v_add_nc_u32_e32 v37, 1, v32
	v_sub_nc_u32_e32 v29, v29, v35
	v_cndmask_b32_e32 v31, v31, v34, vcc_lo
	v_sub_nc_u32_e32 v34, v27, v36
	v_cndmask_b32_e32 v30, v30, v38, vcc_lo
	v_mul_lo_u32 v29, v29, s13
	v_add_nc_u32_e32 v36, 1, v31
	v_subrev_nc_u32_e32 v38, s22, v34
	v_cmp_le_u32_e32 vcc_lo, s22, v34
	v_cmp_le_u32_e64 s0, s22, v30
	v_cndmask_b32_e32 v32, v32, v37, vcc_lo
	v_cndmask_b32_e64 v30, v31, v36, s0
	v_cndmask_b32_e32 v31, v34, v38, vcc_lo
	v_add_nc_u32_e32 v34, 1, v32
	v_mul_lo_u32 v36, v30, s22
	v_cmp_le_u32_e32 vcc_lo, s22, v31
	v_cndmask_b32_e32 v31, v32, v34, vcc_lo
	v_sub_nc_u32_e32 v33, v25, v36
	v_mad_u64_u32 v[24:25], null, v30, s11, v[24:25]
	v_mul_lo_u32 v32, v31, s22
	v_mul_lo_u32 v25, v31, s11
	;; [unrolled: 1-line block ×3, first 2 shown]
	v_sub_nc_u32_e32 v27, v27, v32
	v_add3_u32 v25, v26, s14, v25
	v_add3_u32 v24, v24, v28, v30
	v_mul_lo_u32 v27, v27, s12
	v_movreld_b32_e32 v0, v24
	s_add_i32 m0, s6, 1
	s_add_u32 s6, s6, 2
	s_addc_u32 s7, s7, 0
	s_cmp_eq_u32 s6, 16
	v_add3_u32 v24, v25, v29, v27
	v_movreld_b32_e32 v0, v24
	s_cbranch_scc0 .LBB16_4
; %bb.5:                                ;   in Loop: Header=BB16_3 Depth=1
	global_load_dwordx4 v[22:25], v16, s[4:5]
	v_add_co_u32 v16, vcc_lo, v16, s1
	v_add_co_ci_u32_e64 v17, null, 0, v17, vcc_lo
	v_add_nc_u32_e32 v26, s16, v0
	v_add_nc_u32_e32 v35, 16, v16
	;; [unrolled: 1-line block ×6, first 2 shown]
	v_cmp_lt_u32_e32 vcc_lo, s18, v35
	v_add_nc_u32_e32 v30, s16, v4
	v_add_nc_u32_e32 v31, s16, v5
	;; [unrolled: 1-line block ×4, first 2 shown]
	s_or_b32 s24, vcc_lo, s24
	v_add_nc_u32_e32 v34, s16, v8
	v_add_nc_u32_e32 v36, s16, v9
	;; [unrolled: 1-line block ×8, first 2 shown]
	s_waitcnt vmcnt(0)
	v_lshrrev_b32_e32 v42, 8, v22
	v_lshrrev_b32_e32 v43, 24, v22
	;; [unrolled: 1-line block ×8, first 2 shown]
	global_store_byte v26, v22, s[2:3]
	global_store_byte v27, v42, s[2:3]
	global_store_byte_d16_hi v28, v22, s[2:3]
	global_store_byte v29, v43, s[2:3]
	global_store_byte v30, v23, s[2:3]
	global_store_byte v31, v44, s[2:3]
	global_store_byte_d16_hi v32, v23, s[2:3]
	global_store_byte v33, v45, s[2:3]
	;; [unrolled: 4-line block ×4, first 2 shown]
	s_andn2_b32 exec_lo, exec_lo, s24
	s_cbranch_execnz .LBB16_3
; %bb.6:
	s_or_b32 exec_lo, exec_lo, s24
.LBB16_7:
	s_or_b32 exec_lo, exec_lo, s19
	v_cmp_gt_u32_e32 vcc_lo, s18, v16
	s_and_b32 exec_lo, exec_lo, vcc_lo
	s_cbranch_execz .LBB16_10
; %bb.8:
	s_cmp_eq_u32 s15, 3
	v_mov_b32_e32 v17, 0
	s_cselect_b32 s1, s17, s10
	s_cmp_eq_u32 s15, 2
	v_cvt_f32_u32_e32 v0, s1
	s_cselect_b32 s6, s17, s9
	s_cmp_eq_u32 s15, 1
	v_cvt_f32_u32_e32 v1, s6
	s_cselect_b32 s7, s17, s8
	v_rcp_iflag_f32_e32 v0, v0
	v_cvt_f32_u32_e32 v2, s7
	s_sub_i32 s8, 0, s1
	v_rcp_iflag_f32_e32 v1, v1
	s_sub_i32 s0, 0, s6
	s_sub_i32 s9, 0, s7
	v_rcp_iflag_f32_e32 v2, v2
	v_mul_f32_e32 v0, 0x4f7ffffe, v0
	v_mul_f32_e32 v1, 0x4f7ffffe, v1
	v_cvt_u32_f32_e32 v0, v0
	v_mul_f32_e32 v2, 0x4f7ffffe, v2
	v_cvt_u32_f32_e32 v4, v1
	v_mul_lo_u32 v3, s8, v0
	v_cvt_u32_f32_e32 v5, v2
	v_mul_lo_u32 v1, s0, v4
	v_mul_hi_u32 v2, v0, v3
	v_mul_lo_u32 v3, s9, v5
	s_mov_b32 s9, 0
	v_mul_hi_u32 v6, v4, v1
	v_add_nc_u32_e32 v2, v0, v2
	v_mul_hi_u32 v7, v5, v3
	v_add_nc_u32_e32 v3, v4, v6
	v_mad_u64_u32 v[0:1], null, v16, v2, 0
	v_add_nc_u32_e32 v4, v5, v7
.LBB16_9:                               ; =>This Inner Loop Header: Depth=1
	v_add_co_u32 v5, vcc_lo, s4, v16
	v_add_co_ci_u32_e64 v6, null, s5, v17, vcc_lo
	v_mul_lo_u32 v8, s1, v1
	v_add_nc_u32_e32 v9, 1, v1
	global_load_ubyte v7, v[5:6], off
	v_not_b32_e32 v5, v1
	v_mad_u64_u32 v[5:6], null, s1, v5, v[16:17]
	v_sub_nc_u32_e32 v6, v16, v8
	v_cmp_le_u32_e32 vcc_lo, s1, v6
	v_cndmask_b32_e32 v8, v1, v9, vcc_lo
	v_cndmask_b32_e32 v5, v6, v5, vcc_lo
	v_add_nc_u32_e32 v6, 1, v8
	v_cmp_le_u32_e32 vcc_lo, s1, v5
	v_cndmask_b32_e32 v8, v8, v6, vcc_lo
	v_mul_hi_u32 v5, v8, v3
	v_mul_lo_u32 v6, v5, s6
	v_add_nc_u32_e32 v9, 1, v5
	v_sub_nc_u32_e32 v6, v8, v6
	v_subrev_nc_u32_e32 v10, s6, v6
	v_cmp_le_u32_e32 vcc_lo, s6, v6
	v_cndmask_b32_e32 v5, v5, v9, vcc_lo
	v_cndmask_b32_e32 v6, v6, v10, vcc_lo
	v_add_nc_u32_e32 v9, 1, v5
	v_cmp_le_u32_e32 vcc_lo, s6, v6
	v_cndmask_b32_e32 v9, v5, v9, vcc_lo
	v_mul_hi_u32 v5, v9, v4
	v_mul_lo_u32 v6, v5, s7
	v_add_nc_u32_e32 v10, 1, v5
	v_sub_nc_u32_e32 v6, v9, v6
	v_subrev_nc_u32_e32 v11, s7, v6
	v_cmp_le_u32_e32 vcc_lo, s7, v6
	v_cndmask_b32_e32 v5, v5, v10, vcc_lo
	v_cndmask_b32_e32 v6, v6, v11, vcc_lo
	v_mul_lo_u32 v11, v9, s6
	v_add_nc_u32_e32 v10, 1, v5
	v_cmp_le_u32_e32 vcc_lo, s7, v6
	v_cndmask_b32_e32 v10, v5, v10, vcc_lo
	v_mad_u64_u32 v[5:6], null, s8, v8, v[16:17]
	v_sub_nc_u32_e32 v8, v8, v11
	v_add_co_u32 v16, s0, v16, 1
	v_mul_lo_u32 v6, v10, s7
	v_mul_lo_u32 v10, v10, s11
	;; [unrolled: 1-line block ×4, first 2 shown]
	v_add_co_u32 v0, vcc_lo, v0, v2
	v_add_co_ci_u32_e64 v17, null, 0, v17, s0
	v_sub_nc_u32_e32 v6, v9, v6
	v_cmp_le_u32_e64 s0, s18, v16
	v_add_co_ci_u32_e64 v1, null, 0, v1, vcc_lo
	v_add3_u32 v5, v10, v5, v8
	v_mul_lo_u32 v6, v6, s12
	s_or_b32 s9, s0, s9
	v_add3_u32 v5, v5, v6, s16
	s_waitcnt vmcnt(0)
	global_store_byte v5, v7, s[2:3]
	s_andn2_b32 exec_lo, exec_lo, s9
	s_cbranch_execnz .LBB16_9
.LBB16_10:
	s_endpgm
	.section	.rodata,"a",@progbits
	.p2align	6, 0x0
	.amdhsa_kernel _ZN2at6native12_GLOBAL__N_135CatArrayBatchedCopy_alignedK_contigINS1_10OpaqueTypeILj1EEEjLi4ELi128ELi1ELi16EEEvPT_NS1_25CatArrInputTensorMetadataIS5_T0_XT2_EXT3_EEENS1_16TensorSizeStrideIS8_Lj4EEEiS8_
		.amdhsa_group_segment_fixed_size 0
		.amdhsa_private_segment_fixed_size 0
		.amdhsa_kernarg_size 3024
		.amdhsa_user_sgpr_count 6
		.amdhsa_user_sgpr_private_segment_buffer 1
		.amdhsa_user_sgpr_dispatch_ptr 0
		.amdhsa_user_sgpr_queue_ptr 0
		.amdhsa_user_sgpr_kernarg_segment_ptr 1
		.amdhsa_user_sgpr_dispatch_id 0
		.amdhsa_user_sgpr_flat_scratch_init 0
		.amdhsa_user_sgpr_private_segment_size 0
		.amdhsa_wavefront_size32 1
		.amdhsa_uses_dynamic_stack 0
		.amdhsa_system_sgpr_private_segment_wavefront_offset 0
		.amdhsa_system_sgpr_workgroup_id_x 1
		.amdhsa_system_sgpr_workgroup_id_y 1
		.amdhsa_system_sgpr_workgroup_id_z 0
		.amdhsa_system_sgpr_workgroup_info 0
		.amdhsa_system_vgpr_workitem_id 0
		.amdhsa_next_free_vgpr 50
		.amdhsa_next_free_sgpr 25
		.amdhsa_reserve_vcc 1
		.amdhsa_reserve_flat_scratch 0
		.amdhsa_float_round_mode_32 0
		.amdhsa_float_round_mode_16_64 0
		.amdhsa_float_denorm_mode_32 3
		.amdhsa_float_denorm_mode_16_64 3
		.amdhsa_dx10_clamp 1
		.amdhsa_ieee_mode 1
		.amdhsa_fp16_overflow 0
		.amdhsa_workgroup_processor_mode 1
		.amdhsa_memory_ordered 1
		.amdhsa_forward_progress 1
		.amdhsa_shared_vgpr_count 0
		.amdhsa_exception_fp_ieee_invalid_op 0
		.amdhsa_exception_fp_denorm_src 0
		.amdhsa_exception_fp_ieee_div_zero 0
		.amdhsa_exception_fp_ieee_overflow 0
		.amdhsa_exception_fp_ieee_underflow 0
		.amdhsa_exception_fp_ieee_inexact 0
		.amdhsa_exception_int_div_zero 0
	.end_amdhsa_kernel
	.section	.text._ZN2at6native12_GLOBAL__N_135CatArrayBatchedCopy_alignedK_contigINS1_10OpaqueTypeILj1EEEjLi4ELi128ELi1ELi16EEEvPT_NS1_25CatArrInputTensorMetadataIS5_T0_XT2_EXT3_EEENS1_16TensorSizeStrideIS8_Lj4EEEiS8_,"axG",@progbits,_ZN2at6native12_GLOBAL__N_135CatArrayBatchedCopy_alignedK_contigINS1_10OpaqueTypeILj1EEEjLi4ELi128ELi1ELi16EEEvPT_NS1_25CatArrInputTensorMetadataIS5_T0_XT2_EXT3_EEENS1_16TensorSizeStrideIS8_Lj4EEEiS8_,comdat
.Lfunc_end16:
	.size	_ZN2at6native12_GLOBAL__N_135CatArrayBatchedCopy_alignedK_contigINS1_10OpaqueTypeILj1EEEjLi4ELi128ELi1ELi16EEEvPT_NS1_25CatArrInputTensorMetadataIS5_T0_XT2_EXT3_EEENS1_16TensorSizeStrideIS8_Lj4EEEiS8_, .Lfunc_end16-_ZN2at6native12_GLOBAL__N_135CatArrayBatchedCopy_alignedK_contigINS1_10OpaqueTypeILj1EEEjLi4ELi128ELi1ELi16EEEvPT_NS1_25CatArrInputTensorMetadataIS5_T0_XT2_EXT3_EEENS1_16TensorSizeStrideIS8_Lj4EEEiS8_
                                        ; -- End function
	.set _ZN2at6native12_GLOBAL__N_135CatArrayBatchedCopy_alignedK_contigINS1_10OpaqueTypeILj1EEEjLi4ELi128ELi1ELi16EEEvPT_NS1_25CatArrInputTensorMetadataIS5_T0_XT2_EXT3_EEENS1_16TensorSizeStrideIS8_Lj4EEEiS8_.num_vgpr, 50
	.set _ZN2at6native12_GLOBAL__N_135CatArrayBatchedCopy_alignedK_contigINS1_10OpaqueTypeILj1EEEjLi4ELi128ELi1ELi16EEEvPT_NS1_25CatArrInputTensorMetadataIS5_T0_XT2_EXT3_EEENS1_16TensorSizeStrideIS8_Lj4EEEiS8_.num_agpr, 0
	.set _ZN2at6native12_GLOBAL__N_135CatArrayBatchedCopy_alignedK_contigINS1_10OpaqueTypeILj1EEEjLi4ELi128ELi1ELi16EEEvPT_NS1_25CatArrInputTensorMetadataIS5_T0_XT2_EXT3_EEENS1_16TensorSizeStrideIS8_Lj4EEEiS8_.numbered_sgpr, 25
	.set _ZN2at6native12_GLOBAL__N_135CatArrayBatchedCopy_alignedK_contigINS1_10OpaqueTypeILj1EEEjLi4ELi128ELi1ELi16EEEvPT_NS1_25CatArrInputTensorMetadataIS5_T0_XT2_EXT3_EEENS1_16TensorSizeStrideIS8_Lj4EEEiS8_.num_named_barrier, 0
	.set _ZN2at6native12_GLOBAL__N_135CatArrayBatchedCopy_alignedK_contigINS1_10OpaqueTypeILj1EEEjLi4ELi128ELi1ELi16EEEvPT_NS1_25CatArrInputTensorMetadataIS5_T0_XT2_EXT3_EEENS1_16TensorSizeStrideIS8_Lj4EEEiS8_.private_seg_size, 0
	.set _ZN2at6native12_GLOBAL__N_135CatArrayBatchedCopy_alignedK_contigINS1_10OpaqueTypeILj1EEEjLi4ELi128ELi1ELi16EEEvPT_NS1_25CatArrInputTensorMetadataIS5_T0_XT2_EXT3_EEENS1_16TensorSizeStrideIS8_Lj4EEEiS8_.uses_vcc, 1
	.set _ZN2at6native12_GLOBAL__N_135CatArrayBatchedCopy_alignedK_contigINS1_10OpaqueTypeILj1EEEjLi4ELi128ELi1ELi16EEEvPT_NS1_25CatArrInputTensorMetadataIS5_T0_XT2_EXT3_EEENS1_16TensorSizeStrideIS8_Lj4EEEiS8_.uses_flat_scratch, 0
	.set _ZN2at6native12_GLOBAL__N_135CatArrayBatchedCopy_alignedK_contigINS1_10OpaqueTypeILj1EEEjLi4ELi128ELi1ELi16EEEvPT_NS1_25CatArrInputTensorMetadataIS5_T0_XT2_EXT3_EEENS1_16TensorSizeStrideIS8_Lj4EEEiS8_.has_dyn_sized_stack, 0
	.set _ZN2at6native12_GLOBAL__N_135CatArrayBatchedCopy_alignedK_contigINS1_10OpaqueTypeILj1EEEjLi4ELi128ELi1ELi16EEEvPT_NS1_25CatArrInputTensorMetadataIS5_T0_XT2_EXT3_EEENS1_16TensorSizeStrideIS8_Lj4EEEiS8_.has_recursion, 0
	.set _ZN2at6native12_GLOBAL__N_135CatArrayBatchedCopy_alignedK_contigINS1_10OpaqueTypeILj1EEEjLi4ELi128ELi1ELi16EEEvPT_NS1_25CatArrInputTensorMetadataIS5_T0_XT2_EXT3_EEENS1_16TensorSizeStrideIS8_Lj4EEEiS8_.has_indirect_call, 0
	.section	.AMDGPU.csdata,"",@progbits
; Kernel info:
; codeLenInByte = 1840
; TotalNumSgprs: 27
; NumVgprs: 50
; ScratchSize: 0
; MemoryBound: 0
; FloatMode: 240
; IeeeMode: 1
; LDSByteSize: 0 bytes/workgroup (compile time only)
; SGPRBlocks: 0
; VGPRBlocks: 6
; NumSGPRsForWavesPerEU: 27
; NumVGPRsForWavesPerEU: 50
; Occupancy: 16
; WaveLimiterHint : 1
; COMPUTE_PGM_RSRC2:SCRATCH_EN: 0
; COMPUTE_PGM_RSRC2:USER_SGPR: 6
; COMPUTE_PGM_RSRC2:TRAP_HANDLER: 0
; COMPUTE_PGM_RSRC2:TGID_X_EN: 1
; COMPUTE_PGM_RSRC2:TGID_Y_EN: 1
; COMPUTE_PGM_RSRC2:TGID_Z_EN: 0
; COMPUTE_PGM_RSRC2:TIDIG_COMP_CNT: 0
	.section	.text._ZN2at6native12_GLOBAL__N_135CatArrayBatchedCopy_alignedK_contigINS1_10OpaqueTypeILj1EEEjLi4ELi128ELi1ELi8EEEvPT_NS1_25CatArrInputTensorMetadataIS5_T0_XT2_EXT3_EEENS1_16TensorSizeStrideIS8_Lj4EEEiS8_,"axG",@progbits,_ZN2at6native12_GLOBAL__N_135CatArrayBatchedCopy_alignedK_contigINS1_10OpaqueTypeILj1EEEjLi4ELi128ELi1ELi8EEEvPT_NS1_25CatArrInputTensorMetadataIS5_T0_XT2_EXT3_EEENS1_16TensorSizeStrideIS8_Lj4EEEiS8_,comdat
	.globl	_ZN2at6native12_GLOBAL__N_135CatArrayBatchedCopy_alignedK_contigINS1_10OpaqueTypeILj1EEEjLi4ELi128ELi1ELi8EEEvPT_NS1_25CatArrInputTensorMetadataIS5_T0_XT2_EXT3_EEENS1_16TensorSizeStrideIS8_Lj4EEEiS8_ ; -- Begin function _ZN2at6native12_GLOBAL__N_135CatArrayBatchedCopy_alignedK_contigINS1_10OpaqueTypeILj1EEEjLi4ELi128ELi1ELi8EEEvPT_NS1_25CatArrInputTensorMetadataIS5_T0_XT2_EXT3_EEENS1_16TensorSizeStrideIS8_Lj4EEEiS8_
	.p2align	8
	.type	_ZN2at6native12_GLOBAL__N_135CatArrayBatchedCopy_alignedK_contigINS1_10OpaqueTypeILj1EEEjLi4ELi128ELi1ELi8EEEvPT_NS1_25CatArrInputTensorMetadataIS5_T0_XT2_EXT3_EEENS1_16TensorSizeStrideIS8_Lj4EEEiS8_,@function
_ZN2at6native12_GLOBAL__N_135CatArrayBatchedCopy_alignedK_contigINS1_10OpaqueTypeILj1EEEjLi4ELi128ELi1ELi8EEEvPT_NS1_25CatArrInputTensorMetadataIS5_T0_XT2_EXT3_EEENS1_16TensorSizeStrideIS8_Lj4EEEiS8_: ; @_ZN2at6native12_GLOBAL__N_135CatArrayBatchedCopy_alignedK_contigINS1_10OpaqueTypeILj1EEEjLi4ELi128ELi1ELi8EEEvPT_NS1_25CatArrInputTensorMetadataIS5_T0_XT2_EXT3_EEENS1_16TensorSizeStrideIS8_Lj4EEEiS8_
; %bb.0:
	s_mov_b32 s2, s7
	s_load_dword s7, s[4:5], 0xadc
	s_mov_b32 s3, 0
	s_add_u32 s0, s4, 0xad0
	s_addc_u32 s1, s5, 0
	s_lshl_b64 s[16:17], s[2:3], 2
	s_waitcnt lgkmcnt(0)
	s_and_b32 s7, s7, 0xffff
	s_add_u32 s2, s4, s16
	s_addc_u32 s3, s5, s17
	s_mul_i32 s6, s6, s7
	s_load_dword s18, s[2:3], 0x808
	v_add_lshl_u32 v8, s6, v0, 3
	s_add_u32 s6, s2, 8
	s_addc_u32 s19, s3, 0
	s_mov_b32 s2, exec_lo
	s_waitcnt lgkmcnt(0)
	v_cmpx_gt_u32_e64 s18, v8
	s_cbranch_execz .LBB17_10
; %bb.1:
	s_add_u32 s20, s6, s16
	s_addc_u32 s21, s19, s17
	s_sub_u32 s6, 0, s16
	s_subb_u32 s17, 0, s17
	s_add_u32 s16, s20, s6
	s_addc_u32 s17, s21, s17
	s_clause 0x5
	s_load_dwordx2 s[2:3], s[4:5], 0x0
	s_load_dwordx8 s[8:15], s[4:5], 0xaac
	s_load_dword s6, s[4:5], 0xacc
	s_load_dword s19, s[16:17], 0x400
	s_load_dwordx2 s[4:5], s[20:21], 0x0
	s_load_dword s17, s[16:17], 0x600
	v_add_nc_u32_e32 v0, 8, v8
	s_waitcnt lgkmcnt(0)
	s_mul_i32 s16, s19, s6
	s_mov_b32 s19, exec_lo
	v_cmpx_ge_u32_e64 s18, v0
	s_cbranch_execz .LBB17_7
; %bb.2:
	s_load_dword s0, s[0:1], 0x0
	v_mov_b32_e32 v9, 0
	v_add_nc_u32_e32 v10, 1, v8
	s_mov_b32 s24, 0
	v_mov_b32_e32 v5, v9
	v_mov_b32_e32 v6, v9
	s_waitcnt lgkmcnt(0)
	s_mul_i32 s0, s0, s7
	s_lshl_b32 s1, s0, 3
	s_cmp_eq_u32 s15, 3
	s_cselect_b32 s20, s17, s10
	s_cmp_eq_u32 s15, 2
	v_cvt_f32_u32_e32 v0, s20
	s_cselect_b32 s21, s17, s9
	s_cmp_eq_u32 s15, 1
	v_cvt_f32_u32_e32 v1, s21
	s_cselect_b32 s22, s17, s8
	v_rcp_iflag_f32_e32 v0, v0
	v_cvt_f32_u32_e32 v2, s22
	s_sub_i32 s23, 0, s20
	v_rcp_iflag_f32_e32 v1, v1
	s_sub_i32 s0, 0, s21
	s_sub_i32 s6, 0, s22
	v_rcp_iflag_f32_e32 v2, v2
	v_mul_f32_e32 v0, 0x4f7ffffe, v0
	v_mul_f32_e32 v1, 0x4f7ffffe, v1
	v_cvt_u32_f32_e32 v7, v0
	v_mul_f32_e32 v2, 0x4f7ffffe, v2
	v_mov_b32_e32 v0, v9
	v_cvt_u32_f32_e32 v12, v1
	v_mov_b32_e32 v1, v9
	v_cvt_u32_f32_e32 v13, v2
	v_mul_lo_u32 v2, s23, v7
	v_mul_lo_u32 v3, s0, v12
	;; [unrolled: 1-line block ×3, first 2 shown]
	v_mul_hi_u32 v11, v7, v2
	v_mul_hi_u32 v14, v12, v3
	v_mov_b32_e32 v2, v9
	v_mov_b32_e32 v3, v9
	v_mul_hi_u32 v15, v13, v4
	v_mov_b32_e32 v4, v9
	v_add_nc_u32_e32 v11, v7, v11
	v_add_nc_u32_e32 v12, v12, v14
	v_mov_b32_e32 v7, v9
	v_add_nc_u32_e32 v13, v13, v15
.LBB17_3:                               ; =>This Loop Header: Depth=1
                                        ;     Child Loop BB17_4 Depth 2
	v_mov_b32_e32 v14, v8
	v_mov_b32_e32 v15, v10
	s_mov_b64 s[6:7], 0
.LBB17_4:                               ;   Parent Loop BB17_3 Depth=1
                                        ; =>  This Inner Loop Header: Depth=2
	v_mul_hi_u32 v17, v11, v14
	v_mul_hi_u32 v19, v11, v15
	v_add_nc_u32_e32 v16, s6, v8
	s_mov_b32 m0, s6
	v_add_nc_u32_e32 v15, 2, v15
	v_add_nc_u32_e32 v14, 2, v14
	v_mul_hi_u32 v20, v16, v11
	v_not_b32_e32 v23, v17
	v_mad_u64_u32 v[17:18], null, s23, v17, v[16:17]
	v_mul_lo_u32 v22, s20, v19
	v_add_nc_u32_e32 v21, 1, v16
	v_not_b32_e32 v24, v19
	v_add_nc_u32_e32 v25, 1, v20
	v_mad_u64_u32 v[18:19], null, s20, v23, v[16:17]
	v_sub_nc_u32_e32 v22, v10, v22
	v_cmp_le_u32_e32 vcc_lo, s20, v17
	v_mul_hi_u32 v21, v21, v11
	v_mul_lo_u32 v19, s20, v24
	v_add_nc_u32_e32 v22, s6, v22
	v_cndmask_b32_e32 v20, v20, v25, vcc_lo
	v_cndmask_b32_e32 v17, v17, v18, vcc_lo
	v_add_nc_u32_e32 v23, 1, v21
	v_add3_u32 v18, v10, v19, s6
	v_add_nc_u32_e32 v19, 1, v20
	v_cmp_le_u32_e32 vcc_lo, s20, v22
	v_cmp_le_u32_e64 s0, s20, v17
	v_cndmask_b32_e32 v21, v21, v23, vcc_lo
	v_cndmask_b32_e64 v20, v20, v19, s0
	v_cndmask_b32_e32 v19, v22, v18, vcc_lo
	v_add_nc_u32_e32 v22, 1, v21
	v_mul_hi_u32 v23, v20, v12
	v_cmp_le_u32_e32 vcc_lo, s20, v19
	v_mad_u64_u32 v[17:18], null, s23, v20, v[16:17]
	v_cndmask_b32_e32 v21, v21, v22, vcc_lo
	v_mul_lo_u32 v22, v23, s21
	v_mul_hi_u32 v24, v21, v12
	v_mad_u64_u32 v[18:19], null, s23, v21, v[16:17]
	v_mul_lo_u32 v16, v17, s14
	v_add_nc_u32_e32 v19, 1, v23
	v_sub_nc_u32_e32 v17, v20, v22
	v_mul_lo_u32 v22, v24, s21
	v_add_nc_u32_e32 v25, 1, v24
	v_subrev_nc_u32_e32 v26, s21, v17
	v_cmp_le_u32_e32 vcc_lo, s21, v17
	v_mul_lo_u32 v18, s14, v18
	v_sub_nc_u32_e32 v22, v21, v22
	v_cndmask_b32_e32 v19, v23, v19, vcc_lo
	v_cndmask_b32_e32 v17, v17, v26, vcc_lo
	v_cmp_le_u32_e32 vcc_lo, s21, v22
	v_add_nc_u32_e32 v23, 1, v19
	v_cmp_le_u32_e64 s0, s21, v17
	v_cndmask_b32_e32 v24, v24, v25, vcc_lo
	v_subrev_nc_u32_e32 v25, s21, v22
	v_cndmask_b32_e64 v17, v19, v23, s0
	v_cndmask_b32_e32 v19, v22, v25, vcc_lo
	v_add_nc_u32_e32 v22, 1, v24
	v_mul_hi_u32 v23, v17, v13
	v_mul_lo_u32 v25, v17, s21
	v_cmp_le_u32_e32 vcc_lo, s21, v19
	v_cndmask_b32_e32 v19, v24, v22, vcc_lo
	v_mul_lo_u32 v22, v23, s22
	v_add_nc_u32_e32 v26, 1, v23
	v_sub_nc_u32_e32 v20, v20, v25
	v_mul_hi_u32 v24, v19, v13
	v_mul_lo_u32 v27, v19, s21
	v_mul_lo_u32 v20, v20, s13
	v_sub_nc_u32_e32 v22, v17, v22
	v_mul_lo_u32 v28, v24, s22
	v_subrev_nc_u32_e32 v30, s22, v22
	v_cmp_le_u32_e32 vcc_lo, s22, v22
	v_add_nc_u32_e32 v29, 1, v24
	v_sub_nc_u32_e32 v21, v21, v27
	v_cndmask_b32_e32 v23, v23, v26, vcc_lo
	v_sub_nc_u32_e32 v26, v19, v28
	v_cndmask_b32_e32 v22, v22, v30, vcc_lo
	v_mul_lo_u32 v21, v21, s13
	v_add_nc_u32_e32 v28, 1, v23
	v_subrev_nc_u32_e32 v30, s22, v26
	v_cmp_le_u32_e32 vcc_lo, s22, v26
	v_cmp_le_u32_e64 s0, s22, v22
	v_cndmask_b32_e32 v24, v24, v29, vcc_lo
	v_cndmask_b32_e64 v22, v23, v28, s0
	v_cndmask_b32_e32 v23, v26, v30, vcc_lo
	v_add_nc_u32_e32 v26, 1, v24
	v_mul_lo_u32 v28, v22, s22
	v_cmp_le_u32_e32 vcc_lo, s22, v23
	v_cndmask_b32_e32 v23, v24, v26, vcc_lo
	v_sub_nc_u32_e32 v25, v17, v28
	v_mad_u64_u32 v[16:17], null, v22, s11, v[16:17]
	v_mul_lo_u32 v24, v23, s22
	v_mul_lo_u32 v17, v23, s11
	;; [unrolled: 1-line block ×3, first 2 shown]
	v_sub_nc_u32_e32 v19, v19, v24
	v_add3_u32 v17, v18, s14, v17
	v_add3_u32 v16, v16, v20, v22
	v_mul_lo_u32 v19, v19, s12
	v_movreld_b32_e32 v0, v16
	s_add_i32 m0, s6, 1
	s_add_u32 s6, s6, 2
	s_addc_u32 s7, s7, 0
	s_cmp_eq_u32 s6, 8
	v_add3_u32 v16, v17, v21, v19
	v_movreld_b32_e32 v0, v16
	s_cbranch_scc0 .LBB17_4
; %bb.5:                                ;   in Loop: Header=BB17_3 Depth=1
	global_load_dwordx2 v[14:15], v8, s[4:5]
	v_add_co_u32 v8, vcc_lo, v8, s1
	v_add_co_ci_u32_e64 v9, null, 0, v9, vcc_lo
	v_add_nc_u32_e32 v16, s16, v0
	v_add_nc_u32_e32 v17, 8, v8
	;; [unrolled: 1-line block ×6, first 2 shown]
	v_cmp_lt_u32_e32 vcc_lo, s18, v17
	v_add_nc_u32_e32 v21, s16, v4
	v_add_nc_u32_e32 v17, s16, v5
	;; [unrolled: 1-line block ×4, first 2 shown]
	s_or_b32 s24, vcc_lo, s24
	s_waitcnt vmcnt(0)
	v_lshrrev_b32_e32 v24, 8, v14
	v_lshrrev_b32_e32 v25, 24, v14
	;; [unrolled: 1-line block ×4, first 2 shown]
	global_store_byte v16, v14, s[2:3]
	global_store_byte v18, v24, s[2:3]
	global_store_byte_d16_hi v19, v14, s[2:3]
	global_store_byte v20, v25, s[2:3]
	global_store_byte v21, v15, s[2:3]
	;; [unrolled: 1-line block ×3, first 2 shown]
	global_store_byte_d16_hi v22, v15, s[2:3]
	global_store_byte v23, v27, s[2:3]
	s_andn2_b32 exec_lo, exec_lo, s24
	s_cbranch_execnz .LBB17_3
; %bb.6:
	s_or_b32 exec_lo, exec_lo, s24
.LBB17_7:
	s_or_b32 exec_lo, exec_lo, s19
	v_cmp_gt_u32_e32 vcc_lo, s18, v8
	s_and_b32 exec_lo, exec_lo, vcc_lo
	s_cbranch_execz .LBB17_10
; %bb.8:
	s_cmp_eq_u32 s15, 3
	v_mov_b32_e32 v9, 0
	s_cselect_b32 s1, s17, s10
	s_cmp_eq_u32 s15, 2
	v_cvt_f32_u32_e32 v0, s1
	s_cselect_b32 s6, s17, s9
	s_cmp_eq_u32 s15, 1
	v_cvt_f32_u32_e32 v1, s6
	s_cselect_b32 s7, s17, s8
	v_rcp_iflag_f32_e32 v0, v0
	v_cvt_f32_u32_e32 v2, s7
	s_sub_i32 s8, 0, s1
	v_rcp_iflag_f32_e32 v1, v1
	s_sub_i32 s0, 0, s6
	s_sub_i32 s9, 0, s7
	v_rcp_iflag_f32_e32 v2, v2
	v_mul_f32_e32 v0, 0x4f7ffffe, v0
	v_mul_f32_e32 v1, 0x4f7ffffe, v1
	v_cvt_u32_f32_e32 v0, v0
	v_mul_f32_e32 v2, 0x4f7ffffe, v2
	v_cvt_u32_f32_e32 v4, v1
	v_mul_lo_u32 v3, s8, v0
	v_cvt_u32_f32_e32 v5, v2
	v_mul_lo_u32 v1, s0, v4
	v_mul_hi_u32 v2, v0, v3
	v_mul_lo_u32 v3, s9, v5
	s_mov_b32 s9, 0
	v_mul_hi_u32 v6, v4, v1
	v_add_nc_u32_e32 v2, v0, v2
	v_mul_hi_u32 v7, v5, v3
	v_add_nc_u32_e32 v3, v4, v6
	v_mad_u64_u32 v[0:1], null, v8, v2, 0
	v_add_nc_u32_e32 v4, v5, v7
.LBB17_9:                               ; =>This Inner Loop Header: Depth=1
	v_add_co_u32 v5, vcc_lo, s4, v8
	v_add_co_ci_u32_e64 v6, null, s5, v9, vcc_lo
	v_mul_lo_u32 v10, s1, v1
	v_add_nc_u32_e32 v11, 1, v1
	global_load_ubyte v7, v[5:6], off
	v_not_b32_e32 v5, v1
	v_mad_u64_u32 v[5:6], null, s1, v5, v[8:9]
	v_sub_nc_u32_e32 v6, v8, v10
	v_cmp_le_u32_e32 vcc_lo, s1, v6
	v_cndmask_b32_e32 v10, v1, v11, vcc_lo
	v_cndmask_b32_e32 v5, v6, v5, vcc_lo
	v_add_nc_u32_e32 v6, 1, v10
	v_cmp_le_u32_e32 vcc_lo, s1, v5
	v_cndmask_b32_e32 v10, v10, v6, vcc_lo
	v_mul_hi_u32 v5, v10, v3
	v_mul_lo_u32 v6, v5, s6
	v_add_nc_u32_e32 v11, 1, v5
	v_sub_nc_u32_e32 v6, v10, v6
	v_subrev_nc_u32_e32 v12, s6, v6
	v_cmp_le_u32_e32 vcc_lo, s6, v6
	v_cndmask_b32_e32 v5, v5, v11, vcc_lo
	v_cndmask_b32_e32 v6, v6, v12, vcc_lo
	v_add_nc_u32_e32 v11, 1, v5
	v_cmp_le_u32_e32 vcc_lo, s6, v6
	v_cndmask_b32_e32 v11, v5, v11, vcc_lo
	v_mul_hi_u32 v5, v11, v4
	v_mul_lo_u32 v6, v5, s7
	v_add_nc_u32_e32 v12, 1, v5
	v_sub_nc_u32_e32 v6, v11, v6
	v_subrev_nc_u32_e32 v13, s7, v6
	v_cmp_le_u32_e32 vcc_lo, s7, v6
	v_cndmask_b32_e32 v5, v5, v12, vcc_lo
	v_cndmask_b32_e32 v6, v6, v13, vcc_lo
	v_mul_lo_u32 v13, v11, s6
	v_add_nc_u32_e32 v12, 1, v5
	v_cmp_le_u32_e32 vcc_lo, s7, v6
	v_cndmask_b32_e32 v12, v5, v12, vcc_lo
	v_mad_u64_u32 v[5:6], null, s8, v10, v[8:9]
	v_sub_nc_u32_e32 v10, v10, v13
	v_add_co_u32 v8, s0, v8, 1
	v_mul_lo_u32 v6, v12, s7
	v_mul_lo_u32 v12, v12, s11
	;; [unrolled: 1-line block ×4, first 2 shown]
	v_add_co_u32 v0, vcc_lo, v0, v2
	v_add_co_ci_u32_e64 v9, null, 0, v9, s0
	v_sub_nc_u32_e32 v6, v11, v6
	v_cmp_le_u32_e64 s0, s18, v8
	v_add_co_ci_u32_e64 v1, null, 0, v1, vcc_lo
	v_add3_u32 v5, v12, v5, v10
	v_mul_lo_u32 v6, v6, s12
	s_or_b32 s9, s0, s9
	v_add3_u32 v5, v5, v6, s16
	s_waitcnt vmcnt(0)
	global_store_byte v5, v7, s[2:3]
	s_andn2_b32 exec_lo, exec_lo, s9
	s_cbranch_execnz .LBB17_9
.LBB17_10:
	s_endpgm
	.section	.rodata,"a",@progbits
	.p2align	6, 0x0
	.amdhsa_kernel _ZN2at6native12_GLOBAL__N_135CatArrayBatchedCopy_alignedK_contigINS1_10OpaqueTypeILj1EEEjLi4ELi128ELi1ELi8EEEvPT_NS1_25CatArrInputTensorMetadataIS5_T0_XT2_EXT3_EEENS1_16TensorSizeStrideIS8_Lj4EEEiS8_
		.amdhsa_group_segment_fixed_size 0
		.amdhsa_private_segment_fixed_size 0
		.amdhsa_kernarg_size 3024
		.amdhsa_user_sgpr_count 6
		.amdhsa_user_sgpr_private_segment_buffer 1
		.amdhsa_user_sgpr_dispatch_ptr 0
		.amdhsa_user_sgpr_queue_ptr 0
		.amdhsa_user_sgpr_kernarg_segment_ptr 1
		.amdhsa_user_sgpr_dispatch_id 0
		.amdhsa_user_sgpr_flat_scratch_init 0
		.amdhsa_user_sgpr_private_segment_size 0
		.amdhsa_wavefront_size32 1
		.amdhsa_uses_dynamic_stack 0
		.amdhsa_system_sgpr_private_segment_wavefront_offset 0
		.amdhsa_system_sgpr_workgroup_id_x 1
		.amdhsa_system_sgpr_workgroup_id_y 1
		.amdhsa_system_sgpr_workgroup_id_z 0
		.amdhsa_system_sgpr_workgroup_info 0
		.amdhsa_system_vgpr_workitem_id 0
		.amdhsa_next_free_vgpr 31
		.amdhsa_next_free_sgpr 25
		.amdhsa_reserve_vcc 1
		.amdhsa_reserve_flat_scratch 0
		.amdhsa_float_round_mode_32 0
		.amdhsa_float_round_mode_16_64 0
		.amdhsa_float_denorm_mode_32 3
		.amdhsa_float_denorm_mode_16_64 3
		.amdhsa_dx10_clamp 1
		.amdhsa_ieee_mode 1
		.amdhsa_fp16_overflow 0
		.amdhsa_workgroup_processor_mode 1
		.amdhsa_memory_ordered 1
		.amdhsa_forward_progress 1
		.amdhsa_shared_vgpr_count 0
		.amdhsa_exception_fp_ieee_invalid_op 0
		.amdhsa_exception_fp_denorm_src 0
		.amdhsa_exception_fp_ieee_div_zero 0
		.amdhsa_exception_fp_ieee_overflow 0
		.amdhsa_exception_fp_ieee_underflow 0
		.amdhsa_exception_fp_ieee_inexact 0
		.amdhsa_exception_int_div_zero 0
	.end_amdhsa_kernel
	.section	.text._ZN2at6native12_GLOBAL__N_135CatArrayBatchedCopy_alignedK_contigINS1_10OpaqueTypeILj1EEEjLi4ELi128ELi1ELi8EEEvPT_NS1_25CatArrInputTensorMetadataIS5_T0_XT2_EXT3_EEENS1_16TensorSizeStrideIS8_Lj4EEEiS8_,"axG",@progbits,_ZN2at6native12_GLOBAL__N_135CatArrayBatchedCopy_alignedK_contigINS1_10OpaqueTypeILj1EEEjLi4ELi128ELi1ELi8EEEvPT_NS1_25CatArrInputTensorMetadataIS5_T0_XT2_EXT3_EEENS1_16TensorSizeStrideIS8_Lj4EEEiS8_,comdat
.Lfunc_end17:
	.size	_ZN2at6native12_GLOBAL__N_135CatArrayBatchedCopy_alignedK_contigINS1_10OpaqueTypeILj1EEEjLi4ELi128ELi1ELi8EEEvPT_NS1_25CatArrInputTensorMetadataIS5_T0_XT2_EXT3_EEENS1_16TensorSizeStrideIS8_Lj4EEEiS8_, .Lfunc_end17-_ZN2at6native12_GLOBAL__N_135CatArrayBatchedCopy_alignedK_contigINS1_10OpaqueTypeILj1EEEjLi4ELi128ELi1ELi8EEEvPT_NS1_25CatArrInputTensorMetadataIS5_T0_XT2_EXT3_EEENS1_16TensorSizeStrideIS8_Lj4EEEiS8_
                                        ; -- End function
	.set _ZN2at6native12_GLOBAL__N_135CatArrayBatchedCopy_alignedK_contigINS1_10OpaqueTypeILj1EEEjLi4ELi128ELi1ELi8EEEvPT_NS1_25CatArrInputTensorMetadataIS5_T0_XT2_EXT3_EEENS1_16TensorSizeStrideIS8_Lj4EEEiS8_.num_vgpr, 31
	.set _ZN2at6native12_GLOBAL__N_135CatArrayBatchedCopy_alignedK_contigINS1_10OpaqueTypeILj1EEEjLi4ELi128ELi1ELi8EEEvPT_NS1_25CatArrInputTensorMetadataIS5_T0_XT2_EXT3_EEENS1_16TensorSizeStrideIS8_Lj4EEEiS8_.num_agpr, 0
	.set _ZN2at6native12_GLOBAL__N_135CatArrayBatchedCopy_alignedK_contigINS1_10OpaqueTypeILj1EEEjLi4ELi128ELi1ELi8EEEvPT_NS1_25CatArrInputTensorMetadataIS5_T0_XT2_EXT3_EEENS1_16TensorSizeStrideIS8_Lj4EEEiS8_.numbered_sgpr, 25
	.set _ZN2at6native12_GLOBAL__N_135CatArrayBatchedCopy_alignedK_contigINS1_10OpaqueTypeILj1EEEjLi4ELi128ELi1ELi8EEEvPT_NS1_25CatArrInputTensorMetadataIS5_T0_XT2_EXT3_EEENS1_16TensorSizeStrideIS8_Lj4EEEiS8_.num_named_barrier, 0
	.set _ZN2at6native12_GLOBAL__N_135CatArrayBatchedCopy_alignedK_contigINS1_10OpaqueTypeILj1EEEjLi4ELi128ELi1ELi8EEEvPT_NS1_25CatArrInputTensorMetadataIS5_T0_XT2_EXT3_EEENS1_16TensorSizeStrideIS8_Lj4EEEiS8_.private_seg_size, 0
	.set _ZN2at6native12_GLOBAL__N_135CatArrayBatchedCopy_alignedK_contigINS1_10OpaqueTypeILj1EEEjLi4ELi128ELi1ELi8EEEvPT_NS1_25CatArrInputTensorMetadataIS5_T0_XT2_EXT3_EEENS1_16TensorSizeStrideIS8_Lj4EEEiS8_.uses_vcc, 1
	.set _ZN2at6native12_GLOBAL__N_135CatArrayBatchedCopy_alignedK_contigINS1_10OpaqueTypeILj1EEEjLi4ELi128ELi1ELi8EEEvPT_NS1_25CatArrInputTensorMetadataIS5_T0_XT2_EXT3_EEENS1_16TensorSizeStrideIS8_Lj4EEEiS8_.uses_flat_scratch, 0
	.set _ZN2at6native12_GLOBAL__N_135CatArrayBatchedCopy_alignedK_contigINS1_10OpaqueTypeILj1EEEjLi4ELi128ELi1ELi8EEEvPT_NS1_25CatArrInputTensorMetadataIS5_T0_XT2_EXT3_EEENS1_16TensorSizeStrideIS8_Lj4EEEiS8_.has_dyn_sized_stack, 0
	.set _ZN2at6native12_GLOBAL__N_135CatArrayBatchedCopy_alignedK_contigINS1_10OpaqueTypeILj1EEEjLi4ELi128ELi1ELi8EEEvPT_NS1_25CatArrInputTensorMetadataIS5_T0_XT2_EXT3_EEENS1_16TensorSizeStrideIS8_Lj4EEEiS8_.has_recursion, 0
	.set _ZN2at6native12_GLOBAL__N_135CatArrayBatchedCopy_alignedK_contigINS1_10OpaqueTypeILj1EEEjLi4ELi128ELi1ELi8EEEvPT_NS1_25CatArrInputTensorMetadataIS5_T0_XT2_EXT3_EEENS1_16TensorSizeStrideIS8_Lj4EEEiS8_.has_indirect_call, 0
	.section	.AMDGPU.csdata,"",@progbits
; Kernel info:
; codeLenInByte = 1696
; TotalNumSgprs: 27
; NumVgprs: 31
; ScratchSize: 0
; MemoryBound: 0
; FloatMode: 240
; IeeeMode: 1
; LDSByteSize: 0 bytes/workgroup (compile time only)
; SGPRBlocks: 0
; VGPRBlocks: 3
; NumSGPRsForWavesPerEU: 27
; NumVGPRsForWavesPerEU: 31
; Occupancy: 16
; WaveLimiterHint : 1
; COMPUTE_PGM_RSRC2:SCRATCH_EN: 0
; COMPUTE_PGM_RSRC2:USER_SGPR: 6
; COMPUTE_PGM_RSRC2:TRAP_HANDLER: 0
; COMPUTE_PGM_RSRC2:TGID_X_EN: 1
; COMPUTE_PGM_RSRC2:TGID_Y_EN: 1
; COMPUTE_PGM_RSRC2:TGID_Z_EN: 0
; COMPUTE_PGM_RSRC2:TIDIG_COMP_CNT: 0
	.section	.text._ZN2at6native12_GLOBAL__N_126CatArrayBatchedCopy_contigINS1_10OpaqueTypeILj1EEEjLi4ELi128ELi1EEEvPT_NS1_25CatArrInputTensorMetadataIS5_T0_XT2_EXT3_EEENS1_16TensorSizeStrideIS8_Lj4EEEiS8_,"axG",@progbits,_ZN2at6native12_GLOBAL__N_126CatArrayBatchedCopy_contigINS1_10OpaqueTypeILj1EEEjLi4ELi128ELi1EEEvPT_NS1_25CatArrInputTensorMetadataIS5_T0_XT2_EXT3_EEENS1_16TensorSizeStrideIS8_Lj4EEEiS8_,comdat
	.globl	_ZN2at6native12_GLOBAL__N_126CatArrayBatchedCopy_contigINS1_10OpaqueTypeILj1EEEjLi4ELi128ELi1EEEvPT_NS1_25CatArrInputTensorMetadataIS5_T0_XT2_EXT3_EEENS1_16TensorSizeStrideIS8_Lj4EEEiS8_ ; -- Begin function _ZN2at6native12_GLOBAL__N_126CatArrayBatchedCopy_contigINS1_10OpaqueTypeILj1EEEjLi4ELi128ELi1EEEvPT_NS1_25CatArrInputTensorMetadataIS5_T0_XT2_EXT3_EEENS1_16TensorSizeStrideIS8_Lj4EEEiS8_
	.p2align	8
	.type	_ZN2at6native12_GLOBAL__N_126CatArrayBatchedCopy_contigINS1_10OpaqueTypeILj1EEEjLi4ELi128ELi1EEEvPT_NS1_25CatArrInputTensorMetadataIS5_T0_XT2_EXT3_EEENS1_16TensorSizeStrideIS8_Lj4EEEiS8_,@function
_ZN2at6native12_GLOBAL__N_126CatArrayBatchedCopy_contigINS1_10OpaqueTypeILj1EEEjLi4ELi128ELi1EEEvPT_NS1_25CatArrInputTensorMetadataIS5_T0_XT2_EXT3_EEENS1_16TensorSizeStrideIS8_Lj4EEEiS8_: ; @_ZN2at6native12_GLOBAL__N_126CatArrayBatchedCopy_contigINS1_10OpaqueTypeILj1EEEjLi4ELi128ELi1EEEvPT_NS1_25CatArrInputTensorMetadataIS5_T0_XT2_EXT3_EEENS1_16TensorSizeStrideIS8_Lj4EEEiS8_
; %bb.0:
	s_load_dword s2, s[4:5], 0xadc
	s_mov_b32 s8, s7
	s_mov_b32 s9, 0
	s_add_u32 s10, s4, 0xad0
	s_addc_u32 s11, s5, 0
	s_lshl_b64 s[0:1], s[8:9], 2
	s_waitcnt lgkmcnt(0)
	s_and_b32 s15, s2, 0xffff
	s_add_u32 s2, s4, s0
	s_addc_u32 s3, s5, s1
	v_mad_u64_u32 v[0:1], null, s6, s15, v[0:1]
	s_load_dword s8, s[2:3], 0x808
	s_add_u32 s2, s2, 8
	s_addc_u32 s3, s3, 0
	s_mov_b32 s6, exec_lo
	s_waitcnt lgkmcnt(0)
	v_cmpx_gt_u32_e64 s8, v0
	s_cbranch_execz .LBB18_3
; %bb.1:
	s_add_u32 s18, s2, s0
	s_addc_u32 s19, s3, s1
	s_sub_u32 s0, 0, s0
	s_subb_u32 s1, 0, s1
	s_add_u32 s20, s18, s0
	s_load_dwordx2 s[16:17], s[4:5], 0xac8
	s_addc_u32 s21, s19, s1
	s_clause 0x1
	s_load_dwordx4 s[0:3], s[4:5], 0xaac
	s_load_dwordx2 s[6:7], s[4:5], 0x0
	s_waitcnt lgkmcnt(0)
	s_load_dword s3, s[20:21], 0x600
	s_cmp_eq_u32 s16, 3
	s_waitcnt lgkmcnt(0)
	s_cselect_b32 s12, s3, s2
	s_cmp_eq_u32 s16, 2
	v_cvt_f32_u32_e32 v1, s12
	s_cselect_b32 s13, s3, s1
	s_cmp_eq_u32 s16, 1
	v_cvt_f32_u32_e32 v2, s13
	s_cselect_b32 s14, s3, s0
	v_rcp_iflag_f32_e32 v1, v1
	v_cvt_f32_u32_e32 v3, s14
	s_clause 0x1
	s_load_dwordx4 s[0:3], s[4:5], 0xab8
	s_load_dword s16, s[20:21], 0x400
	v_rcp_iflag_f32_e32 v2, v2
	s_load_dword s20, s[10:11], 0x0
	s_sub_i32 s10, 0, s12
	v_rcp_iflag_f32_e32 v3, v3
	s_sub_i32 s4, 0, s13
	s_sub_i32 s5, 0, s14
	v_mul_f32_e32 v1, 0x4f7ffffe, v1
	v_mul_f32_e32 v2, 0x4f7ffffe, v2
	v_cvt_u32_f32_e32 v1, v1
	v_mul_f32_e32 v3, 0x4f7ffffe, v3
	v_cvt_u32_f32_e32 v2, v2
	v_mul_lo_u32 v4, s10, v1
	v_cvt_u32_f32_e32 v3, v3
	s_waitcnt lgkmcnt(0)
	s_mul_i32 s11, s16, s17
	v_mul_lo_u32 v5, s4, v2
	s_mul_i32 s15, s20, s15
	v_mul_lo_u32 v6, s5, v3
	s_load_dwordx2 s[4:5], s[18:19], 0x0
	v_mul_hi_u32 v4, v1, v4
	v_mul_hi_u32 v5, v2, v5
	v_mul_hi_u32 v6, v3, v6
	v_add_nc_u32_e32 v1, v1, v4
	v_add_nc_u32_e32 v2, v2, v5
	;; [unrolled: 1-line block ×3, first 2 shown]
.LBB18_2:                               ; =>This Inner Loop Header: Depth=1
	s_waitcnt lgkmcnt(0)
	global_load_ubyte v6, v0, s[4:5]
	v_mul_hi_u32 v7, v1, v0
	v_mul_lo_u32 v8, s12, v7
	v_not_b32_e32 v4, v7
	v_add_nc_u32_e32 v9, 1, v7
	v_mad_u64_u32 v[4:5], null, s12, v4, v[0:1]
	v_sub_nc_u32_e32 v5, v0, v8
	v_cmp_le_u32_e32 vcc_lo, s12, v5
	v_cndmask_b32_e32 v7, v7, v9, vcc_lo
	v_cndmask_b32_e32 v4, v5, v4, vcc_lo
	v_add_nc_u32_e32 v5, 1, v7
	v_cmp_le_u32_e32 vcc_lo, s12, v4
	v_cndmask_b32_e32 v7, v7, v5, vcc_lo
	v_mul_hi_u32 v4, v7, v2
	v_mul_lo_u32 v5, v4, s13
	v_add_nc_u32_e32 v8, 1, v4
	v_sub_nc_u32_e32 v5, v7, v5
	v_subrev_nc_u32_e32 v9, s13, v5
	v_cmp_le_u32_e32 vcc_lo, s13, v5
	v_cndmask_b32_e32 v4, v4, v8, vcc_lo
	v_cndmask_b32_e32 v5, v5, v9, vcc_lo
	v_add_nc_u32_e32 v8, 1, v4
	v_cmp_le_u32_e32 vcc_lo, s13, v5
	v_cndmask_b32_e32 v8, v4, v8, vcc_lo
	v_mul_hi_u32 v4, v8, v3
	v_mul_lo_u32 v5, v4, s14
	v_add_nc_u32_e32 v9, 1, v4
	v_sub_nc_u32_e32 v5, v8, v5
	v_subrev_nc_u32_e32 v10, s14, v5
	v_cmp_le_u32_e32 vcc_lo, s14, v5
	v_cndmask_b32_e32 v4, v4, v9, vcc_lo
	v_cndmask_b32_e32 v5, v5, v10, vcc_lo
	v_add_nc_u32_e32 v9, 1, v4
	v_cmp_le_u32_e32 vcc_lo, s14, v5
	v_cndmask_b32_e32 v9, v4, v9, vcc_lo
	v_mad_u64_u32 v[4:5], null, s10, v7, v[0:1]
	v_mul_lo_u32 v5, v8, s13
	v_add_nc_u32_e32 v0, s15, v0
	v_mul_lo_u32 v10, v9, s14
	v_mul_lo_u32 v4, v4, s3
	v_cmp_le_u32_e32 vcc_lo, s8, v0
	v_sub_nc_u32_e32 v5, v7, v5
	v_mul_lo_u32 v7, v9, s0
	v_sub_nc_u32_e32 v8, v8, v10
	s_or_b32 s9, vcc_lo, s9
	v_mul_lo_u32 v5, v5, s2
	v_mul_lo_u32 v8, v8, s1
	v_add3_u32 v4, v4, s11, v7
	v_add3_u32 v4, v4, v5, v8
	s_waitcnt vmcnt(0)
	global_store_byte v4, v6, s[6:7]
	s_andn2_b32 exec_lo, exec_lo, s9
	s_cbranch_execnz .LBB18_2
.LBB18_3:
	s_endpgm
	.section	.rodata,"a",@progbits
	.p2align	6, 0x0
	.amdhsa_kernel _ZN2at6native12_GLOBAL__N_126CatArrayBatchedCopy_contigINS1_10OpaqueTypeILj1EEEjLi4ELi128ELi1EEEvPT_NS1_25CatArrInputTensorMetadataIS5_T0_XT2_EXT3_EEENS1_16TensorSizeStrideIS8_Lj4EEEiS8_
		.amdhsa_group_segment_fixed_size 0
		.amdhsa_private_segment_fixed_size 0
		.amdhsa_kernarg_size 3024
		.amdhsa_user_sgpr_count 6
		.amdhsa_user_sgpr_private_segment_buffer 1
		.amdhsa_user_sgpr_dispatch_ptr 0
		.amdhsa_user_sgpr_queue_ptr 0
		.amdhsa_user_sgpr_kernarg_segment_ptr 1
		.amdhsa_user_sgpr_dispatch_id 0
		.amdhsa_user_sgpr_flat_scratch_init 0
		.amdhsa_user_sgpr_private_segment_size 0
		.amdhsa_wavefront_size32 1
		.amdhsa_uses_dynamic_stack 0
		.amdhsa_system_sgpr_private_segment_wavefront_offset 0
		.amdhsa_system_sgpr_workgroup_id_x 1
		.amdhsa_system_sgpr_workgroup_id_y 1
		.amdhsa_system_sgpr_workgroup_id_z 0
		.amdhsa_system_sgpr_workgroup_info 0
		.amdhsa_system_vgpr_workitem_id 0
		.amdhsa_next_free_vgpr 11
		.amdhsa_next_free_sgpr 22
		.amdhsa_reserve_vcc 1
		.amdhsa_reserve_flat_scratch 0
		.amdhsa_float_round_mode_32 0
		.amdhsa_float_round_mode_16_64 0
		.amdhsa_float_denorm_mode_32 3
		.amdhsa_float_denorm_mode_16_64 3
		.amdhsa_dx10_clamp 1
		.amdhsa_ieee_mode 1
		.amdhsa_fp16_overflow 0
		.amdhsa_workgroup_processor_mode 1
		.amdhsa_memory_ordered 1
		.amdhsa_forward_progress 1
		.amdhsa_shared_vgpr_count 0
		.amdhsa_exception_fp_ieee_invalid_op 0
		.amdhsa_exception_fp_denorm_src 0
		.amdhsa_exception_fp_ieee_div_zero 0
		.amdhsa_exception_fp_ieee_overflow 0
		.amdhsa_exception_fp_ieee_underflow 0
		.amdhsa_exception_fp_ieee_inexact 0
		.amdhsa_exception_int_div_zero 0
	.end_amdhsa_kernel
	.section	.text._ZN2at6native12_GLOBAL__N_126CatArrayBatchedCopy_contigINS1_10OpaqueTypeILj1EEEjLi4ELi128ELi1EEEvPT_NS1_25CatArrInputTensorMetadataIS5_T0_XT2_EXT3_EEENS1_16TensorSizeStrideIS8_Lj4EEEiS8_,"axG",@progbits,_ZN2at6native12_GLOBAL__N_126CatArrayBatchedCopy_contigINS1_10OpaqueTypeILj1EEEjLi4ELi128ELi1EEEvPT_NS1_25CatArrInputTensorMetadataIS5_T0_XT2_EXT3_EEENS1_16TensorSizeStrideIS8_Lj4EEEiS8_,comdat
.Lfunc_end18:
	.size	_ZN2at6native12_GLOBAL__N_126CatArrayBatchedCopy_contigINS1_10OpaqueTypeILj1EEEjLi4ELi128ELi1EEEvPT_NS1_25CatArrInputTensorMetadataIS5_T0_XT2_EXT3_EEENS1_16TensorSizeStrideIS8_Lj4EEEiS8_, .Lfunc_end18-_ZN2at6native12_GLOBAL__N_126CatArrayBatchedCopy_contigINS1_10OpaqueTypeILj1EEEjLi4ELi128ELi1EEEvPT_NS1_25CatArrInputTensorMetadataIS5_T0_XT2_EXT3_EEENS1_16TensorSizeStrideIS8_Lj4EEEiS8_
                                        ; -- End function
	.set _ZN2at6native12_GLOBAL__N_126CatArrayBatchedCopy_contigINS1_10OpaqueTypeILj1EEEjLi4ELi128ELi1EEEvPT_NS1_25CatArrInputTensorMetadataIS5_T0_XT2_EXT3_EEENS1_16TensorSizeStrideIS8_Lj4EEEiS8_.num_vgpr, 11
	.set _ZN2at6native12_GLOBAL__N_126CatArrayBatchedCopy_contigINS1_10OpaqueTypeILj1EEEjLi4ELi128ELi1EEEvPT_NS1_25CatArrInputTensorMetadataIS5_T0_XT2_EXT3_EEENS1_16TensorSizeStrideIS8_Lj4EEEiS8_.num_agpr, 0
	.set _ZN2at6native12_GLOBAL__N_126CatArrayBatchedCopy_contigINS1_10OpaqueTypeILj1EEEjLi4ELi128ELi1EEEvPT_NS1_25CatArrInputTensorMetadataIS5_T0_XT2_EXT3_EEENS1_16TensorSizeStrideIS8_Lj4EEEiS8_.numbered_sgpr, 22
	.set _ZN2at6native12_GLOBAL__N_126CatArrayBatchedCopy_contigINS1_10OpaqueTypeILj1EEEjLi4ELi128ELi1EEEvPT_NS1_25CatArrInputTensorMetadataIS5_T0_XT2_EXT3_EEENS1_16TensorSizeStrideIS8_Lj4EEEiS8_.num_named_barrier, 0
	.set _ZN2at6native12_GLOBAL__N_126CatArrayBatchedCopy_contigINS1_10OpaqueTypeILj1EEEjLi4ELi128ELi1EEEvPT_NS1_25CatArrInputTensorMetadataIS5_T0_XT2_EXT3_EEENS1_16TensorSizeStrideIS8_Lj4EEEiS8_.private_seg_size, 0
	.set _ZN2at6native12_GLOBAL__N_126CatArrayBatchedCopy_contigINS1_10OpaqueTypeILj1EEEjLi4ELi128ELi1EEEvPT_NS1_25CatArrInputTensorMetadataIS5_T0_XT2_EXT3_EEENS1_16TensorSizeStrideIS8_Lj4EEEiS8_.uses_vcc, 1
	.set _ZN2at6native12_GLOBAL__N_126CatArrayBatchedCopy_contigINS1_10OpaqueTypeILj1EEEjLi4ELi128ELi1EEEvPT_NS1_25CatArrInputTensorMetadataIS5_T0_XT2_EXT3_EEENS1_16TensorSizeStrideIS8_Lj4EEEiS8_.uses_flat_scratch, 0
	.set _ZN2at6native12_GLOBAL__N_126CatArrayBatchedCopy_contigINS1_10OpaqueTypeILj1EEEjLi4ELi128ELi1EEEvPT_NS1_25CatArrInputTensorMetadataIS5_T0_XT2_EXT3_EEENS1_16TensorSizeStrideIS8_Lj4EEEiS8_.has_dyn_sized_stack, 0
	.set _ZN2at6native12_GLOBAL__N_126CatArrayBatchedCopy_contigINS1_10OpaqueTypeILj1EEEjLi4ELi128ELi1EEEvPT_NS1_25CatArrInputTensorMetadataIS5_T0_XT2_EXT3_EEENS1_16TensorSizeStrideIS8_Lj4EEEiS8_.has_recursion, 0
	.set _ZN2at6native12_GLOBAL__N_126CatArrayBatchedCopy_contigINS1_10OpaqueTypeILj1EEEjLi4ELi128ELi1EEEvPT_NS1_25CatArrInputTensorMetadataIS5_T0_XT2_EXT3_EEENS1_16TensorSizeStrideIS8_Lj4EEEiS8_.has_indirect_call, 0
	.section	.AMDGPU.csdata,"",@progbits
; Kernel info:
; codeLenInByte = 660
; TotalNumSgprs: 24
; NumVgprs: 11
; ScratchSize: 0
; MemoryBound: 0
; FloatMode: 240
; IeeeMode: 1
; LDSByteSize: 0 bytes/workgroup (compile time only)
; SGPRBlocks: 0
; VGPRBlocks: 1
; NumSGPRsForWavesPerEU: 24
; NumVGPRsForWavesPerEU: 11
; Occupancy: 16
; WaveLimiterHint : 1
; COMPUTE_PGM_RSRC2:SCRATCH_EN: 0
; COMPUTE_PGM_RSRC2:USER_SGPR: 6
; COMPUTE_PGM_RSRC2:TRAP_HANDLER: 0
; COMPUTE_PGM_RSRC2:TGID_X_EN: 1
; COMPUTE_PGM_RSRC2:TGID_Y_EN: 1
; COMPUTE_PGM_RSRC2:TGID_Z_EN: 0
; COMPUTE_PGM_RSRC2:TIDIG_COMP_CNT: 0
	.section	.text._ZN2at6native12_GLOBAL__N_119CatArrayBatchedCopyINS1_10OpaqueTypeILj1EEEjLi4ELi128ELi1EEEvPT_NS1_25CatArrInputTensorMetadataIS5_T0_XT2_EXT3_EEENS1_16TensorSizeStrideIS8_Lj4EEEiS8_,"axG",@progbits,_ZN2at6native12_GLOBAL__N_119CatArrayBatchedCopyINS1_10OpaqueTypeILj1EEEjLi4ELi128ELi1EEEvPT_NS1_25CatArrInputTensorMetadataIS5_T0_XT2_EXT3_EEENS1_16TensorSizeStrideIS8_Lj4EEEiS8_,comdat
	.globl	_ZN2at6native12_GLOBAL__N_119CatArrayBatchedCopyINS1_10OpaqueTypeILj1EEEjLi4ELi128ELi1EEEvPT_NS1_25CatArrInputTensorMetadataIS5_T0_XT2_EXT3_EEENS1_16TensorSizeStrideIS8_Lj4EEEiS8_ ; -- Begin function _ZN2at6native12_GLOBAL__N_119CatArrayBatchedCopyINS1_10OpaqueTypeILj1EEEjLi4ELi128ELi1EEEvPT_NS1_25CatArrInputTensorMetadataIS5_T0_XT2_EXT3_EEENS1_16TensorSizeStrideIS8_Lj4EEEiS8_
	.p2align	8
	.type	_ZN2at6native12_GLOBAL__N_119CatArrayBatchedCopyINS1_10OpaqueTypeILj1EEEjLi4ELi128ELi1EEEvPT_NS1_25CatArrInputTensorMetadataIS5_T0_XT2_EXT3_EEENS1_16TensorSizeStrideIS8_Lj4EEEiS8_,@function
_ZN2at6native12_GLOBAL__N_119CatArrayBatchedCopyINS1_10OpaqueTypeILj1EEEjLi4ELi128ELi1EEEvPT_NS1_25CatArrInputTensorMetadataIS5_T0_XT2_EXT3_EEENS1_16TensorSizeStrideIS8_Lj4EEEiS8_: ; @_ZN2at6native12_GLOBAL__N_119CatArrayBatchedCopyINS1_10OpaqueTypeILj1EEEjLi4ELi128ELi1EEEvPT_NS1_25CatArrInputTensorMetadataIS5_T0_XT2_EXT3_EEENS1_16TensorSizeStrideIS8_Lj4EEEiS8_
; %bb.0:
	s_load_dword s1, s[4:5], 0xadc
	s_mov_b32 s8, s7
	s_or_b32 s0, s4, 8
	s_mov_b32 s9, 0
	s_add_u32 s16, s4, 0xad0
	s_addc_u32 s17, s5, 0
	s_lshl_b64 s[2:3], s[8:9], 2
	s_waitcnt lgkmcnt(0)
	s_and_b32 s24, s1, 0xffff
	s_add_u32 s10, s0, s2
	s_addc_u32 s11, s5, s3
	v_mad_u64_u32 v[0:1], null, s6, s24, v[0:1]
	s_load_dword s18, s[10:11], 0x800
	s_mov_b32 s6, exec_lo
	s_waitcnt lgkmcnt(0)
	v_cmpx_gt_u32_e64 s18, v0
	s_cbranch_execz .LBB19_5
; %bb.1:
	v_mov_b32_e32 v1, 0x800
	s_add_u32 s6, s0, s8
	s_addc_u32 s7, s5, 0
	s_mov_b32 s1, s5
	s_load_dwordx2 s[14:15], s[4:5], 0xac8
	global_load_ubyte v1, v1, s[6:7] offset:512
	s_waitcnt vmcnt(0)
	v_and_b32_e32 v1, 1, v1
	v_cmp_eq_u32_e32 vcc_lo, 1, v1
	s_xor_b32 s8, vcc_lo, -1
	s_add_u32 s12, s10, s2
	s_addc_u32 s13, s11, s3
	s_sub_u32 s2, 0, s2
	s_subb_u32 s3, 0, s3
	s_add_u32 s6, s12, s2
	s_addc_u32 s7, s13, s3
	s_clause 0x4
	s_load_dwordx4 s[28:31], s[4:5], 0xaac
	s_load_dword s21, s[6:7], 0x600
	s_load_dwordx4 s[36:39], s[4:5], 0xa8c
	s_load_dwordx2 s[10:11], s[4:5], 0x0
	s_load_dwordx4 s[0:3], s[0:1], 0xa90
	s_waitcnt lgkmcnt(0)
	s_cmp_eq_u32 s14, 3
	s_load_dword s26, s[16:17], 0x0
	s_load_dword s25, s[6:7], 0x400
	s_cselect_b32 s19, s21, s30
	s_cselect_b32 s20, s21, s38
	s_cmp_eq_u32 s14, 2
	v_cvt_f32_u32_e32 v1, s19
	s_cselect_b32 s16, s21, s29
	s_cselect_b32 s17, s21, s37
	s_cmp_eq_u32 s14, 1
	v_cvt_f32_u32_e32 v2, s20
	s_cselect_b32 s14, s21, s28
	s_cselect_b32 s21, s21, s36
	v_cvt_f32_u32_e32 v3, s16
	v_cvt_f32_u32_e32 v4, s17
	;; [unrolled: 1-line block ×4, first 2 shown]
	v_rcp_iflag_f32_e32 v1, v1
	v_rcp_iflag_f32_e32 v2, v2
	;; [unrolled: 1-line block ×6, first 2 shown]
	s_sub_i32 s22, 0, s19
	s_sub_i32 s6, 0, s16
	;; [unrolled: 1-line block ×4, first 2 shown]
	v_mul_f32_e32 v1, 0x4f7ffffe, v1
	v_mul_f32_e32 v2, 0x4f7ffffe, v2
	;; [unrolled: 1-line block ×6, first 2 shown]
	v_cvt_u32_f32_e32 v7, v1
	v_cvt_u32_f32_e32 v2, v2
	;; [unrolled: 1-line block ×6, first 2 shown]
	s_sub_i32 s27, 0, s14
	s_sub_i32 s28, 0, s21
	v_mul_lo_u32 v1, s22, v7
	v_mul_lo_u32 v4, s23, v2
	;; [unrolled: 1-line block ×6, first 2 shown]
	s_clause 0x1
	s_load_dwordx4 s[4:7], s[4:5], 0xab8
	s_load_dwordx2 s[12:13], s[12:13], 0x0
	s_waitcnt lgkmcnt(0)
	s_mul_i32 s15, s25, s15
	v_mul_hi_u32 v13, v7, v1
	v_mul_hi_u32 v14, v2, v4
	;; [unrolled: 1-line block ×6, first 2 shown]
	v_mov_b32_e32 v1, 0
	s_mul_i32 s24, s26, s24
	v_add_nc_u32_e32 v4, v7, v13
	v_add_nc_u32_e32 v5, v2, v14
	;; [unrolled: 1-line block ×6, first 2 shown]
	s_branch .LBB19_3
.LBB19_2:                               ;   in Loop: Header=BB19_3 Depth=1
	v_add_co_u32 v2, vcc_lo, s12, v2
	v_add_co_ci_u32_e64 v3, null, s13, v3, vcc_lo
	v_mul_hi_u32 v13, v4, v0
	global_load_ubyte v12, v[2:3], off
	v_not_b32_e32 v10, v13
	v_mad_u64_u32 v[2:3], null, s22, v13, v[0:1]
	v_add_nc_u32_e32 v3, 1, v13
	v_mad_u64_u32 v[10:11], null, s19, v10, v[0:1]
	v_cmp_le_u32_e32 vcc_lo, s19, v2
	v_cndmask_b32_e32 v3, v13, v3, vcc_lo
	v_cndmask_b32_e32 v2, v2, v10, vcc_lo
	v_add_nc_u32_e32 v10, 1, v3
	v_cmp_le_u32_e32 vcc_lo, s19, v2
	v_cndmask_b32_e32 v10, v3, v10, vcc_lo
	v_mul_hi_u32 v2, v10, v6
	v_mul_lo_u32 v3, v2, s16
	v_add_nc_u32_e32 v11, 1, v2
	v_sub_nc_u32_e32 v3, v10, v3
	v_subrev_nc_u32_e32 v13, s16, v3
	v_cmp_le_u32_e32 vcc_lo, s16, v3
	v_cndmask_b32_e32 v2, v2, v11, vcc_lo
	v_cndmask_b32_e32 v3, v3, v13, vcc_lo
	v_add_nc_u32_e32 v11, 1, v2
	v_cmp_le_u32_e32 vcc_lo, s16, v3
	v_cndmask_b32_e32 v11, v2, v11, vcc_lo
	v_mul_hi_u32 v2, v11, v8
	v_mul_lo_u32 v3, v2, s14
	v_add_nc_u32_e32 v13, 1, v2
	v_sub_nc_u32_e32 v3, v11, v3
	v_subrev_nc_u32_e32 v14, s14, v3
	v_cmp_le_u32_e32 vcc_lo, s14, v3
	v_cndmask_b32_e32 v2, v2, v13, vcc_lo
	v_cndmask_b32_e32 v3, v3, v14, vcc_lo
	v_mul_lo_u32 v14, v11, s16
	v_add_nc_u32_e32 v13, 1, v2
	v_cmp_le_u32_e32 vcc_lo, s14, v3
	v_cndmask_b32_e32 v13, v2, v13, vcc_lo
	v_mad_u64_u32 v[2:3], null, s22, v10, v[0:1]
	v_sub_nc_u32_e32 v10, v10, v14
	v_add_nc_u32_e32 v0, s24, v0
	v_mul_lo_u32 v3, v13, s14
	v_mul_lo_u32 v10, v10, s6
	;; [unrolled: 1-line block ×3, first 2 shown]
	v_cmp_le_u32_e32 vcc_lo, s18, v0
	v_sub_nc_u32_e32 v3, v11, v3
	v_mul_lo_u32 v11, v13, s4
	s_or_b32 s9, vcc_lo, s9
	v_mul_lo_u32 v3, v3, s5
	v_add3_u32 v2, v11, v2, v10
	v_add3_u32 v2, v2, v3, s15
	s_waitcnt vmcnt(0)
	global_store_byte v2, v12, s[10:11]
	s_andn2_b32 exec_lo, exec_lo, s9
	s_cbranch_execz .LBB19_5
.LBB19_3:                               ; =>This Inner Loop Header: Depth=1
	v_mov_b32_e32 v3, v1
	v_mov_b32_e32 v2, v0
	s_andn2_b32 vcc_lo, exec_lo, s8
	s_cbranch_vccnz .LBB19_2
; %bb.4:                                ;   in Loop: Header=BB19_3 Depth=1
	v_mul_hi_u32 v12, v5, v0
	v_not_b32_e32 v10, v12
	v_mad_u64_u32 v[2:3], null, s23, v12, v[0:1]
	v_add_nc_u32_e32 v3, 1, v12
	v_mad_u64_u32 v[10:11], null, s20, v10, v[0:1]
	v_cmp_le_u32_e32 vcc_lo, s20, v2
	v_cndmask_b32_e32 v3, v12, v3, vcc_lo
	v_cndmask_b32_e32 v2, v2, v10, vcc_lo
	v_add_nc_u32_e32 v10, 1, v3
	v_cmp_le_u32_e32 vcc_lo, s20, v2
	v_cndmask_b32_e32 v10, v3, v10, vcc_lo
	v_mul_hi_u32 v2, v10, v7
	v_mul_lo_u32 v3, v2, s17
	v_add_nc_u32_e32 v11, 1, v2
	v_sub_nc_u32_e32 v3, v10, v3
	v_subrev_nc_u32_e32 v12, s17, v3
	v_cmp_le_u32_e32 vcc_lo, s17, v3
	v_cndmask_b32_e32 v2, v2, v11, vcc_lo
	v_cndmask_b32_e32 v3, v3, v12, vcc_lo
	v_add_nc_u32_e32 v11, 1, v2
	v_cmp_le_u32_e32 vcc_lo, s17, v3
	v_cndmask_b32_e32 v11, v2, v11, vcc_lo
	v_mul_hi_u32 v2, v11, v9
	v_mul_lo_u32 v3, v2, s21
	v_add_nc_u32_e32 v12, 1, v2
	v_sub_nc_u32_e32 v3, v11, v3
	v_subrev_nc_u32_e32 v13, s21, v3
	v_cmp_le_u32_e32 vcc_lo, s21, v3
	v_cndmask_b32_e32 v2, v2, v12, vcc_lo
	v_cndmask_b32_e32 v3, v3, v13, vcc_lo
	v_add_nc_u32_e32 v12, 1, v2
	v_cmp_le_u32_e32 vcc_lo, s21, v3
	v_cndmask_b32_e32 v12, v2, v12, vcc_lo
	v_mad_u64_u32 v[2:3], null, s23, v10, v[0:1]
	v_mul_lo_u32 v3, v11, s17
	v_mul_lo_u32 v13, v12, s21
	;; [unrolled: 1-line block ×3, first 2 shown]
	v_sub_nc_u32_e32 v3, v10, v3
	v_sub_nc_u32_e32 v10, v11, v13
	v_mul_lo_u32 v11, v3, s2
	v_mad_u64_u32 v[2:3], null, v12, s0, v[2:3]
	v_mul_lo_u32 v3, v10, s1
	v_add3_u32 v2, v2, v11, v3
	v_mov_b32_e32 v3, v1
	s_branch .LBB19_2
.LBB19_5:
	s_endpgm
	.section	.rodata,"a",@progbits
	.p2align	6, 0x0
	.amdhsa_kernel _ZN2at6native12_GLOBAL__N_119CatArrayBatchedCopyINS1_10OpaqueTypeILj1EEEjLi4ELi128ELi1EEEvPT_NS1_25CatArrInputTensorMetadataIS5_T0_XT2_EXT3_EEENS1_16TensorSizeStrideIS8_Lj4EEEiS8_
		.amdhsa_group_segment_fixed_size 0
		.amdhsa_private_segment_fixed_size 0
		.amdhsa_kernarg_size 3024
		.amdhsa_user_sgpr_count 6
		.amdhsa_user_sgpr_private_segment_buffer 1
		.amdhsa_user_sgpr_dispatch_ptr 0
		.amdhsa_user_sgpr_queue_ptr 0
		.amdhsa_user_sgpr_kernarg_segment_ptr 1
		.amdhsa_user_sgpr_dispatch_id 0
		.amdhsa_user_sgpr_flat_scratch_init 0
		.amdhsa_user_sgpr_private_segment_size 0
		.amdhsa_wavefront_size32 1
		.amdhsa_uses_dynamic_stack 0
		.amdhsa_system_sgpr_private_segment_wavefront_offset 0
		.amdhsa_system_sgpr_workgroup_id_x 1
		.amdhsa_system_sgpr_workgroup_id_y 1
		.amdhsa_system_sgpr_workgroup_id_z 0
		.amdhsa_system_sgpr_workgroup_info 0
		.amdhsa_system_vgpr_workitem_id 0
		.amdhsa_next_free_vgpr 17
		.amdhsa_next_free_sgpr 40
		.amdhsa_reserve_vcc 1
		.amdhsa_reserve_flat_scratch 0
		.amdhsa_float_round_mode_32 0
		.amdhsa_float_round_mode_16_64 0
		.amdhsa_float_denorm_mode_32 3
		.amdhsa_float_denorm_mode_16_64 3
		.amdhsa_dx10_clamp 1
		.amdhsa_ieee_mode 1
		.amdhsa_fp16_overflow 0
		.amdhsa_workgroup_processor_mode 1
		.amdhsa_memory_ordered 1
		.amdhsa_forward_progress 1
		.amdhsa_shared_vgpr_count 0
		.amdhsa_exception_fp_ieee_invalid_op 0
		.amdhsa_exception_fp_denorm_src 0
		.amdhsa_exception_fp_ieee_div_zero 0
		.amdhsa_exception_fp_ieee_overflow 0
		.amdhsa_exception_fp_ieee_underflow 0
		.amdhsa_exception_fp_ieee_inexact 0
		.amdhsa_exception_int_div_zero 0
	.end_amdhsa_kernel
	.section	.text._ZN2at6native12_GLOBAL__N_119CatArrayBatchedCopyINS1_10OpaqueTypeILj1EEEjLi4ELi128ELi1EEEvPT_NS1_25CatArrInputTensorMetadataIS5_T0_XT2_EXT3_EEENS1_16TensorSizeStrideIS8_Lj4EEEiS8_,"axG",@progbits,_ZN2at6native12_GLOBAL__N_119CatArrayBatchedCopyINS1_10OpaqueTypeILj1EEEjLi4ELi128ELi1EEEvPT_NS1_25CatArrInputTensorMetadataIS5_T0_XT2_EXT3_EEENS1_16TensorSizeStrideIS8_Lj4EEEiS8_,comdat
.Lfunc_end19:
	.size	_ZN2at6native12_GLOBAL__N_119CatArrayBatchedCopyINS1_10OpaqueTypeILj1EEEjLi4ELi128ELi1EEEvPT_NS1_25CatArrInputTensorMetadataIS5_T0_XT2_EXT3_EEENS1_16TensorSizeStrideIS8_Lj4EEEiS8_, .Lfunc_end19-_ZN2at6native12_GLOBAL__N_119CatArrayBatchedCopyINS1_10OpaqueTypeILj1EEEjLi4ELi128ELi1EEEvPT_NS1_25CatArrInputTensorMetadataIS5_T0_XT2_EXT3_EEENS1_16TensorSizeStrideIS8_Lj4EEEiS8_
                                        ; -- End function
	.set _ZN2at6native12_GLOBAL__N_119CatArrayBatchedCopyINS1_10OpaqueTypeILj1EEEjLi4ELi128ELi1EEEvPT_NS1_25CatArrInputTensorMetadataIS5_T0_XT2_EXT3_EEENS1_16TensorSizeStrideIS8_Lj4EEEiS8_.num_vgpr, 17
	.set _ZN2at6native12_GLOBAL__N_119CatArrayBatchedCopyINS1_10OpaqueTypeILj1EEEjLi4ELi128ELi1EEEvPT_NS1_25CatArrInputTensorMetadataIS5_T0_XT2_EXT3_EEENS1_16TensorSizeStrideIS8_Lj4EEEiS8_.num_agpr, 0
	.set _ZN2at6native12_GLOBAL__N_119CatArrayBatchedCopyINS1_10OpaqueTypeILj1EEEjLi4ELi128ELi1EEEvPT_NS1_25CatArrInputTensorMetadataIS5_T0_XT2_EXT3_EEENS1_16TensorSizeStrideIS8_Lj4EEEiS8_.numbered_sgpr, 40
	.set _ZN2at6native12_GLOBAL__N_119CatArrayBatchedCopyINS1_10OpaqueTypeILj1EEEjLi4ELi128ELi1EEEvPT_NS1_25CatArrInputTensorMetadataIS5_T0_XT2_EXT3_EEENS1_16TensorSizeStrideIS8_Lj4EEEiS8_.num_named_barrier, 0
	.set _ZN2at6native12_GLOBAL__N_119CatArrayBatchedCopyINS1_10OpaqueTypeILj1EEEjLi4ELi128ELi1EEEvPT_NS1_25CatArrInputTensorMetadataIS5_T0_XT2_EXT3_EEENS1_16TensorSizeStrideIS8_Lj4EEEiS8_.private_seg_size, 0
	.set _ZN2at6native12_GLOBAL__N_119CatArrayBatchedCopyINS1_10OpaqueTypeILj1EEEjLi4ELi128ELi1EEEvPT_NS1_25CatArrInputTensorMetadataIS5_T0_XT2_EXT3_EEENS1_16TensorSizeStrideIS8_Lj4EEEiS8_.uses_vcc, 1
	.set _ZN2at6native12_GLOBAL__N_119CatArrayBatchedCopyINS1_10OpaqueTypeILj1EEEjLi4ELi128ELi1EEEvPT_NS1_25CatArrInputTensorMetadataIS5_T0_XT2_EXT3_EEENS1_16TensorSizeStrideIS8_Lj4EEEiS8_.uses_flat_scratch, 0
	.set _ZN2at6native12_GLOBAL__N_119CatArrayBatchedCopyINS1_10OpaqueTypeILj1EEEjLi4ELi128ELi1EEEvPT_NS1_25CatArrInputTensorMetadataIS5_T0_XT2_EXT3_EEENS1_16TensorSizeStrideIS8_Lj4EEEiS8_.has_dyn_sized_stack, 0
	.set _ZN2at6native12_GLOBAL__N_119CatArrayBatchedCopyINS1_10OpaqueTypeILj1EEEjLi4ELi128ELi1EEEvPT_NS1_25CatArrInputTensorMetadataIS5_T0_XT2_EXT3_EEENS1_16TensorSizeStrideIS8_Lj4EEEiS8_.has_recursion, 0
	.set _ZN2at6native12_GLOBAL__N_119CatArrayBatchedCopyINS1_10OpaqueTypeILj1EEEjLi4ELi128ELi1EEEvPT_NS1_25CatArrInputTensorMetadataIS5_T0_XT2_EXT3_EEENS1_16TensorSizeStrideIS8_Lj4EEEiS8_.has_indirect_call, 0
	.section	.AMDGPU.csdata,"",@progbits
; Kernel info:
; codeLenInByte = 1128
; TotalNumSgprs: 42
; NumVgprs: 17
; ScratchSize: 0
; MemoryBound: 0
; FloatMode: 240
; IeeeMode: 1
; LDSByteSize: 0 bytes/workgroup (compile time only)
; SGPRBlocks: 0
; VGPRBlocks: 2
; NumSGPRsForWavesPerEU: 42
; NumVGPRsForWavesPerEU: 17
; Occupancy: 16
; WaveLimiterHint : 1
; COMPUTE_PGM_RSRC2:SCRATCH_EN: 0
; COMPUTE_PGM_RSRC2:USER_SGPR: 6
; COMPUTE_PGM_RSRC2:TRAP_HANDLER: 0
; COMPUTE_PGM_RSRC2:TGID_X_EN: 1
; COMPUTE_PGM_RSRC2:TGID_Y_EN: 1
; COMPUTE_PGM_RSRC2:TGID_Z_EN: 0
; COMPUTE_PGM_RSRC2:TIDIG_COMP_CNT: 0
	.section	.text._ZN2at6native12_GLOBAL__N_130CatArrayBatchedCopy_vectorizedINS1_10OpaqueTypeILj2EEEjLi1ELi128ELi1ELi16ELi8EEEvPcNS1_25CatArrInputTensorMetadataIT_T0_XT2_EXT3_EEENS1_16TensorSizeStrideIS8_Lj4EEEiS8_,"axG",@progbits,_ZN2at6native12_GLOBAL__N_130CatArrayBatchedCopy_vectorizedINS1_10OpaqueTypeILj2EEEjLi1ELi128ELi1ELi16ELi8EEEvPcNS1_25CatArrInputTensorMetadataIT_T0_XT2_EXT3_EEENS1_16TensorSizeStrideIS8_Lj4EEEiS8_,comdat
	.globl	_ZN2at6native12_GLOBAL__N_130CatArrayBatchedCopy_vectorizedINS1_10OpaqueTypeILj2EEEjLi1ELi128ELi1ELi16ELi8EEEvPcNS1_25CatArrInputTensorMetadataIT_T0_XT2_EXT3_EEENS1_16TensorSizeStrideIS8_Lj4EEEiS8_ ; -- Begin function _ZN2at6native12_GLOBAL__N_130CatArrayBatchedCopy_vectorizedINS1_10OpaqueTypeILj2EEEjLi1ELi128ELi1ELi16ELi8EEEvPcNS1_25CatArrInputTensorMetadataIT_T0_XT2_EXT3_EEENS1_16TensorSizeStrideIS8_Lj4EEEiS8_
	.p2align	8
	.type	_ZN2at6native12_GLOBAL__N_130CatArrayBatchedCopy_vectorizedINS1_10OpaqueTypeILj2EEEjLi1ELi128ELi1ELi16ELi8EEEvPcNS1_25CatArrInputTensorMetadataIT_T0_XT2_EXT3_EEENS1_16TensorSizeStrideIS8_Lj4EEEiS8_,@function
_ZN2at6native12_GLOBAL__N_130CatArrayBatchedCopy_vectorizedINS1_10OpaqueTypeILj2EEEjLi1ELi128ELi1ELi16ELi8EEEvPcNS1_25CatArrInputTensorMetadataIT_T0_XT2_EXT3_EEENS1_16TensorSizeStrideIS8_Lj4EEEiS8_: ; @_ZN2at6native12_GLOBAL__N_130CatArrayBatchedCopy_vectorizedINS1_10OpaqueTypeILj2EEEjLi1ELi128ELi1ELi16ELi8EEEvPcNS1_25CatArrInputTensorMetadataIT_T0_XT2_EXT3_EEENS1_16TensorSizeStrideIS8_Lj4EEEiS8_
; %bb.0:
	s_mov_b32 s0, s7
	s_load_dword s7, s[4:5], 0xadc
	s_mov_b32 s1, 0
	s_add_u32 s8, s4, 0xad0
	s_addc_u32 s9, s5, 0
	s_lshl_b64 s[2:3], s[0:1], 2
	s_waitcnt lgkmcnt(0)
	s_and_b32 s7, s7, 0xffff
	s_add_u32 s10, s4, s2
	s_addc_u32 s11, s5, s3
	v_mad_u64_u32 v[0:1], null, s6, s7, v[0:1]
	s_load_dword s12, s[10:11], 0x808
	s_add_u32 s0, s10, 8
	s_addc_u32 s10, s11, 0
	s_mov_b32 s11, exec_lo
	s_waitcnt lgkmcnt(0)
	s_lshr_b32 s6, s12, 3
	v_cmpx_gt_u32_e64 s6, v0
	s_cbranch_execz .LBB20_3
; %bb.1:
	s_add_u32 s12, s0, s2
	s_addc_u32 s13, s10, s3
	s_sub_u32 s0, 0, s2
	s_subb_u32 s3, 0, s3
	s_add_u32 s2, s12, s0
	s_addc_u32 s3, s13, s3
	v_mov_b32_e32 v3, 0
	s_clause 0x3
	s_load_dword s0, s[2:3], 0x400
	s_load_dword s10, s[4:5], 0xacc
	s_load_dwordx2 s[2:3], s[12:13], 0x0
	s_load_dword s12, s[4:5], 0xab8
	s_load_dword s13, s[8:9], 0x0
	s_load_dwordx2 s[8:9], s[4:5], 0x0
	s_waitcnt lgkmcnt(0)
	s_mul_i32 s0, s0, s10
	v_mul_lo_u32 v2, s12, v0
	s_lshr_b32 s0, s0, 3
	s_mul_i32 s4, s13, s7
	s_lshl_b64 s[10:11], s[0:1], 4
	s_add_u32 s5, s8, s10
	s_addc_u32 s7, s9, s11
	s_mul_i32 s8, s4, s12
	.p2align	6
.LBB20_2:                               ; =>This Inner Loop Header: Depth=1
	v_mov_b32_e32 v1, v3
	v_lshlrev_b64 v[8:9], 4, v[2:3]
	v_add_nc_u32_e32 v2, s8, v2
	v_lshlrev_b64 v[4:5], 4, v[0:1]
	v_add_nc_u32_e32 v0, s4, v0
	v_cmp_le_u32_e64 s0, s6, v0
	v_add_co_u32 v4, vcc_lo, s2, v4
	v_add_co_ci_u32_e64 v5, null, s3, v5, vcc_lo
	v_add_co_u32 v8, vcc_lo, s5, v8
	v_add_co_ci_u32_e64 v9, null, s7, v9, vcc_lo
	global_load_dwordx4 v[4:7], v[4:5], off
	s_or_b32 s1, s0, s1
	s_waitcnt vmcnt(0)
	global_store_dwordx4 v[8:9], v[4:7], off
	s_andn2_b32 exec_lo, exec_lo, s1
	s_cbranch_execnz .LBB20_2
.LBB20_3:
	s_endpgm
	.section	.rodata,"a",@progbits
	.p2align	6, 0x0
	.amdhsa_kernel _ZN2at6native12_GLOBAL__N_130CatArrayBatchedCopy_vectorizedINS1_10OpaqueTypeILj2EEEjLi1ELi128ELi1ELi16ELi8EEEvPcNS1_25CatArrInputTensorMetadataIT_T0_XT2_EXT3_EEENS1_16TensorSizeStrideIS8_Lj4EEEiS8_
		.amdhsa_group_segment_fixed_size 0
		.amdhsa_private_segment_fixed_size 0
		.amdhsa_kernarg_size 3024
		.amdhsa_user_sgpr_count 6
		.amdhsa_user_sgpr_private_segment_buffer 1
		.amdhsa_user_sgpr_dispatch_ptr 0
		.amdhsa_user_sgpr_queue_ptr 0
		.amdhsa_user_sgpr_kernarg_segment_ptr 1
		.amdhsa_user_sgpr_dispatch_id 0
		.amdhsa_user_sgpr_flat_scratch_init 0
		.amdhsa_user_sgpr_private_segment_size 0
		.amdhsa_wavefront_size32 1
		.amdhsa_uses_dynamic_stack 0
		.amdhsa_system_sgpr_private_segment_wavefront_offset 0
		.amdhsa_system_sgpr_workgroup_id_x 1
		.amdhsa_system_sgpr_workgroup_id_y 1
		.amdhsa_system_sgpr_workgroup_id_z 0
		.amdhsa_system_sgpr_workgroup_info 0
		.amdhsa_system_vgpr_workitem_id 0
		.amdhsa_next_free_vgpr 10
		.amdhsa_next_free_sgpr 14
		.amdhsa_reserve_vcc 1
		.amdhsa_reserve_flat_scratch 0
		.amdhsa_float_round_mode_32 0
		.amdhsa_float_round_mode_16_64 0
		.amdhsa_float_denorm_mode_32 3
		.amdhsa_float_denorm_mode_16_64 3
		.amdhsa_dx10_clamp 1
		.amdhsa_ieee_mode 1
		.amdhsa_fp16_overflow 0
		.amdhsa_workgroup_processor_mode 1
		.amdhsa_memory_ordered 1
		.amdhsa_forward_progress 1
		.amdhsa_shared_vgpr_count 0
		.amdhsa_exception_fp_ieee_invalid_op 0
		.amdhsa_exception_fp_denorm_src 0
		.amdhsa_exception_fp_ieee_div_zero 0
		.amdhsa_exception_fp_ieee_overflow 0
		.amdhsa_exception_fp_ieee_underflow 0
		.amdhsa_exception_fp_ieee_inexact 0
		.amdhsa_exception_int_div_zero 0
	.end_amdhsa_kernel
	.section	.text._ZN2at6native12_GLOBAL__N_130CatArrayBatchedCopy_vectorizedINS1_10OpaqueTypeILj2EEEjLi1ELi128ELi1ELi16ELi8EEEvPcNS1_25CatArrInputTensorMetadataIT_T0_XT2_EXT3_EEENS1_16TensorSizeStrideIS8_Lj4EEEiS8_,"axG",@progbits,_ZN2at6native12_GLOBAL__N_130CatArrayBatchedCopy_vectorizedINS1_10OpaqueTypeILj2EEEjLi1ELi128ELi1ELi16ELi8EEEvPcNS1_25CatArrInputTensorMetadataIT_T0_XT2_EXT3_EEENS1_16TensorSizeStrideIS8_Lj4EEEiS8_,comdat
.Lfunc_end20:
	.size	_ZN2at6native12_GLOBAL__N_130CatArrayBatchedCopy_vectorizedINS1_10OpaqueTypeILj2EEEjLi1ELi128ELi1ELi16ELi8EEEvPcNS1_25CatArrInputTensorMetadataIT_T0_XT2_EXT3_EEENS1_16TensorSizeStrideIS8_Lj4EEEiS8_, .Lfunc_end20-_ZN2at6native12_GLOBAL__N_130CatArrayBatchedCopy_vectorizedINS1_10OpaqueTypeILj2EEEjLi1ELi128ELi1ELi16ELi8EEEvPcNS1_25CatArrInputTensorMetadataIT_T0_XT2_EXT3_EEENS1_16TensorSizeStrideIS8_Lj4EEEiS8_
                                        ; -- End function
	.set _ZN2at6native12_GLOBAL__N_130CatArrayBatchedCopy_vectorizedINS1_10OpaqueTypeILj2EEEjLi1ELi128ELi1ELi16ELi8EEEvPcNS1_25CatArrInputTensorMetadataIT_T0_XT2_EXT3_EEENS1_16TensorSizeStrideIS8_Lj4EEEiS8_.num_vgpr, 10
	.set _ZN2at6native12_GLOBAL__N_130CatArrayBatchedCopy_vectorizedINS1_10OpaqueTypeILj2EEEjLi1ELi128ELi1ELi16ELi8EEEvPcNS1_25CatArrInputTensorMetadataIT_T0_XT2_EXT3_EEENS1_16TensorSizeStrideIS8_Lj4EEEiS8_.num_agpr, 0
	.set _ZN2at6native12_GLOBAL__N_130CatArrayBatchedCopy_vectorizedINS1_10OpaqueTypeILj2EEEjLi1ELi128ELi1ELi16ELi8EEEvPcNS1_25CatArrInputTensorMetadataIT_T0_XT2_EXT3_EEENS1_16TensorSizeStrideIS8_Lj4EEEiS8_.numbered_sgpr, 14
	.set _ZN2at6native12_GLOBAL__N_130CatArrayBatchedCopy_vectorizedINS1_10OpaqueTypeILj2EEEjLi1ELi128ELi1ELi16ELi8EEEvPcNS1_25CatArrInputTensorMetadataIT_T0_XT2_EXT3_EEENS1_16TensorSizeStrideIS8_Lj4EEEiS8_.num_named_barrier, 0
	.set _ZN2at6native12_GLOBAL__N_130CatArrayBatchedCopy_vectorizedINS1_10OpaqueTypeILj2EEEjLi1ELi128ELi1ELi16ELi8EEEvPcNS1_25CatArrInputTensorMetadataIT_T0_XT2_EXT3_EEENS1_16TensorSizeStrideIS8_Lj4EEEiS8_.private_seg_size, 0
	.set _ZN2at6native12_GLOBAL__N_130CatArrayBatchedCopy_vectorizedINS1_10OpaqueTypeILj2EEEjLi1ELi128ELi1ELi16ELi8EEEvPcNS1_25CatArrInputTensorMetadataIT_T0_XT2_EXT3_EEENS1_16TensorSizeStrideIS8_Lj4EEEiS8_.uses_vcc, 1
	.set _ZN2at6native12_GLOBAL__N_130CatArrayBatchedCopy_vectorizedINS1_10OpaqueTypeILj2EEEjLi1ELi128ELi1ELi16ELi8EEEvPcNS1_25CatArrInputTensorMetadataIT_T0_XT2_EXT3_EEENS1_16TensorSizeStrideIS8_Lj4EEEiS8_.uses_flat_scratch, 0
	.set _ZN2at6native12_GLOBAL__N_130CatArrayBatchedCopy_vectorizedINS1_10OpaqueTypeILj2EEEjLi1ELi128ELi1ELi16ELi8EEEvPcNS1_25CatArrInputTensorMetadataIT_T0_XT2_EXT3_EEENS1_16TensorSizeStrideIS8_Lj4EEEiS8_.has_dyn_sized_stack, 0
	.set _ZN2at6native12_GLOBAL__N_130CatArrayBatchedCopy_vectorizedINS1_10OpaqueTypeILj2EEEjLi1ELi128ELi1ELi16ELi8EEEvPcNS1_25CatArrInputTensorMetadataIT_T0_XT2_EXT3_EEENS1_16TensorSizeStrideIS8_Lj4EEEiS8_.has_recursion, 0
	.set _ZN2at6native12_GLOBAL__N_130CatArrayBatchedCopy_vectorizedINS1_10OpaqueTypeILj2EEEjLi1ELi128ELi1ELi16ELi8EEEvPcNS1_25CatArrInputTensorMetadataIT_T0_XT2_EXT3_EEENS1_16TensorSizeStrideIS8_Lj4EEEiS8_.has_indirect_call, 0
	.section	.AMDGPU.csdata,"",@progbits
; Kernel info:
; codeLenInByte = 360
; TotalNumSgprs: 16
; NumVgprs: 10
; ScratchSize: 0
; MemoryBound: 0
; FloatMode: 240
; IeeeMode: 1
; LDSByteSize: 0 bytes/workgroup (compile time only)
; SGPRBlocks: 0
; VGPRBlocks: 1
; NumSGPRsForWavesPerEU: 16
; NumVGPRsForWavesPerEU: 10
; Occupancy: 16
; WaveLimiterHint : 1
; COMPUTE_PGM_RSRC2:SCRATCH_EN: 0
; COMPUTE_PGM_RSRC2:USER_SGPR: 6
; COMPUTE_PGM_RSRC2:TRAP_HANDLER: 0
; COMPUTE_PGM_RSRC2:TGID_X_EN: 1
; COMPUTE_PGM_RSRC2:TGID_Y_EN: 1
; COMPUTE_PGM_RSRC2:TGID_Z_EN: 0
; COMPUTE_PGM_RSRC2:TIDIG_COMP_CNT: 0
	.section	.text._ZN2at6native12_GLOBAL__N_135CatArrayBatchedCopy_alignedK_contigINS1_10OpaqueTypeILj2EEEjLi1ELi128ELi1ELi16EEEvPT_NS1_25CatArrInputTensorMetadataIS5_T0_XT2_EXT3_EEENS1_16TensorSizeStrideIS8_Lj4EEEiS8_,"axG",@progbits,_ZN2at6native12_GLOBAL__N_135CatArrayBatchedCopy_alignedK_contigINS1_10OpaqueTypeILj2EEEjLi1ELi128ELi1ELi16EEEvPT_NS1_25CatArrInputTensorMetadataIS5_T0_XT2_EXT3_EEENS1_16TensorSizeStrideIS8_Lj4EEEiS8_,comdat
	.globl	_ZN2at6native12_GLOBAL__N_135CatArrayBatchedCopy_alignedK_contigINS1_10OpaqueTypeILj2EEEjLi1ELi128ELi1ELi16EEEvPT_NS1_25CatArrInputTensorMetadataIS5_T0_XT2_EXT3_EEENS1_16TensorSizeStrideIS8_Lj4EEEiS8_ ; -- Begin function _ZN2at6native12_GLOBAL__N_135CatArrayBatchedCopy_alignedK_contigINS1_10OpaqueTypeILj2EEEjLi1ELi128ELi1ELi16EEEvPT_NS1_25CatArrInputTensorMetadataIS5_T0_XT2_EXT3_EEENS1_16TensorSizeStrideIS8_Lj4EEEiS8_
	.p2align	8
	.type	_ZN2at6native12_GLOBAL__N_135CatArrayBatchedCopy_alignedK_contigINS1_10OpaqueTypeILj2EEEjLi1ELi128ELi1ELi16EEEvPT_NS1_25CatArrInputTensorMetadataIS5_T0_XT2_EXT3_EEENS1_16TensorSizeStrideIS8_Lj4EEEiS8_,@function
_ZN2at6native12_GLOBAL__N_135CatArrayBatchedCopy_alignedK_contigINS1_10OpaqueTypeILj2EEEjLi1ELi128ELi1ELi16EEEvPT_NS1_25CatArrInputTensorMetadataIS5_T0_XT2_EXT3_EEENS1_16TensorSizeStrideIS8_Lj4EEEiS8_: ; @_ZN2at6native12_GLOBAL__N_135CatArrayBatchedCopy_alignedK_contigINS1_10OpaqueTypeILj2EEEjLi1ELi128ELi1ELi16EEEvPT_NS1_25CatArrInputTensorMetadataIS5_T0_XT2_EXT3_EEENS1_16TensorSizeStrideIS8_Lj4EEEiS8_
; %bb.0:
	s_mov_b32 s2, s7
	s_load_dword s7, s[4:5], 0xadc
	s_mov_b32 s3, 0
	s_add_u32 s0, s4, 0xad0
	s_addc_u32 s1, s5, 0
	s_lshl_b64 s[2:3], s[2:3], 2
	s_mov_b32 s8, exec_lo
	s_waitcnt lgkmcnt(0)
	s_and_b32 s10, s7, 0xffff
	s_add_u32 s12, s4, s2
	s_addc_u32 s13, s5, s3
	v_mad_u64_u32 v[1:2], null, s6, s10, v[0:1]
	s_load_dword s9, s[12:13], 0x808
	s_add_u32 s6, s12, 8
	s_addc_u32 s7, s13, 0
	v_lshlrev_b32_e32 v0, 3, v1
	s_waitcnt lgkmcnt(0)
	v_cmpx_gt_u32_e64 s9, v0
	s_cbranch_execz .LBB21_8
; %bb.1:
	s_add_u32 s6, s6, s2
	s_addc_u32 s7, s7, s3
	s_sub_u32 s2, 0, s2
	s_subb_u32 s3, 0, s3
	s_add_u32 s2, s6, s2
	s_addc_u32 s3, s7, s3
	v_add_nc_u32_e32 v2, 8, v0
	s_clause 0x4
	s_load_dword s8, s[2:3], 0x400
	s_load_dwordx2 s[2:3], s[4:5], 0x0
	s_load_dword s11, s[4:5], 0xacc
	s_load_dwordx2 s[6:7], s[6:7], 0x0
	s_load_dword s4, s[4:5], 0xab8
	s_mov_b32 s5, exec_lo
	s_waitcnt lgkmcnt(0)
	s_mul_i32 s8, s8, s11
	v_cmpx_ge_u32_e64 s9, v2
	s_cbranch_execz .LBB21_5
; %bb.2:
	s_load_dword s0, s[0:1], 0x0
	v_mad_u64_u32 v[2:3], null, s4, v0, s[4:5]
	v_add_nc_u32_e32 v3, 2, v0
	v_add_nc_u32_e32 v4, 3, v0
	;; [unrolled: 1-line block ×6, first 2 shown]
	v_mul_lo_u32 v9, s4, v1
	v_mul_lo_u32 v3, s4, v3
	;; [unrolled: 1-line block ×7, first 2 shown]
	v_mov_b32_e32 v1, 0
	v_lshlrev_b32_e32 v9, 3, v9
	s_mov_b32 s1, 0
	s_mov_b32 s12, s8
	s_waitcnt lgkmcnt(0)
	s_mul_i32 s0, s0, s10
	s_mul_i32 s11, s0, s4
	s_lshl_b32 s10, s0, 3
	s_lshl_b32 s11, s11, 3
.LBB21_3:                               ; =>This Inner Loop Header: Depth=1
	v_lshlrev_b64 v[10:11], 1, v[0:1]
	v_add_nc_u32_e32 v14, s12, v9
	v_mov_b32_e32 v15, v1
	v_add_nc_u32_e32 v16, s12, v2
	v_mov_b32_e32 v17, v1
	v_add_nc_u32_e32 v18, s12, v3
	v_add_co_u32 v10, vcc_lo, s6, v10
	v_add_co_ci_u32_e64 v11, null, s7, v11, vcc_lo
	v_mov_b32_e32 v19, v1
	v_lshlrev_b64 v[14:15], 1, v[14:15]
	v_add_nc_u32_e32 v20, s12, v4
	global_load_dwordx4 v[10:13], v[10:11], off
	v_mov_b32_e32 v21, v1
	v_lshlrev_b64 v[16:17], 1, v[16:17]
	v_add_nc_u32_e32 v22, s12, v5
	v_mov_b32_e32 v23, v1
	v_lshlrev_b64 v[18:19], 1, v[18:19]
	v_add_nc_u32_e32 v24, s12, v6
	v_mov_b32_e32 v25, v1
	v_add_nc_u32_e32 v0, s10, v0
	v_lshlrev_b64 v[20:21], 1, v[20:21]
	v_add_co_u32 v14, s0, s2, v14
	v_add_nc_u32_e32 v26, s12, v7
	v_mov_b32_e32 v27, v1
	v_lshlrev_b64 v[22:23], 1, v[22:23]
	v_add_co_ci_u32_e64 v15, null, s3, v15, s0
	v_add_co_u32 v16, s0, s2, v16
	v_add_nc_u32_e32 v28, s12, v8
	v_mov_b32_e32 v29, v1
	v_add_nc_u32_e32 v30, 8, v0
	v_lshlrev_b64 v[24:25], 1, v[24:25]
	v_add_co_ci_u32_e64 v17, null, s3, v17, s0
	v_add_co_u32 v18, s0, s2, v18
	v_lshlrev_b64 v[26:27], 1, v[26:27]
	v_add_co_ci_u32_e64 v19, null, s3, v19, s0
	v_add_co_u32 v20, s0, s2, v20
	;; [unrolled: 3-line block ×3, first 2 shown]
	v_cmp_lt_u32_e32 vcc_lo, s9, v30
	v_add_co_ci_u32_e64 v23, null, s3, v23, s0
	v_add_co_u32 v24, s0, s2, v24
	v_add_co_ci_u32_e64 v25, null, s3, v25, s0
	v_add_co_u32 v26, s0, s2, v26
	s_add_i32 s12, s12, s11
	v_add_co_ci_u32_e64 v27, null, s3, v27, s0
	v_add_co_u32 v28, s0, s2, v28
	s_or_b32 s1, vcc_lo, s1
	v_add_co_ci_u32_e64 v29, null, s3, v29, s0
	s_waitcnt vmcnt(0)
	global_store_short v[14:15], v10, off
	global_store_short_d16_hi v[16:17], v10, off
	global_store_short v[18:19], v11, off
	global_store_short_d16_hi v[20:21], v11, off
	;; [unrolled: 2-line block ×4, first 2 shown]
	s_andn2_b32 exec_lo, exec_lo, s1
	s_cbranch_execnz .LBB21_3
; %bb.4:
	s_or_b32 exec_lo, exec_lo, s1
.LBB21_5:
	s_or_b32 exec_lo, exec_lo, s5
	v_cmp_gt_u32_e32 vcc_lo, s9, v0
	s_and_b32 exec_lo, exec_lo, vcc_lo
	s_cbranch_execz .LBB21_8
; %bb.6:
	v_mov_b32_e32 v2, 0
	v_mad_u64_u32 v[5:6], null, v0, s4, s[8:9]
	s_mov_b32 s1, 0
	v_mov_b32_e32 v1, v2
	v_lshlrev_b64 v[3:4], 1, v[0:1]
	v_mov_b32_e32 v1, v5
	v_add_co_u32 v3, vcc_lo, s6, v3
	v_add_co_ci_u32_e64 v4, null, s7, v4, vcc_lo
	.p2align	6
.LBB21_7:                               ; =>This Inner Loop Header: Depth=1
	global_load_ushort v7, v[3:4], off
	v_lshlrev_b64 v[5:6], 1, v[1:2]
	v_add_nc_u32_e32 v0, 1, v0
	v_add_co_u32 v3, vcc_lo, v3, 2
	v_add_co_ci_u32_e64 v4, null, 0, v4, vcc_lo
	v_cmp_le_u32_e32 vcc_lo, s9, v0
	v_add_co_u32 v5, s0, s2, v5
	v_add_co_ci_u32_e64 v6, null, s3, v6, s0
	v_add_nc_u32_e32 v1, s4, v1
	s_or_b32 s1, vcc_lo, s1
	s_waitcnt vmcnt(0)
	global_store_short v[5:6], v7, off
	s_andn2_b32 exec_lo, exec_lo, s1
	s_cbranch_execnz .LBB21_7
.LBB21_8:
	s_endpgm
	.section	.rodata,"a",@progbits
	.p2align	6, 0x0
	.amdhsa_kernel _ZN2at6native12_GLOBAL__N_135CatArrayBatchedCopy_alignedK_contigINS1_10OpaqueTypeILj2EEEjLi1ELi128ELi1ELi16EEEvPT_NS1_25CatArrInputTensorMetadataIS5_T0_XT2_EXT3_EEENS1_16TensorSizeStrideIS8_Lj4EEEiS8_
		.amdhsa_group_segment_fixed_size 0
		.amdhsa_private_segment_fixed_size 0
		.amdhsa_kernarg_size 3024
		.amdhsa_user_sgpr_count 6
		.amdhsa_user_sgpr_private_segment_buffer 1
		.amdhsa_user_sgpr_dispatch_ptr 0
		.amdhsa_user_sgpr_queue_ptr 0
		.amdhsa_user_sgpr_kernarg_segment_ptr 1
		.amdhsa_user_sgpr_dispatch_id 0
		.amdhsa_user_sgpr_flat_scratch_init 0
		.amdhsa_user_sgpr_private_segment_size 0
		.amdhsa_wavefront_size32 1
		.amdhsa_uses_dynamic_stack 0
		.amdhsa_system_sgpr_private_segment_wavefront_offset 0
		.amdhsa_system_sgpr_workgroup_id_x 1
		.amdhsa_system_sgpr_workgroup_id_y 1
		.amdhsa_system_sgpr_workgroup_id_z 0
		.amdhsa_system_sgpr_workgroup_info 0
		.amdhsa_system_vgpr_workitem_id 0
		.amdhsa_next_free_vgpr 31
		.amdhsa_next_free_sgpr 14
		.amdhsa_reserve_vcc 1
		.amdhsa_reserve_flat_scratch 0
		.amdhsa_float_round_mode_32 0
		.amdhsa_float_round_mode_16_64 0
		.amdhsa_float_denorm_mode_32 3
		.amdhsa_float_denorm_mode_16_64 3
		.amdhsa_dx10_clamp 1
		.amdhsa_ieee_mode 1
		.amdhsa_fp16_overflow 0
		.amdhsa_workgroup_processor_mode 1
		.amdhsa_memory_ordered 1
		.amdhsa_forward_progress 1
		.amdhsa_shared_vgpr_count 0
		.amdhsa_exception_fp_ieee_invalid_op 0
		.amdhsa_exception_fp_denorm_src 0
		.amdhsa_exception_fp_ieee_div_zero 0
		.amdhsa_exception_fp_ieee_overflow 0
		.amdhsa_exception_fp_ieee_underflow 0
		.amdhsa_exception_fp_ieee_inexact 0
		.amdhsa_exception_int_div_zero 0
	.end_amdhsa_kernel
	.section	.text._ZN2at6native12_GLOBAL__N_135CatArrayBatchedCopy_alignedK_contigINS1_10OpaqueTypeILj2EEEjLi1ELi128ELi1ELi16EEEvPT_NS1_25CatArrInputTensorMetadataIS5_T0_XT2_EXT3_EEENS1_16TensorSizeStrideIS8_Lj4EEEiS8_,"axG",@progbits,_ZN2at6native12_GLOBAL__N_135CatArrayBatchedCopy_alignedK_contigINS1_10OpaqueTypeILj2EEEjLi1ELi128ELi1ELi16EEEvPT_NS1_25CatArrInputTensorMetadataIS5_T0_XT2_EXT3_EEENS1_16TensorSizeStrideIS8_Lj4EEEiS8_,comdat
.Lfunc_end21:
	.size	_ZN2at6native12_GLOBAL__N_135CatArrayBatchedCopy_alignedK_contigINS1_10OpaqueTypeILj2EEEjLi1ELi128ELi1ELi16EEEvPT_NS1_25CatArrInputTensorMetadataIS5_T0_XT2_EXT3_EEENS1_16TensorSizeStrideIS8_Lj4EEEiS8_, .Lfunc_end21-_ZN2at6native12_GLOBAL__N_135CatArrayBatchedCopy_alignedK_contigINS1_10OpaqueTypeILj2EEEjLi1ELi128ELi1ELi16EEEvPT_NS1_25CatArrInputTensorMetadataIS5_T0_XT2_EXT3_EEENS1_16TensorSizeStrideIS8_Lj4EEEiS8_
                                        ; -- End function
	.set _ZN2at6native12_GLOBAL__N_135CatArrayBatchedCopy_alignedK_contigINS1_10OpaqueTypeILj2EEEjLi1ELi128ELi1ELi16EEEvPT_NS1_25CatArrInputTensorMetadataIS5_T0_XT2_EXT3_EEENS1_16TensorSizeStrideIS8_Lj4EEEiS8_.num_vgpr, 31
	.set _ZN2at6native12_GLOBAL__N_135CatArrayBatchedCopy_alignedK_contigINS1_10OpaqueTypeILj2EEEjLi1ELi128ELi1ELi16EEEvPT_NS1_25CatArrInputTensorMetadataIS5_T0_XT2_EXT3_EEENS1_16TensorSizeStrideIS8_Lj4EEEiS8_.num_agpr, 0
	.set _ZN2at6native12_GLOBAL__N_135CatArrayBatchedCopy_alignedK_contigINS1_10OpaqueTypeILj2EEEjLi1ELi128ELi1ELi16EEEvPT_NS1_25CatArrInputTensorMetadataIS5_T0_XT2_EXT3_EEENS1_16TensorSizeStrideIS8_Lj4EEEiS8_.numbered_sgpr, 14
	.set _ZN2at6native12_GLOBAL__N_135CatArrayBatchedCopy_alignedK_contigINS1_10OpaqueTypeILj2EEEjLi1ELi128ELi1ELi16EEEvPT_NS1_25CatArrInputTensorMetadataIS5_T0_XT2_EXT3_EEENS1_16TensorSizeStrideIS8_Lj4EEEiS8_.num_named_barrier, 0
	.set _ZN2at6native12_GLOBAL__N_135CatArrayBatchedCopy_alignedK_contigINS1_10OpaqueTypeILj2EEEjLi1ELi128ELi1ELi16EEEvPT_NS1_25CatArrInputTensorMetadataIS5_T0_XT2_EXT3_EEENS1_16TensorSizeStrideIS8_Lj4EEEiS8_.private_seg_size, 0
	.set _ZN2at6native12_GLOBAL__N_135CatArrayBatchedCopy_alignedK_contigINS1_10OpaqueTypeILj2EEEjLi1ELi128ELi1ELi16EEEvPT_NS1_25CatArrInputTensorMetadataIS5_T0_XT2_EXT3_EEENS1_16TensorSizeStrideIS8_Lj4EEEiS8_.uses_vcc, 1
	.set _ZN2at6native12_GLOBAL__N_135CatArrayBatchedCopy_alignedK_contigINS1_10OpaqueTypeILj2EEEjLi1ELi128ELi1ELi16EEEvPT_NS1_25CatArrInputTensorMetadataIS5_T0_XT2_EXT3_EEENS1_16TensorSizeStrideIS8_Lj4EEEiS8_.uses_flat_scratch, 0
	.set _ZN2at6native12_GLOBAL__N_135CatArrayBatchedCopy_alignedK_contigINS1_10OpaqueTypeILj2EEEjLi1ELi128ELi1ELi16EEEvPT_NS1_25CatArrInputTensorMetadataIS5_T0_XT2_EXT3_EEENS1_16TensorSizeStrideIS8_Lj4EEEiS8_.has_dyn_sized_stack, 0
	.set _ZN2at6native12_GLOBAL__N_135CatArrayBatchedCopy_alignedK_contigINS1_10OpaqueTypeILj2EEEjLi1ELi128ELi1ELi16EEEvPT_NS1_25CatArrInputTensorMetadataIS5_T0_XT2_EXT3_EEENS1_16TensorSizeStrideIS8_Lj4EEEiS8_.has_recursion, 0
	.set _ZN2at6native12_GLOBAL__N_135CatArrayBatchedCopy_alignedK_contigINS1_10OpaqueTypeILj2EEEjLi1ELi128ELi1ELi16EEEvPT_NS1_25CatArrInputTensorMetadataIS5_T0_XT2_EXT3_EEENS1_16TensorSizeStrideIS8_Lj4EEEiS8_.has_indirect_call, 0
	.section	.AMDGPU.csdata,"",@progbits
; Kernel info:
; codeLenInByte = 920
; TotalNumSgprs: 16
; NumVgprs: 31
; ScratchSize: 0
; MemoryBound: 0
; FloatMode: 240
; IeeeMode: 1
; LDSByteSize: 0 bytes/workgroup (compile time only)
; SGPRBlocks: 0
; VGPRBlocks: 3
; NumSGPRsForWavesPerEU: 16
; NumVGPRsForWavesPerEU: 31
; Occupancy: 16
; WaveLimiterHint : 1
; COMPUTE_PGM_RSRC2:SCRATCH_EN: 0
; COMPUTE_PGM_RSRC2:USER_SGPR: 6
; COMPUTE_PGM_RSRC2:TRAP_HANDLER: 0
; COMPUTE_PGM_RSRC2:TGID_X_EN: 1
; COMPUTE_PGM_RSRC2:TGID_Y_EN: 1
; COMPUTE_PGM_RSRC2:TGID_Z_EN: 0
; COMPUTE_PGM_RSRC2:TIDIG_COMP_CNT: 0
	.section	.text._ZN2at6native12_GLOBAL__N_135CatArrayBatchedCopy_alignedK_contigINS1_10OpaqueTypeILj2EEEjLi1ELi128ELi1ELi8EEEvPT_NS1_25CatArrInputTensorMetadataIS5_T0_XT2_EXT3_EEENS1_16TensorSizeStrideIS8_Lj4EEEiS8_,"axG",@progbits,_ZN2at6native12_GLOBAL__N_135CatArrayBatchedCopy_alignedK_contigINS1_10OpaqueTypeILj2EEEjLi1ELi128ELi1ELi8EEEvPT_NS1_25CatArrInputTensorMetadataIS5_T0_XT2_EXT3_EEENS1_16TensorSizeStrideIS8_Lj4EEEiS8_,comdat
	.globl	_ZN2at6native12_GLOBAL__N_135CatArrayBatchedCopy_alignedK_contigINS1_10OpaqueTypeILj2EEEjLi1ELi128ELi1ELi8EEEvPT_NS1_25CatArrInputTensorMetadataIS5_T0_XT2_EXT3_EEENS1_16TensorSizeStrideIS8_Lj4EEEiS8_ ; -- Begin function _ZN2at6native12_GLOBAL__N_135CatArrayBatchedCopy_alignedK_contigINS1_10OpaqueTypeILj2EEEjLi1ELi128ELi1ELi8EEEvPT_NS1_25CatArrInputTensorMetadataIS5_T0_XT2_EXT3_EEENS1_16TensorSizeStrideIS8_Lj4EEEiS8_
	.p2align	8
	.type	_ZN2at6native12_GLOBAL__N_135CatArrayBatchedCopy_alignedK_contigINS1_10OpaqueTypeILj2EEEjLi1ELi128ELi1ELi8EEEvPT_NS1_25CatArrInputTensorMetadataIS5_T0_XT2_EXT3_EEENS1_16TensorSizeStrideIS8_Lj4EEEiS8_,@function
_ZN2at6native12_GLOBAL__N_135CatArrayBatchedCopy_alignedK_contigINS1_10OpaqueTypeILj2EEEjLi1ELi128ELi1ELi8EEEvPT_NS1_25CatArrInputTensorMetadataIS5_T0_XT2_EXT3_EEENS1_16TensorSizeStrideIS8_Lj4EEEiS8_: ; @_ZN2at6native12_GLOBAL__N_135CatArrayBatchedCopy_alignedK_contigINS1_10OpaqueTypeILj2EEEjLi1ELi128ELi1ELi8EEEvPT_NS1_25CatArrInputTensorMetadataIS5_T0_XT2_EXT3_EEENS1_16TensorSizeStrideIS8_Lj4EEEiS8_
; %bb.0:
	s_mov_b32 s2, s7
	s_load_dword s7, s[4:5], 0xadc
	s_mov_b32 s3, 0
	s_add_u32 s0, s4, 0xad0
	s_addc_u32 s1, s5, 0
	s_lshl_b64 s[2:3], s[2:3], 2
	s_mov_b32 s8, exec_lo
	s_waitcnt lgkmcnt(0)
	s_and_b32 s10, s7, 0xffff
	s_add_u32 s12, s4, s2
	s_addc_u32 s13, s5, s3
	v_mad_u64_u32 v[1:2], null, s6, s10, v[0:1]
	s_load_dword s9, s[12:13], 0x808
	s_add_u32 s6, s12, 8
	s_addc_u32 s7, s13, 0
	v_lshlrev_b32_e32 v0, 2, v1
	s_waitcnt lgkmcnt(0)
	v_cmpx_gt_u32_e64 s9, v0
	s_cbranch_execz .LBB22_8
; %bb.1:
	s_add_u32 s6, s6, s2
	s_addc_u32 s7, s7, s3
	s_sub_u32 s2, 0, s2
	s_subb_u32 s3, 0, s3
	s_add_u32 s2, s6, s2
	s_addc_u32 s3, s7, s3
	v_add_nc_u32_e32 v2, 4, v0
	s_clause 0x4
	s_load_dword s8, s[2:3], 0x400
	s_load_dwordx2 s[2:3], s[4:5], 0x0
	s_load_dword s11, s[4:5], 0xacc
	s_load_dwordx2 s[6:7], s[6:7], 0x0
	s_load_dword s4, s[4:5], 0xab8
	s_mov_b32 s5, exec_lo
	s_waitcnt lgkmcnt(0)
	s_mul_i32 s8, s8, s11
	v_cmpx_ge_u32_e64 s9, v2
	s_cbranch_execz .LBB22_5
; %bb.2:
	s_load_dword s0, s[0:1], 0x0
	v_add_nc_u32_e32 v4, 2, v0
	v_add_nc_u32_e32 v5, 3, v0
	v_mul_lo_u32 v6, s4, v1
	v_mad_u64_u32 v[2:3], null, s4, v0, s[4:5]
	v_mul_lo_u32 v3, s4, v4
	v_mul_lo_u32 v4, s4, v5
	v_mov_b32_e32 v1, 0
	s_mov_b32 s1, 0
	s_mov_b32 s12, s8
	v_lshlrev_b32_e32 v5, 2, v6
	s_waitcnt lgkmcnt(0)
	s_mul_i32 s0, s0, s10
	s_mul_i32 s11, s0, s4
	s_lshl_b32 s10, s0, 2
	s_lshl_b32 s11, s11, 2
.LBB22_3:                               ; =>This Inner Loop Header: Depth=1
	v_lshlrev_b64 v[6:7], 1, v[0:1]
	v_add_nc_u32_e32 v8, s12, v5
	v_mov_b32_e32 v9, v1
	v_add_nc_u32_e32 v10, s12, v2
	v_mov_b32_e32 v11, v1
	v_add_nc_u32_e32 v12, s12, v3
	v_add_co_u32 v6, vcc_lo, s6, v6
	v_add_co_ci_u32_e64 v7, null, s7, v7, vcc_lo
	v_add_nc_u32_e32 v0, s10, v0
	v_mov_b32_e32 v13, v1
	v_lshlrev_b64 v[8:9], 1, v[8:9]
	global_load_dwordx2 v[6:7], v[6:7], off
	v_add_nc_u32_e32 v14, s12, v4
	v_mov_b32_e32 v15, v1
	v_lshlrev_b64 v[10:11], 1, v[10:11]
	v_add_nc_u32_e32 v16, 4, v0
	v_lshlrev_b64 v[12:13], 1, v[12:13]
	v_add_co_u32 v8, s0, s2, v8
	v_lshlrev_b64 v[14:15], 1, v[14:15]
	v_add_co_ci_u32_e64 v9, null, s3, v9, s0
	v_add_co_u32 v10, s0, s2, v10
	v_cmp_lt_u32_e32 vcc_lo, s9, v16
	v_add_co_ci_u32_e64 v11, null, s3, v11, s0
	v_add_co_u32 v12, s0, s2, v12
	v_add_co_ci_u32_e64 v13, null, s3, v13, s0
	v_add_co_u32 v14, s0, s2, v14
	s_add_i32 s12, s12, s11
	v_add_co_ci_u32_e64 v15, null, s3, v15, s0
	s_or_b32 s1, vcc_lo, s1
	s_waitcnt vmcnt(0)
	global_store_short v[8:9], v6, off
	global_store_short_d16_hi v[10:11], v6, off
	global_store_short v[12:13], v7, off
	global_store_short_d16_hi v[14:15], v7, off
	s_andn2_b32 exec_lo, exec_lo, s1
	s_cbranch_execnz .LBB22_3
; %bb.4:
	s_or_b32 exec_lo, exec_lo, s1
.LBB22_5:
	s_or_b32 exec_lo, exec_lo, s5
	v_cmp_gt_u32_e32 vcc_lo, s9, v0
	s_and_b32 exec_lo, exec_lo, vcc_lo
	s_cbranch_execz .LBB22_8
; %bb.6:
	v_mov_b32_e32 v2, 0
	v_mad_u64_u32 v[5:6], null, v0, s4, s[8:9]
	s_mov_b32 s1, 0
	v_mov_b32_e32 v1, v2
	v_lshlrev_b64 v[3:4], 1, v[0:1]
	v_mov_b32_e32 v1, v5
	v_add_co_u32 v3, vcc_lo, s6, v3
	v_add_co_ci_u32_e64 v4, null, s7, v4, vcc_lo
	.p2align	6
.LBB22_7:                               ; =>This Inner Loop Header: Depth=1
	global_load_ushort v7, v[3:4], off
	v_lshlrev_b64 v[5:6], 1, v[1:2]
	v_add_nc_u32_e32 v0, 1, v0
	v_add_co_u32 v3, vcc_lo, v3, 2
	v_add_co_ci_u32_e64 v4, null, 0, v4, vcc_lo
	v_cmp_le_u32_e32 vcc_lo, s9, v0
	v_add_co_u32 v5, s0, s2, v5
	v_add_co_ci_u32_e64 v6, null, s3, v6, s0
	v_add_nc_u32_e32 v1, s4, v1
	s_or_b32 s1, vcc_lo, s1
	s_waitcnt vmcnt(0)
	global_store_short v[5:6], v7, off
	s_andn2_b32 exec_lo, exec_lo, s1
	s_cbranch_execnz .LBB22_7
.LBB22_8:
	s_endpgm
	.section	.rodata,"a",@progbits
	.p2align	6, 0x0
	.amdhsa_kernel _ZN2at6native12_GLOBAL__N_135CatArrayBatchedCopy_alignedK_contigINS1_10OpaqueTypeILj2EEEjLi1ELi128ELi1ELi8EEEvPT_NS1_25CatArrInputTensorMetadataIS5_T0_XT2_EXT3_EEENS1_16TensorSizeStrideIS8_Lj4EEEiS8_
		.amdhsa_group_segment_fixed_size 0
		.amdhsa_private_segment_fixed_size 0
		.amdhsa_kernarg_size 3024
		.amdhsa_user_sgpr_count 6
		.amdhsa_user_sgpr_private_segment_buffer 1
		.amdhsa_user_sgpr_dispatch_ptr 0
		.amdhsa_user_sgpr_queue_ptr 0
		.amdhsa_user_sgpr_kernarg_segment_ptr 1
		.amdhsa_user_sgpr_dispatch_id 0
		.amdhsa_user_sgpr_flat_scratch_init 0
		.amdhsa_user_sgpr_private_segment_size 0
		.amdhsa_wavefront_size32 1
		.amdhsa_uses_dynamic_stack 0
		.amdhsa_system_sgpr_private_segment_wavefront_offset 0
		.amdhsa_system_sgpr_workgroup_id_x 1
		.amdhsa_system_sgpr_workgroup_id_y 1
		.amdhsa_system_sgpr_workgroup_id_z 0
		.amdhsa_system_sgpr_workgroup_info 0
		.amdhsa_system_vgpr_workitem_id 0
		.amdhsa_next_free_vgpr 17
		.amdhsa_next_free_sgpr 14
		.amdhsa_reserve_vcc 1
		.amdhsa_reserve_flat_scratch 0
		.amdhsa_float_round_mode_32 0
		.amdhsa_float_round_mode_16_64 0
		.amdhsa_float_denorm_mode_32 3
		.amdhsa_float_denorm_mode_16_64 3
		.amdhsa_dx10_clamp 1
		.amdhsa_ieee_mode 1
		.amdhsa_fp16_overflow 0
		.amdhsa_workgroup_processor_mode 1
		.amdhsa_memory_ordered 1
		.amdhsa_forward_progress 1
		.amdhsa_shared_vgpr_count 0
		.amdhsa_exception_fp_ieee_invalid_op 0
		.amdhsa_exception_fp_denorm_src 0
		.amdhsa_exception_fp_ieee_div_zero 0
		.amdhsa_exception_fp_ieee_overflow 0
		.amdhsa_exception_fp_ieee_underflow 0
		.amdhsa_exception_fp_ieee_inexact 0
		.amdhsa_exception_int_div_zero 0
	.end_amdhsa_kernel
	.section	.text._ZN2at6native12_GLOBAL__N_135CatArrayBatchedCopy_alignedK_contigINS1_10OpaqueTypeILj2EEEjLi1ELi128ELi1ELi8EEEvPT_NS1_25CatArrInputTensorMetadataIS5_T0_XT2_EXT3_EEENS1_16TensorSizeStrideIS8_Lj4EEEiS8_,"axG",@progbits,_ZN2at6native12_GLOBAL__N_135CatArrayBatchedCopy_alignedK_contigINS1_10OpaqueTypeILj2EEEjLi1ELi128ELi1ELi8EEEvPT_NS1_25CatArrInputTensorMetadataIS5_T0_XT2_EXT3_EEENS1_16TensorSizeStrideIS8_Lj4EEEiS8_,comdat
.Lfunc_end22:
	.size	_ZN2at6native12_GLOBAL__N_135CatArrayBatchedCopy_alignedK_contigINS1_10OpaqueTypeILj2EEEjLi1ELi128ELi1ELi8EEEvPT_NS1_25CatArrInputTensorMetadataIS5_T0_XT2_EXT3_EEENS1_16TensorSizeStrideIS8_Lj4EEEiS8_, .Lfunc_end22-_ZN2at6native12_GLOBAL__N_135CatArrayBatchedCopy_alignedK_contigINS1_10OpaqueTypeILj2EEEjLi1ELi128ELi1ELi8EEEvPT_NS1_25CatArrInputTensorMetadataIS5_T0_XT2_EXT3_EEENS1_16TensorSizeStrideIS8_Lj4EEEiS8_
                                        ; -- End function
	.set _ZN2at6native12_GLOBAL__N_135CatArrayBatchedCopy_alignedK_contigINS1_10OpaqueTypeILj2EEEjLi1ELi128ELi1ELi8EEEvPT_NS1_25CatArrInputTensorMetadataIS5_T0_XT2_EXT3_EEENS1_16TensorSizeStrideIS8_Lj4EEEiS8_.num_vgpr, 17
	.set _ZN2at6native12_GLOBAL__N_135CatArrayBatchedCopy_alignedK_contigINS1_10OpaqueTypeILj2EEEjLi1ELi128ELi1ELi8EEEvPT_NS1_25CatArrInputTensorMetadataIS5_T0_XT2_EXT3_EEENS1_16TensorSizeStrideIS8_Lj4EEEiS8_.num_agpr, 0
	.set _ZN2at6native12_GLOBAL__N_135CatArrayBatchedCopy_alignedK_contigINS1_10OpaqueTypeILj2EEEjLi1ELi128ELi1ELi8EEEvPT_NS1_25CatArrInputTensorMetadataIS5_T0_XT2_EXT3_EEENS1_16TensorSizeStrideIS8_Lj4EEEiS8_.numbered_sgpr, 14
	.set _ZN2at6native12_GLOBAL__N_135CatArrayBatchedCopy_alignedK_contigINS1_10OpaqueTypeILj2EEEjLi1ELi128ELi1ELi8EEEvPT_NS1_25CatArrInputTensorMetadataIS5_T0_XT2_EXT3_EEENS1_16TensorSizeStrideIS8_Lj4EEEiS8_.num_named_barrier, 0
	.set _ZN2at6native12_GLOBAL__N_135CatArrayBatchedCopy_alignedK_contigINS1_10OpaqueTypeILj2EEEjLi1ELi128ELi1ELi8EEEvPT_NS1_25CatArrInputTensorMetadataIS5_T0_XT2_EXT3_EEENS1_16TensorSizeStrideIS8_Lj4EEEiS8_.private_seg_size, 0
	.set _ZN2at6native12_GLOBAL__N_135CatArrayBatchedCopy_alignedK_contigINS1_10OpaqueTypeILj2EEEjLi1ELi128ELi1ELi8EEEvPT_NS1_25CatArrInputTensorMetadataIS5_T0_XT2_EXT3_EEENS1_16TensorSizeStrideIS8_Lj4EEEiS8_.uses_vcc, 1
	.set _ZN2at6native12_GLOBAL__N_135CatArrayBatchedCopy_alignedK_contigINS1_10OpaqueTypeILj2EEEjLi1ELi128ELi1ELi8EEEvPT_NS1_25CatArrInputTensorMetadataIS5_T0_XT2_EXT3_EEENS1_16TensorSizeStrideIS8_Lj4EEEiS8_.uses_flat_scratch, 0
	.set _ZN2at6native12_GLOBAL__N_135CatArrayBatchedCopy_alignedK_contigINS1_10OpaqueTypeILj2EEEjLi1ELi128ELi1ELi8EEEvPT_NS1_25CatArrInputTensorMetadataIS5_T0_XT2_EXT3_EEENS1_16TensorSizeStrideIS8_Lj4EEEiS8_.has_dyn_sized_stack, 0
	.set _ZN2at6native12_GLOBAL__N_135CatArrayBatchedCopy_alignedK_contigINS1_10OpaqueTypeILj2EEEjLi1ELi128ELi1ELi8EEEvPT_NS1_25CatArrInputTensorMetadataIS5_T0_XT2_EXT3_EEENS1_16TensorSizeStrideIS8_Lj4EEEiS8_.has_recursion, 0
	.set _ZN2at6native12_GLOBAL__N_135CatArrayBatchedCopy_alignedK_contigINS1_10OpaqueTypeILj2EEEjLi1ELi128ELi1ELi8EEEvPT_NS1_25CatArrInputTensorMetadataIS5_T0_XT2_EXT3_EEENS1_16TensorSizeStrideIS8_Lj4EEEiS8_.has_indirect_call, 0
	.section	.AMDGPU.csdata,"",@progbits
; Kernel info:
; codeLenInByte = 664
; TotalNumSgprs: 16
; NumVgprs: 17
; ScratchSize: 0
; MemoryBound: 0
; FloatMode: 240
; IeeeMode: 1
; LDSByteSize: 0 bytes/workgroup (compile time only)
; SGPRBlocks: 0
; VGPRBlocks: 2
; NumSGPRsForWavesPerEU: 16
; NumVGPRsForWavesPerEU: 17
; Occupancy: 16
; WaveLimiterHint : 1
; COMPUTE_PGM_RSRC2:SCRATCH_EN: 0
; COMPUTE_PGM_RSRC2:USER_SGPR: 6
; COMPUTE_PGM_RSRC2:TRAP_HANDLER: 0
; COMPUTE_PGM_RSRC2:TGID_X_EN: 1
; COMPUTE_PGM_RSRC2:TGID_Y_EN: 1
; COMPUTE_PGM_RSRC2:TGID_Z_EN: 0
; COMPUTE_PGM_RSRC2:TIDIG_COMP_CNT: 0
	.section	.text._ZN2at6native12_GLOBAL__N_126CatArrayBatchedCopy_contigINS1_10OpaqueTypeILj2EEEjLi1ELi128ELi1EEEvPT_NS1_25CatArrInputTensorMetadataIS5_T0_XT2_EXT3_EEENS1_16TensorSizeStrideIS8_Lj4EEEiS8_,"axG",@progbits,_ZN2at6native12_GLOBAL__N_126CatArrayBatchedCopy_contigINS1_10OpaqueTypeILj2EEEjLi1ELi128ELi1EEEvPT_NS1_25CatArrInputTensorMetadataIS5_T0_XT2_EXT3_EEENS1_16TensorSizeStrideIS8_Lj4EEEiS8_,comdat
	.globl	_ZN2at6native12_GLOBAL__N_126CatArrayBatchedCopy_contigINS1_10OpaqueTypeILj2EEEjLi1ELi128ELi1EEEvPT_NS1_25CatArrInputTensorMetadataIS5_T0_XT2_EXT3_EEENS1_16TensorSizeStrideIS8_Lj4EEEiS8_ ; -- Begin function _ZN2at6native12_GLOBAL__N_126CatArrayBatchedCopy_contigINS1_10OpaqueTypeILj2EEEjLi1ELi128ELi1EEEvPT_NS1_25CatArrInputTensorMetadataIS5_T0_XT2_EXT3_EEENS1_16TensorSizeStrideIS8_Lj4EEEiS8_
	.p2align	8
	.type	_ZN2at6native12_GLOBAL__N_126CatArrayBatchedCopy_contigINS1_10OpaqueTypeILj2EEEjLi1ELi128ELi1EEEvPT_NS1_25CatArrInputTensorMetadataIS5_T0_XT2_EXT3_EEENS1_16TensorSizeStrideIS8_Lj4EEEiS8_,@function
_ZN2at6native12_GLOBAL__N_126CatArrayBatchedCopy_contigINS1_10OpaqueTypeILj2EEEjLi1ELi128ELi1EEEvPT_NS1_25CatArrInputTensorMetadataIS5_T0_XT2_EXT3_EEENS1_16TensorSizeStrideIS8_Lj4EEEiS8_: ; @_ZN2at6native12_GLOBAL__N_126CatArrayBatchedCopy_contigINS1_10OpaqueTypeILj2EEEjLi1ELi128ELi1EEEvPT_NS1_25CatArrInputTensorMetadataIS5_T0_XT2_EXT3_EEENS1_16TensorSizeStrideIS8_Lj4EEEiS8_
; %bb.0:
	s_load_dword s2, s[4:5], 0xadc
	s_mov_b32 s0, s7
	s_mov_b32 s1, 0
	s_add_u32 s8, s4, 0xad0
	s_addc_u32 s9, s5, 0
	s_lshl_b64 s[10:11], s[0:1], 2
	s_waitcnt lgkmcnt(0)
	s_and_b32 s0, s2, 0xffff
	s_add_u32 s2, s4, s10
	s_addc_u32 s3, s5, s11
	v_mad_u64_u32 v[0:1], null, s6, s0, v[0:1]
	s_load_dword s7, s[2:3], 0x808
	s_add_u32 s2, s2, 8
	s_addc_u32 s3, s3, 0
	s_mov_b32 s6, exec_lo
	s_waitcnt lgkmcnt(0)
	v_cmpx_gt_u32_e64 s7, v0
	s_cbranch_execz .LBB23_3
; %bb.1:
	s_add_u32 s12, s2, s10
	s_addc_u32 s13, s3, s11
	s_sub_u32 s6, 0, s10
	s_clause 0x1
	s_load_dwordx2 s[2:3], s[12:13], 0x0
	s_load_dword s14, s[4:5], 0xab8
	s_subb_u32 s11, 0, s11
	s_add_u32 s10, s12, s6
	s_addc_u32 s11, s13, s11
	s_clause 0x1
	s_load_dword s6, s[4:5], 0xacc
	s_load_dword s10, s[10:11], 0x400
	;; [unrolled: 1-line block ×3, first 2 shown]
	s_load_dwordx2 s[4:5], s[4:5], 0x0
	s_waitcnt lgkmcnt(0)
	v_mul_lo_u32 v1, s14, v0
	v_mad_u64_u32 v[2:3], null, s10, s6, v[1:2]
	v_mov_b32_e32 v1, 0
	s_mul_i32 s6, s8, s0
	s_mul_i32 s8, s6, s14
	.p2align	6
.LBB23_2:                               ; =>This Inner Loop Header: Depth=1
	v_lshlrev_b64 v[3:4], 1, v[0:1]
	v_add_nc_u32_e32 v0, s6, v0
	v_add_co_u32 v3, vcc_lo, s2, v3
	v_add_co_ci_u32_e64 v4, null, s3, v4, vcc_lo
	v_cmp_le_u32_e32 vcc_lo, s7, v0
	global_load_ushort v5, v[3:4], off
	v_mov_b32_e32 v3, v1
	s_or_b32 s1, vcc_lo, s1
	v_lshlrev_b64 v[3:4], 1, v[2:3]
	v_add_nc_u32_e32 v2, s8, v2
	v_add_co_u32 v3, s0, s4, v3
	v_add_co_ci_u32_e64 v4, null, s5, v4, s0
	s_waitcnt vmcnt(0)
	global_store_short v[3:4], v5, off
	s_andn2_b32 exec_lo, exec_lo, s1
	s_cbranch_execnz .LBB23_2
.LBB23_3:
	s_endpgm
	.section	.rodata,"a",@progbits
	.p2align	6, 0x0
	.amdhsa_kernel _ZN2at6native12_GLOBAL__N_126CatArrayBatchedCopy_contigINS1_10OpaqueTypeILj2EEEjLi1ELi128ELi1EEEvPT_NS1_25CatArrInputTensorMetadataIS5_T0_XT2_EXT3_EEENS1_16TensorSizeStrideIS8_Lj4EEEiS8_
		.amdhsa_group_segment_fixed_size 0
		.amdhsa_private_segment_fixed_size 0
		.amdhsa_kernarg_size 3024
		.amdhsa_user_sgpr_count 6
		.amdhsa_user_sgpr_private_segment_buffer 1
		.amdhsa_user_sgpr_dispatch_ptr 0
		.amdhsa_user_sgpr_queue_ptr 0
		.amdhsa_user_sgpr_kernarg_segment_ptr 1
		.amdhsa_user_sgpr_dispatch_id 0
		.amdhsa_user_sgpr_flat_scratch_init 0
		.amdhsa_user_sgpr_private_segment_size 0
		.amdhsa_wavefront_size32 1
		.amdhsa_uses_dynamic_stack 0
		.amdhsa_system_sgpr_private_segment_wavefront_offset 0
		.amdhsa_system_sgpr_workgroup_id_x 1
		.amdhsa_system_sgpr_workgroup_id_y 1
		.amdhsa_system_sgpr_workgroup_id_z 0
		.amdhsa_system_sgpr_workgroup_info 0
		.amdhsa_system_vgpr_workitem_id 0
		.amdhsa_next_free_vgpr 6
		.amdhsa_next_free_sgpr 15
		.amdhsa_reserve_vcc 1
		.amdhsa_reserve_flat_scratch 0
		.amdhsa_float_round_mode_32 0
		.amdhsa_float_round_mode_16_64 0
		.amdhsa_float_denorm_mode_32 3
		.amdhsa_float_denorm_mode_16_64 3
		.amdhsa_dx10_clamp 1
		.amdhsa_ieee_mode 1
		.amdhsa_fp16_overflow 0
		.amdhsa_workgroup_processor_mode 1
		.amdhsa_memory_ordered 1
		.amdhsa_forward_progress 1
		.amdhsa_shared_vgpr_count 0
		.amdhsa_exception_fp_ieee_invalid_op 0
		.amdhsa_exception_fp_denorm_src 0
		.amdhsa_exception_fp_ieee_div_zero 0
		.amdhsa_exception_fp_ieee_overflow 0
		.amdhsa_exception_fp_ieee_underflow 0
		.amdhsa_exception_fp_ieee_inexact 0
		.amdhsa_exception_int_div_zero 0
	.end_amdhsa_kernel
	.section	.text._ZN2at6native12_GLOBAL__N_126CatArrayBatchedCopy_contigINS1_10OpaqueTypeILj2EEEjLi1ELi128ELi1EEEvPT_NS1_25CatArrInputTensorMetadataIS5_T0_XT2_EXT3_EEENS1_16TensorSizeStrideIS8_Lj4EEEiS8_,"axG",@progbits,_ZN2at6native12_GLOBAL__N_126CatArrayBatchedCopy_contigINS1_10OpaqueTypeILj2EEEjLi1ELi128ELi1EEEvPT_NS1_25CatArrInputTensorMetadataIS5_T0_XT2_EXT3_EEENS1_16TensorSizeStrideIS8_Lj4EEEiS8_,comdat
.Lfunc_end23:
	.size	_ZN2at6native12_GLOBAL__N_126CatArrayBatchedCopy_contigINS1_10OpaqueTypeILj2EEEjLi1ELi128ELi1EEEvPT_NS1_25CatArrInputTensorMetadataIS5_T0_XT2_EXT3_EEENS1_16TensorSizeStrideIS8_Lj4EEEiS8_, .Lfunc_end23-_ZN2at6native12_GLOBAL__N_126CatArrayBatchedCopy_contigINS1_10OpaqueTypeILj2EEEjLi1ELi128ELi1EEEvPT_NS1_25CatArrInputTensorMetadataIS5_T0_XT2_EXT3_EEENS1_16TensorSizeStrideIS8_Lj4EEEiS8_
                                        ; -- End function
	.set _ZN2at6native12_GLOBAL__N_126CatArrayBatchedCopy_contigINS1_10OpaqueTypeILj2EEEjLi1ELi128ELi1EEEvPT_NS1_25CatArrInputTensorMetadataIS5_T0_XT2_EXT3_EEENS1_16TensorSizeStrideIS8_Lj4EEEiS8_.num_vgpr, 6
	.set _ZN2at6native12_GLOBAL__N_126CatArrayBatchedCopy_contigINS1_10OpaqueTypeILj2EEEjLi1ELi128ELi1EEEvPT_NS1_25CatArrInputTensorMetadataIS5_T0_XT2_EXT3_EEENS1_16TensorSizeStrideIS8_Lj4EEEiS8_.num_agpr, 0
	.set _ZN2at6native12_GLOBAL__N_126CatArrayBatchedCopy_contigINS1_10OpaqueTypeILj2EEEjLi1ELi128ELi1EEEvPT_NS1_25CatArrInputTensorMetadataIS5_T0_XT2_EXT3_EEENS1_16TensorSizeStrideIS8_Lj4EEEiS8_.numbered_sgpr, 15
	.set _ZN2at6native12_GLOBAL__N_126CatArrayBatchedCopy_contigINS1_10OpaqueTypeILj2EEEjLi1ELi128ELi1EEEvPT_NS1_25CatArrInputTensorMetadataIS5_T0_XT2_EXT3_EEENS1_16TensorSizeStrideIS8_Lj4EEEiS8_.num_named_barrier, 0
	.set _ZN2at6native12_GLOBAL__N_126CatArrayBatchedCopy_contigINS1_10OpaqueTypeILj2EEEjLi1ELi128ELi1EEEvPT_NS1_25CatArrInputTensorMetadataIS5_T0_XT2_EXT3_EEENS1_16TensorSizeStrideIS8_Lj4EEEiS8_.private_seg_size, 0
	.set _ZN2at6native12_GLOBAL__N_126CatArrayBatchedCopy_contigINS1_10OpaqueTypeILj2EEEjLi1ELi128ELi1EEEvPT_NS1_25CatArrInputTensorMetadataIS5_T0_XT2_EXT3_EEENS1_16TensorSizeStrideIS8_Lj4EEEiS8_.uses_vcc, 1
	.set _ZN2at6native12_GLOBAL__N_126CatArrayBatchedCopy_contigINS1_10OpaqueTypeILj2EEEjLi1ELi128ELi1EEEvPT_NS1_25CatArrInputTensorMetadataIS5_T0_XT2_EXT3_EEENS1_16TensorSizeStrideIS8_Lj4EEEiS8_.uses_flat_scratch, 0
	.set _ZN2at6native12_GLOBAL__N_126CatArrayBatchedCopy_contigINS1_10OpaqueTypeILj2EEEjLi1ELi128ELi1EEEvPT_NS1_25CatArrInputTensorMetadataIS5_T0_XT2_EXT3_EEENS1_16TensorSizeStrideIS8_Lj4EEEiS8_.has_dyn_sized_stack, 0
	.set _ZN2at6native12_GLOBAL__N_126CatArrayBatchedCopy_contigINS1_10OpaqueTypeILj2EEEjLi1ELi128ELi1EEEvPT_NS1_25CatArrInputTensorMetadataIS5_T0_XT2_EXT3_EEENS1_16TensorSizeStrideIS8_Lj4EEEiS8_.has_recursion, 0
	.set _ZN2at6native12_GLOBAL__N_126CatArrayBatchedCopy_contigINS1_10OpaqueTypeILj2EEEjLi1ELi128ELi1EEEvPT_NS1_25CatArrInputTensorMetadataIS5_T0_XT2_EXT3_EEENS1_16TensorSizeStrideIS8_Lj4EEEiS8_.has_indirect_call, 0
	.section	.AMDGPU.csdata,"",@progbits
; Kernel info:
; codeLenInByte = 356
; TotalNumSgprs: 17
; NumVgprs: 6
; ScratchSize: 0
; MemoryBound: 0
; FloatMode: 240
; IeeeMode: 1
; LDSByteSize: 0 bytes/workgroup (compile time only)
; SGPRBlocks: 0
; VGPRBlocks: 0
; NumSGPRsForWavesPerEU: 17
; NumVGPRsForWavesPerEU: 6
; Occupancy: 16
; WaveLimiterHint : 1
; COMPUTE_PGM_RSRC2:SCRATCH_EN: 0
; COMPUTE_PGM_RSRC2:USER_SGPR: 6
; COMPUTE_PGM_RSRC2:TRAP_HANDLER: 0
; COMPUTE_PGM_RSRC2:TGID_X_EN: 1
; COMPUTE_PGM_RSRC2:TGID_Y_EN: 1
; COMPUTE_PGM_RSRC2:TGID_Z_EN: 0
; COMPUTE_PGM_RSRC2:TIDIG_COMP_CNT: 0
	.section	.text._ZN2at6native12_GLOBAL__N_119CatArrayBatchedCopyINS1_10OpaqueTypeILj2EEEjLi1ELi128ELi1EEEvPT_NS1_25CatArrInputTensorMetadataIS5_T0_XT2_EXT3_EEENS1_16TensorSizeStrideIS8_Lj4EEEiS8_,"axG",@progbits,_ZN2at6native12_GLOBAL__N_119CatArrayBatchedCopyINS1_10OpaqueTypeILj2EEEjLi1ELi128ELi1EEEvPT_NS1_25CatArrInputTensorMetadataIS5_T0_XT2_EXT3_EEENS1_16TensorSizeStrideIS8_Lj4EEEiS8_,comdat
	.globl	_ZN2at6native12_GLOBAL__N_119CatArrayBatchedCopyINS1_10OpaqueTypeILj2EEEjLi1ELi128ELi1EEEvPT_NS1_25CatArrInputTensorMetadataIS5_T0_XT2_EXT3_EEENS1_16TensorSizeStrideIS8_Lj4EEEiS8_ ; -- Begin function _ZN2at6native12_GLOBAL__N_119CatArrayBatchedCopyINS1_10OpaqueTypeILj2EEEjLi1ELi128ELi1EEEvPT_NS1_25CatArrInputTensorMetadataIS5_T0_XT2_EXT3_EEENS1_16TensorSizeStrideIS8_Lj4EEEiS8_
	.p2align	8
	.type	_ZN2at6native12_GLOBAL__N_119CatArrayBatchedCopyINS1_10OpaqueTypeILj2EEEjLi1ELi128ELi1EEEvPT_NS1_25CatArrInputTensorMetadataIS5_T0_XT2_EXT3_EEENS1_16TensorSizeStrideIS8_Lj4EEEiS8_,@function
_ZN2at6native12_GLOBAL__N_119CatArrayBatchedCopyINS1_10OpaqueTypeILj2EEEjLi1ELi128ELi1EEEvPT_NS1_25CatArrInputTensorMetadataIS5_T0_XT2_EXT3_EEENS1_16TensorSizeStrideIS8_Lj4EEEiS8_: ; @_ZN2at6native12_GLOBAL__N_119CatArrayBatchedCopyINS1_10OpaqueTypeILj2EEEjLi1ELi128ELi1EEEvPT_NS1_25CatArrInputTensorMetadataIS5_T0_XT2_EXT3_EEENS1_16TensorSizeStrideIS8_Lj4EEEiS8_
; %bb.0:
	s_mov_b32 s0, s7
	s_load_dword s7, s[4:5], 0xadc
	s_or_b32 s8, s4, 8
	s_mov_b32 s1, 0
	s_add_u32 s2, s4, 0xad0
	s_addc_u32 s3, s5, 0
	s_lshl_b64 s[10:11], s[0:1], 2
	s_waitcnt lgkmcnt(0)
	s_and_b32 s14, s7, 0xffff
	s_add_u32 s12, s8, s10
	s_addc_u32 s13, s5, s11
	v_mad_u64_u32 v[0:1], null, s6, s14, v[0:1]
	s_load_dword s7, s[12:13], 0x800
	s_mov_b32 s6, exec_lo
	s_waitcnt lgkmcnt(0)
	v_cmpx_gt_u32_e64 s7, v0
	s_cbranch_execz .LBB24_3
; %bb.1:
	v_mov_b32_e32 v1, 0x800
	s_add_u32 s16, s8, s0
	s_addc_u32 s17, s5, 0
	s_mov_b32 s9, s5
	global_load_ubyte v1, v1, s[16:17] offset:512
	s_clause 0x1
	s_load_dword s6, s[8:9], 0xa90
	s_load_dword s15, s[4:5], 0xab8
	s_waitcnt lgkmcnt(0)
	v_mul_lo_u32 v2, s15, v0
	s_waitcnt vmcnt(0)
	v_readfirstlane_b32 s0, v1
	s_and_b32 s0, 1, s0
	s_add_u32 s8, s12, s10
	s_addc_u32 s9, s13, s11
	s_sub_u32 s10, 0, s10
	s_subb_u32 s11, 0, s11
	s_add_u32 s10, s8, s10
	s_addc_u32 s11, s9, s11
	s_clause 0x1
	s_load_dword s12, s[4:5], 0xacc
	s_load_dword s10, s[10:11], 0x400
	;; [unrolled: 1-line block ×3, first 2 shown]
	s_clause 0x1
	s_load_dwordx2 s[2:3], s[4:5], 0x0
	s_load_dwordx2 s[4:5], s[8:9], 0x0
	s_cmp_eq_u32 s0, 1
	s_cselect_b32 s0, 1, s6
	v_mul_lo_u32 v1, s0, v0
	s_waitcnt lgkmcnt(0)
	v_mad_u64_u32 v[3:4], null, s10, s12, v[2:3]
	v_mov_b32_e32 v2, 0
	s_mul_i32 s6, s11, s14
	s_mul_i32 s8, s6, s0
	;; [unrolled: 1-line block ×3, first 2 shown]
	.p2align	6
.LBB24_2:                               ; =>This Inner Loop Header: Depth=1
	v_lshlrev_b64 v[4:5], 1, v[1:2]
	v_add_nc_u32_e32 v0, s6, v0
	v_add_nc_u32_e32 v1, s8, v1
	v_add_co_u32 v4, vcc_lo, s4, v4
	v_add_co_ci_u32_e64 v5, null, s5, v5, vcc_lo
	v_cmp_le_u32_e32 vcc_lo, s7, v0
	global_load_ushort v6, v[4:5], off
	v_mov_b32_e32 v4, v2
	s_or_b32 s1, vcc_lo, s1
	v_lshlrev_b64 v[4:5], 1, v[3:4]
	v_add_nc_u32_e32 v3, s9, v3
	v_add_co_u32 v4, s0, s2, v4
	v_add_co_ci_u32_e64 v5, null, s3, v5, s0
	s_waitcnt vmcnt(0)
	global_store_short v[4:5], v6, off
	s_andn2_b32 exec_lo, exec_lo, s1
	s_cbranch_execnz .LBB24_2
.LBB24_3:
	s_endpgm
	.section	.rodata,"a",@progbits
	.p2align	6, 0x0
	.amdhsa_kernel _ZN2at6native12_GLOBAL__N_119CatArrayBatchedCopyINS1_10OpaqueTypeILj2EEEjLi1ELi128ELi1EEEvPT_NS1_25CatArrInputTensorMetadataIS5_T0_XT2_EXT3_EEENS1_16TensorSizeStrideIS8_Lj4EEEiS8_
		.amdhsa_group_segment_fixed_size 0
		.amdhsa_private_segment_fixed_size 0
		.amdhsa_kernarg_size 3024
		.amdhsa_user_sgpr_count 6
		.amdhsa_user_sgpr_private_segment_buffer 1
		.amdhsa_user_sgpr_dispatch_ptr 0
		.amdhsa_user_sgpr_queue_ptr 0
		.amdhsa_user_sgpr_kernarg_segment_ptr 1
		.amdhsa_user_sgpr_dispatch_id 0
		.amdhsa_user_sgpr_flat_scratch_init 0
		.amdhsa_user_sgpr_private_segment_size 0
		.amdhsa_wavefront_size32 1
		.amdhsa_uses_dynamic_stack 0
		.amdhsa_system_sgpr_private_segment_wavefront_offset 0
		.amdhsa_system_sgpr_workgroup_id_x 1
		.amdhsa_system_sgpr_workgroup_id_y 1
		.amdhsa_system_sgpr_workgroup_id_z 0
		.amdhsa_system_sgpr_workgroup_info 0
		.amdhsa_system_vgpr_workitem_id 0
		.amdhsa_next_free_vgpr 7
		.amdhsa_next_free_sgpr 18
		.amdhsa_reserve_vcc 1
		.amdhsa_reserve_flat_scratch 0
		.amdhsa_float_round_mode_32 0
		.amdhsa_float_round_mode_16_64 0
		.amdhsa_float_denorm_mode_32 3
		.amdhsa_float_denorm_mode_16_64 3
		.amdhsa_dx10_clamp 1
		.amdhsa_ieee_mode 1
		.amdhsa_fp16_overflow 0
		.amdhsa_workgroup_processor_mode 1
		.amdhsa_memory_ordered 1
		.amdhsa_forward_progress 1
		.amdhsa_shared_vgpr_count 0
		.amdhsa_exception_fp_ieee_invalid_op 0
		.amdhsa_exception_fp_denorm_src 0
		.amdhsa_exception_fp_ieee_div_zero 0
		.amdhsa_exception_fp_ieee_overflow 0
		.amdhsa_exception_fp_ieee_underflow 0
		.amdhsa_exception_fp_ieee_inexact 0
		.amdhsa_exception_int_div_zero 0
	.end_amdhsa_kernel
	.section	.text._ZN2at6native12_GLOBAL__N_119CatArrayBatchedCopyINS1_10OpaqueTypeILj2EEEjLi1ELi128ELi1EEEvPT_NS1_25CatArrInputTensorMetadataIS5_T0_XT2_EXT3_EEENS1_16TensorSizeStrideIS8_Lj4EEEiS8_,"axG",@progbits,_ZN2at6native12_GLOBAL__N_119CatArrayBatchedCopyINS1_10OpaqueTypeILj2EEEjLi1ELi128ELi1EEEvPT_NS1_25CatArrInputTensorMetadataIS5_T0_XT2_EXT3_EEENS1_16TensorSizeStrideIS8_Lj4EEEiS8_,comdat
.Lfunc_end24:
	.size	_ZN2at6native12_GLOBAL__N_119CatArrayBatchedCopyINS1_10OpaqueTypeILj2EEEjLi1ELi128ELi1EEEvPT_NS1_25CatArrInputTensorMetadataIS5_T0_XT2_EXT3_EEENS1_16TensorSizeStrideIS8_Lj4EEEiS8_, .Lfunc_end24-_ZN2at6native12_GLOBAL__N_119CatArrayBatchedCopyINS1_10OpaqueTypeILj2EEEjLi1ELi128ELi1EEEvPT_NS1_25CatArrInputTensorMetadataIS5_T0_XT2_EXT3_EEENS1_16TensorSizeStrideIS8_Lj4EEEiS8_
                                        ; -- End function
	.set _ZN2at6native12_GLOBAL__N_119CatArrayBatchedCopyINS1_10OpaqueTypeILj2EEEjLi1ELi128ELi1EEEvPT_NS1_25CatArrInputTensorMetadataIS5_T0_XT2_EXT3_EEENS1_16TensorSizeStrideIS8_Lj4EEEiS8_.num_vgpr, 7
	.set _ZN2at6native12_GLOBAL__N_119CatArrayBatchedCopyINS1_10OpaqueTypeILj2EEEjLi1ELi128ELi1EEEvPT_NS1_25CatArrInputTensorMetadataIS5_T0_XT2_EXT3_EEENS1_16TensorSizeStrideIS8_Lj4EEEiS8_.num_agpr, 0
	.set _ZN2at6native12_GLOBAL__N_119CatArrayBatchedCopyINS1_10OpaqueTypeILj2EEEjLi1ELi128ELi1EEEvPT_NS1_25CatArrInputTensorMetadataIS5_T0_XT2_EXT3_EEENS1_16TensorSizeStrideIS8_Lj4EEEiS8_.numbered_sgpr, 18
	.set _ZN2at6native12_GLOBAL__N_119CatArrayBatchedCopyINS1_10OpaqueTypeILj2EEEjLi1ELi128ELi1EEEvPT_NS1_25CatArrInputTensorMetadataIS5_T0_XT2_EXT3_EEENS1_16TensorSizeStrideIS8_Lj4EEEiS8_.num_named_barrier, 0
	.set _ZN2at6native12_GLOBAL__N_119CatArrayBatchedCopyINS1_10OpaqueTypeILj2EEEjLi1ELi128ELi1EEEvPT_NS1_25CatArrInputTensorMetadataIS5_T0_XT2_EXT3_EEENS1_16TensorSizeStrideIS8_Lj4EEEiS8_.private_seg_size, 0
	.set _ZN2at6native12_GLOBAL__N_119CatArrayBatchedCopyINS1_10OpaqueTypeILj2EEEjLi1ELi128ELi1EEEvPT_NS1_25CatArrInputTensorMetadataIS5_T0_XT2_EXT3_EEENS1_16TensorSizeStrideIS8_Lj4EEEiS8_.uses_vcc, 1
	.set _ZN2at6native12_GLOBAL__N_119CatArrayBatchedCopyINS1_10OpaqueTypeILj2EEEjLi1ELi128ELi1EEEvPT_NS1_25CatArrInputTensorMetadataIS5_T0_XT2_EXT3_EEENS1_16TensorSizeStrideIS8_Lj4EEEiS8_.uses_flat_scratch, 0
	.set _ZN2at6native12_GLOBAL__N_119CatArrayBatchedCopyINS1_10OpaqueTypeILj2EEEjLi1ELi128ELi1EEEvPT_NS1_25CatArrInputTensorMetadataIS5_T0_XT2_EXT3_EEENS1_16TensorSizeStrideIS8_Lj4EEEiS8_.has_dyn_sized_stack, 0
	.set _ZN2at6native12_GLOBAL__N_119CatArrayBatchedCopyINS1_10OpaqueTypeILj2EEEjLi1ELi128ELi1EEEvPT_NS1_25CatArrInputTensorMetadataIS5_T0_XT2_EXT3_EEENS1_16TensorSizeStrideIS8_Lj4EEEiS8_.has_recursion, 0
	.set _ZN2at6native12_GLOBAL__N_119CatArrayBatchedCopyINS1_10OpaqueTypeILj2EEEjLi1ELi128ELi1EEEvPT_NS1_25CatArrInputTensorMetadataIS5_T0_XT2_EXT3_EEENS1_16TensorSizeStrideIS8_Lj4EEEiS8_.has_indirect_call, 0
	.section	.AMDGPU.csdata,"",@progbits
; Kernel info:
; codeLenInByte = 424
; TotalNumSgprs: 20
; NumVgprs: 7
; ScratchSize: 0
; MemoryBound: 0
; FloatMode: 240
; IeeeMode: 1
; LDSByteSize: 0 bytes/workgroup (compile time only)
; SGPRBlocks: 0
; VGPRBlocks: 0
; NumSGPRsForWavesPerEU: 20
; NumVGPRsForWavesPerEU: 7
; Occupancy: 16
; WaveLimiterHint : 1
; COMPUTE_PGM_RSRC2:SCRATCH_EN: 0
; COMPUTE_PGM_RSRC2:USER_SGPR: 6
; COMPUTE_PGM_RSRC2:TRAP_HANDLER: 0
; COMPUTE_PGM_RSRC2:TGID_X_EN: 1
; COMPUTE_PGM_RSRC2:TGID_Y_EN: 1
; COMPUTE_PGM_RSRC2:TGID_Z_EN: 0
; COMPUTE_PGM_RSRC2:TIDIG_COMP_CNT: 0
	.section	.text._ZN2at6native12_GLOBAL__N_130CatArrayBatchedCopy_vectorizedINS1_10OpaqueTypeILj2EEEjLi2ELi128ELi1ELi16ELi8EEEvPcNS1_25CatArrInputTensorMetadataIT_T0_XT2_EXT3_EEENS1_16TensorSizeStrideIS8_Lj4EEEiS8_,"axG",@progbits,_ZN2at6native12_GLOBAL__N_130CatArrayBatchedCopy_vectorizedINS1_10OpaqueTypeILj2EEEjLi2ELi128ELi1ELi16ELi8EEEvPcNS1_25CatArrInputTensorMetadataIT_T0_XT2_EXT3_EEENS1_16TensorSizeStrideIS8_Lj4EEEiS8_,comdat
	.globl	_ZN2at6native12_GLOBAL__N_130CatArrayBatchedCopy_vectorizedINS1_10OpaqueTypeILj2EEEjLi2ELi128ELi1ELi16ELi8EEEvPcNS1_25CatArrInputTensorMetadataIT_T0_XT2_EXT3_EEENS1_16TensorSizeStrideIS8_Lj4EEEiS8_ ; -- Begin function _ZN2at6native12_GLOBAL__N_130CatArrayBatchedCopy_vectorizedINS1_10OpaqueTypeILj2EEEjLi2ELi128ELi1ELi16ELi8EEEvPcNS1_25CatArrInputTensorMetadataIT_T0_XT2_EXT3_EEENS1_16TensorSizeStrideIS8_Lj4EEEiS8_
	.p2align	8
	.type	_ZN2at6native12_GLOBAL__N_130CatArrayBatchedCopy_vectorizedINS1_10OpaqueTypeILj2EEEjLi2ELi128ELi1ELi16ELi8EEEvPcNS1_25CatArrInputTensorMetadataIT_T0_XT2_EXT3_EEENS1_16TensorSizeStrideIS8_Lj4EEEiS8_,@function
_ZN2at6native12_GLOBAL__N_130CatArrayBatchedCopy_vectorizedINS1_10OpaqueTypeILj2EEEjLi2ELi128ELi1ELi16ELi8EEEvPcNS1_25CatArrInputTensorMetadataIT_T0_XT2_EXT3_EEENS1_16TensorSizeStrideIS8_Lj4EEEiS8_: ; @_ZN2at6native12_GLOBAL__N_130CatArrayBatchedCopy_vectorizedINS1_10OpaqueTypeILj2EEEjLi2ELi128ELi1ELi16ELi8EEEvPcNS1_25CatArrInputTensorMetadataIT_T0_XT2_EXT3_EEENS1_16TensorSizeStrideIS8_Lj4EEEiS8_
; %bb.0:
	s_mov_b32 s0, s7
	s_load_dword s7, s[4:5], 0xadc
	s_mov_b32 s1, 0
	s_add_u32 s8, s4, 0xad0
	s_addc_u32 s9, s5, 0
	s_lshl_b64 s[2:3], s[0:1], 2
	s_waitcnt lgkmcnt(0)
	s_and_b32 s13, s7, 0xffff
	s_add_u32 s10, s4, s2
	s_addc_u32 s11, s5, s3
	v_mad_u64_u32 v[0:1], null, s6, s13, v[0:1]
	s_load_dword s12, s[10:11], 0x808
	s_add_u32 s0, s10, 8
	s_addc_u32 s7, s11, 0
	s_mov_b32 s10, exec_lo
	s_waitcnt lgkmcnt(0)
	s_lshr_b32 s6, s12, 3
	v_cmpx_gt_u32_e64 s6, v0
	s_cbranch_execz .LBB25_3
; %bb.1:
	s_add_u32 s14, s0, s2
	s_addc_u32 s15, s7, s3
	s_sub_u32 s0, 0, s2
	s_subb_u32 s3, 0, s3
	s_add_u32 s2, s14, s0
	s_addc_u32 s3, s15, s3
	s_clause 0x5
	s_load_dwordx2 s[10:11], s[4:5], 0xac8
	s_load_dword s0, s[2:3], 0x400
	s_load_dword s7, s[2:3], 0x600
	;; [unrolled: 1-line block ×3, first 2 shown]
	s_load_dwordx2 s[2:3], s[4:5], 0xab8
	s_load_dwordx2 s[4:5], s[4:5], 0x0
	s_load_dword s8, s[8:9], 0x0
	s_waitcnt lgkmcnt(0)
	s_mul_i32 s0, s0, s11
	s_mul_i32 s7, s7, s11
	s_lshr_b32 s0, s0, 3
	s_lshr_b32 s7, s7, 3
	s_lshl_b64 s[16:17], s[0:1], 4
	s_cmp_eq_u32 s10, 1
	s_mul_i32 s8, s8, s13
	s_cselect_b32 s7, s7, s12
	s_add_u32 s10, s4, s16
	v_cvt_f32_u32_e32 v1, s7
	s_addc_u32 s11, s5, s17
	s_sub_i32 s12, 0, s7
	s_load_dwordx2 s[4:5], s[14:15], 0x0
	v_rcp_iflag_f32_e32 v1, v1
	v_mul_f32_e32 v1, 0x4f7ffffe, v1
	v_cvt_u32_f32_e32 v1, v1
	v_mul_lo_u32 v2, s12, v1
	v_mul_hi_u32 v2, v1, v2
	v_add_nc_u32_e32 v2, v1, v2
	v_mov_b32_e32 v1, 0
	s_inst_prefetch 0x1
	.p2align	6
.LBB25_2:                               ; =>This Inner Loop Header: Depth=1
	v_lshlrev_b64 v[3:4], 4, v[0:1]
	v_mul_hi_u32 v9, v2, v0
	s_waitcnt lgkmcnt(0)
	v_add_co_u32 v3, vcc_lo, s4, v3
	v_add_co_ci_u32_e64 v4, null, s5, v4, vcc_lo
	v_mul_lo_u32 v10, s7, v9
	v_not_b32_e32 v7, v9
	v_add_nc_u32_e32 v11, 1, v9
	global_load_dwordx4 v[3:6], v[3:4], off
	v_mad_u64_u32 v[7:8], null, s7, v7, v[0:1]
	v_sub_nc_u32_e32 v8, v0, v10
	v_cmp_le_u32_e32 vcc_lo, s7, v8
	v_cndmask_b32_e32 v9, v9, v11, vcc_lo
	v_cndmask_b32_e32 v7, v8, v7, vcc_lo
	v_add_nc_u32_e32 v8, 1, v9
	v_cmp_le_u32_e32 vcc_lo, s7, v7
	v_cndmask_b32_e32 v9, v9, v8, vcc_lo
	v_mad_u64_u32 v[7:8], null, s12, v9, v[0:1]
	v_mul_lo_u32 v8, v9, s2
	v_add_nc_u32_e32 v0, s8, v0
	v_cmp_le_u32_e32 vcc_lo, s6, v0
	v_mad_u64_u32 v[7:8], null, v7, s3, v[8:9]
	v_mov_b32_e32 v8, v1
	s_or_b32 s1, vcc_lo, s1
	v_lshlrev_b64 v[7:8], 4, v[7:8]
	v_add_co_u32 v7, s0, s10, v7
	v_add_co_ci_u32_e64 v8, null, s11, v8, s0
	s_waitcnt vmcnt(0)
	global_store_dwordx4 v[7:8], v[3:6], off
	s_andn2_b32 exec_lo, exec_lo, s1
	s_cbranch_execnz .LBB25_2
.LBB25_3:
	s_inst_prefetch 0x2
	s_endpgm
	.section	.rodata,"a",@progbits
	.p2align	6, 0x0
	.amdhsa_kernel _ZN2at6native12_GLOBAL__N_130CatArrayBatchedCopy_vectorizedINS1_10OpaqueTypeILj2EEEjLi2ELi128ELi1ELi16ELi8EEEvPcNS1_25CatArrInputTensorMetadataIT_T0_XT2_EXT3_EEENS1_16TensorSizeStrideIS8_Lj4EEEiS8_
		.amdhsa_group_segment_fixed_size 0
		.amdhsa_private_segment_fixed_size 0
		.amdhsa_kernarg_size 3024
		.amdhsa_user_sgpr_count 6
		.amdhsa_user_sgpr_private_segment_buffer 1
		.amdhsa_user_sgpr_dispatch_ptr 0
		.amdhsa_user_sgpr_queue_ptr 0
		.amdhsa_user_sgpr_kernarg_segment_ptr 1
		.amdhsa_user_sgpr_dispatch_id 0
		.amdhsa_user_sgpr_flat_scratch_init 0
		.amdhsa_user_sgpr_private_segment_size 0
		.amdhsa_wavefront_size32 1
		.amdhsa_uses_dynamic_stack 0
		.amdhsa_system_sgpr_private_segment_wavefront_offset 0
		.amdhsa_system_sgpr_workgroup_id_x 1
		.amdhsa_system_sgpr_workgroup_id_y 1
		.amdhsa_system_sgpr_workgroup_id_z 0
		.amdhsa_system_sgpr_workgroup_info 0
		.amdhsa_system_vgpr_workitem_id 0
		.amdhsa_next_free_vgpr 12
		.amdhsa_next_free_sgpr 18
		.amdhsa_reserve_vcc 1
		.amdhsa_reserve_flat_scratch 0
		.amdhsa_float_round_mode_32 0
		.amdhsa_float_round_mode_16_64 0
		.amdhsa_float_denorm_mode_32 3
		.amdhsa_float_denorm_mode_16_64 3
		.amdhsa_dx10_clamp 1
		.amdhsa_ieee_mode 1
		.amdhsa_fp16_overflow 0
		.amdhsa_workgroup_processor_mode 1
		.amdhsa_memory_ordered 1
		.amdhsa_forward_progress 1
		.amdhsa_shared_vgpr_count 0
		.amdhsa_exception_fp_ieee_invalid_op 0
		.amdhsa_exception_fp_denorm_src 0
		.amdhsa_exception_fp_ieee_div_zero 0
		.amdhsa_exception_fp_ieee_overflow 0
		.amdhsa_exception_fp_ieee_underflow 0
		.amdhsa_exception_fp_ieee_inexact 0
		.amdhsa_exception_int_div_zero 0
	.end_amdhsa_kernel
	.section	.text._ZN2at6native12_GLOBAL__N_130CatArrayBatchedCopy_vectorizedINS1_10OpaqueTypeILj2EEEjLi2ELi128ELi1ELi16ELi8EEEvPcNS1_25CatArrInputTensorMetadataIT_T0_XT2_EXT3_EEENS1_16TensorSizeStrideIS8_Lj4EEEiS8_,"axG",@progbits,_ZN2at6native12_GLOBAL__N_130CatArrayBatchedCopy_vectorizedINS1_10OpaqueTypeILj2EEEjLi2ELi128ELi1ELi16ELi8EEEvPcNS1_25CatArrInputTensorMetadataIT_T0_XT2_EXT3_EEENS1_16TensorSizeStrideIS8_Lj4EEEiS8_,comdat
.Lfunc_end25:
	.size	_ZN2at6native12_GLOBAL__N_130CatArrayBatchedCopy_vectorizedINS1_10OpaqueTypeILj2EEEjLi2ELi128ELi1ELi16ELi8EEEvPcNS1_25CatArrInputTensorMetadataIT_T0_XT2_EXT3_EEENS1_16TensorSizeStrideIS8_Lj4EEEiS8_, .Lfunc_end25-_ZN2at6native12_GLOBAL__N_130CatArrayBatchedCopy_vectorizedINS1_10OpaqueTypeILj2EEEjLi2ELi128ELi1ELi16ELi8EEEvPcNS1_25CatArrInputTensorMetadataIT_T0_XT2_EXT3_EEENS1_16TensorSizeStrideIS8_Lj4EEEiS8_
                                        ; -- End function
	.set _ZN2at6native12_GLOBAL__N_130CatArrayBatchedCopy_vectorizedINS1_10OpaqueTypeILj2EEEjLi2ELi128ELi1ELi16ELi8EEEvPcNS1_25CatArrInputTensorMetadataIT_T0_XT2_EXT3_EEENS1_16TensorSizeStrideIS8_Lj4EEEiS8_.num_vgpr, 12
	.set _ZN2at6native12_GLOBAL__N_130CatArrayBatchedCopy_vectorizedINS1_10OpaqueTypeILj2EEEjLi2ELi128ELi1ELi16ELi8EEEvPcNS1_25CatArrInputTensorMetadataIT_T0_XT2_EXT3_EEENS1_16TensorSizeStrideIS8_Lj4EEEiS8_.num_agpr, 0
	.set _ZN2at6native12_GLOBAL__N_130CatArrayBatchedCopy_vectorizedINS1_10OpaqueTypeILj2EEEjLi2ELi128ELi1ELi16ELi8EEEvPcNS1_25CatArrInputTensorMetadataIT_T0_XT2_EXT3_EEENS1_16TensorSizeStrideIS8_Lj4EEEiS8_.numbered_sgpr, 18
	.set _ZN2at6native12_GLOBAL__N_130CatArrayBatchedCopy_vectorizedINS1_10OpaqueTypeILj2EEEjLi2ELi128ELi1ELi16ELi8EEEvPcNS1_25CatArrInputTensorMetadataIT_T0_XT2_EXT3_EEENS1_16TensorSizeStrideIS8_Lj4EEEiS8_.num_named_barrier, 0
	.set _ZN2at6native12_GLOBAL__N_130CatArrayBatchedCopy_vectorizedINS1_10OpaqueTypeILj2EEEjLi2ELi128ELi1ELi16ELi8EEEvPcNS1_25CatArrInputTensorMetadataIT_T0_XT2_EXT3_EEENS1_16TensorSizeStrideIS8_Lj4EEEiS8_.private_seg_size, 0
	.set _ZN2at6native12_GLOBAL__N_130CatArrayBatchedCopy_vectorizedINS1_10OpaqueTypeILj2EEEjLi2ELi128ELi1ELi16ELi8EEEvPcNS1_25CatArrInputTensorMetadataIT_T0_XT2_EXT3_EEENS1_16TensorSizeStrideIS8_Lj4EEEiS8_.uses_vcc, 1
	.set _ZN2at6native12_GLOBAL__N_130CatArrayBatchedCopy_vectorizedINS1_10OpaqueTypeILj2EEEjLi2ELi128ELi1ELi16ELi8EEEvPcNS1_25CatArrInputTensorMetadataIT_T0_XT2_EXT3_EEENS1_16TensorSizeStrideIS8_Lj4EEEiS8_.uses_flat_scratch, 0
	.set _ZN2at6native12_GLOBAL__N_130CatArrayBatchedCopy_vectorizedINS1_10OpaqueTypeILj2EEEjLi2ELi128ELi1ELi16ELi8EEEvPcNS1_25CatArrInputTensorMetadataIT_T0_XT2_EXT3_EEENS1_16TensorSizeStrideIS8_Lj4EEEiS8_.has_dyn_sized_stack, 0
	.set _ZN2at6native12_GLOBAL__N_130CatArrayBatchedCopy_vectorizedINS1_10OpaqueTypeILj2EEEjLi2ELi128ELi1ELi16ELi8EEEvPcNS1_25CatArrInputTensorMetadataIT_T0_XT2_EXT3_EEENS1_16TensorSizeStrideIS8_Lj4EEEiS8_.has_recursion, 0
	.set _ZN2at6native12_GLOBAL__N_130CatArrayBatchedCopy_vectorizedINS1_10OpaqueTypeILj2EEEjLi2ELi128ELi1ELi16ELi8EEEvPcNS1_25CatArrInputTensorMetadataIT_T0_XT2_EXT3_EEENS1_16TensorSizeStrideIS8_Lj4EEEiS8_.has_indirect_call, 0
	.section	.AMDGPU.csdata,"",@progbits
; Kernel info:
; codeLenInByte = 508
; TotalNumSgprs: 20
; NumVgprs: 12
; ScratchSize: 0
; MemoryBound: 0
; FloatMode: 240
; IeeeMode: 1
; LDSByteSize: 0 bytes/workgroup (compile time only)
; SGPRBlocks: 0
; VGPRBlocks: 1
; NumSGPRsForWavesPerEU: 20
; NumVGPRsForWavesPerEU: 12
; Occupancy: 16
; WaveLimiterHint : 1
; COMPUTE_PGM_RSRC2:SCRATCH_EN: 0
; COMPUTE_PGM_RSRC2:USER_SGPR: 6
; COMPUTE_PGM_RSRC2:TRAP_HANDLER: 0
; COMPUTE_PGM_RSRC2:TGID_X_EN: 1
; COMPUTE_PGM_RSRC2:TGID_Y_EN: 1
; COMPUTE_PGM_RSRC2:TGID_Z_EN: 0
; COMPUTE_PGM_RSRC2:TIDIG_COMP_CNT: 0
	.section	.text._ZN2at6native12_GLOBAL__N_135CatArrayBatchedCopy_alignedK_contigINS1_10OpaqueTypeILj2EEEjLi2ELi128ELi1ELi16EEEvPT_NS1_25CatArrInputTensorMetadataIS5_T0_XT2_EXT3_EEENS1_16TensorSizeStrideIS8_Lj4EEEiS8_,"axG",@progbits,_ZN2at6native12_GLOBAL__N_135CatArrayBatchedCopy_alignedK_contigINS1_10OpaqueTypeILj2EEEjLi2ELi128ELi1ELi16EEEvPT_NS1_25CatArrInputTensorMetadataIS5_T0_XT2_EXT3_EEENS1_16TensorSizeStrideIS8_Lj4EEEiS8_,comdat
	.globl	_ZN2at6native12_GLOBAL__N_135CatArrayBatchedCopy_alignedK_contigINS1_10OpaqueTypeILj2EEEjLi2ELi128ELi1ELi16EEEvPT_NS1_25CatArrInputTensorMetadataIS5_T0_XT2_EXT3_EEENS1_16TensorSizeStrideIS8_Lj4EEEiS8_ ; -- Begin function _ZN2at6native12_GLOBAL__N_135CatArrayBatchedCopy_alignedK_contigINS1_10OpaqueTypeILj2EEEjLi2ELi128ELi1ELi16EEEvPT_NS1_25CatArrInputTensorMetadataIS5_T0_XT2_EXT3_EEENS1_16TensorSizeStrideIS8_Lj4EEEiS8_
	.p2align	8
	.type	_ZN2at6native12_GLOBAL__N_135CatArrayBatchedCopy_alignedK_contigINS1_10OpaqueTypeILj2EEEjLi2ELi128ELi1ELi16EEEvPT_NS1_25CatArrInputTensorMetadataIS5_T0_XT2_EXT3_EEENS1_16TensorSizeStrideIS8_Lj4EEEiS8_,@function
_ZN2at6native12_GLOBAL__N_135CatArrayBatchedCopy_alignedK_contigINS1_10OpaqueTypeILj2EEEjLi2ELi128ELi1ELi16EEEvPT_NS1_25CatArrInputTensorMetadataIS5_T0_XT2_EXT3_EEENS1_16TensorSizeStrideIS8_Lj4EEEiS8_: ; @_ZN2at6native12_GLOBAL__N_135CatArrayBatchedCopy_alignedK_contigINS1_10OpaqueTypeILj2EEEjLi2ELi128ELi1ELi16EEEvPT_NS1_25CatArrInputTensorMetadataIS5_T0_XT2_EXT3_EEENS1_16TensorSizeStrideIS8_Lj4EEEiS8_
; %bb.0:
	s_mov_b32 s2, s7
	s_load_dword s7, s[4:5], 0xadc
	s_mov_b32 s3, 0
	s_add_u32 s0, s4, 0xad0
	s_addc_u32 s1, s5, 0
	s_lshl_b64 s[2:3], s[2:3], 2
	s_waitcnt lgkmcnt(0)
	s_and_b32 s14, s7, 0xffff
	s_add_u32 s8, s4, s2
	s_addc_u32 s9, s5, s3
	s_mul_i32 s6, s6, s14
	s_load_dword s15, s[8:9], 0x808
	v_add_lshl_u32 v0, s6, v0, 3
	s_add_u32 s6, s8, 8
	s_addc_u32 s7, s9, 0
	s_mov_b32 s8, exec_lo
	s_waitcnt lgkmcnt(0)
	v_cmpx_gt_u32_e64 s15, v0
	s_cbranch_execz .LBB26_8
; %bb.1:
	s_add_u32 s10, s6, s2
	s_addc_u32 s11, s7, s3
	s_sub_u32 s2, 0, s2
	s_subb_u32 s3, 0, s3
	s_add_u32 s2, s10, s2
	s_addc_u32 s3, s11, s3
	s_clause 0x6
	s_load_dwordx2 s[6:7], s[4:5], 0x0
	s_load_dwordx2 s[12:13], s[4:5], 0xac8
	s_load_dword s16, s[4:5], 0xaac
	s_load_dwordx2 s[8:9], s[4:5], 0xab8
	s_load_dword s4, s[2:3], 0x400
	;; [unrolled: 2-line block ×3, first 2 shown]
	v_add_nc_u32_e32 v1, 8, v0
	s_mov_b32 s18, exec_lo
	s_waitcnt lgkmcnt(0)
	s_mul_i32 s13, s4, s13
	v_cmpx_ge_u32_e64 s15, v1
	s_cbranch_execz .LBB26_5
; %bb.2:
	s_load_dword s0, s[0:1], 0x0
	v_add_nc_u32_e32 v2, 7, v0
	v_add_nc_u32_e32 v3, 6, v0
	;; [unrolled: 1-line block ×6, first 2 shown]
	s_mov_b32 s22, 0
	s_waitcnt lgkmcnt(0)
	s_mul_i32 s0, s0, s14
	s_mov_b32 s14, s9
	s_lshl_b32 s19, s0, 3
	s_cmp_eq_u32 s12, 1
	s_cselect_b32 s20, s17, s16
	v_cvt_f32_u32_e32 v1, s20
	s_sub_i32 s21, 0, s20
	v_rcp_iflag_f32_e32 v1, v1
	v_mul_f32_e32 v1, 0x4f7ffffe, v1
	v_cvt_u32_f32_e32 v8, v1
	v_mul_lo_u32 v1, s21, v8
	v_mul_hi_u32 v9, v8, v1
	v_mov_b32_e32 v1, 0
	v_add_nc_u32_e32 v8, v8, v9
	v_add_nc_u32_e32 v9, 1, v0
.LBB26_3:                               ; =>This Inner Loop Header: Depth=1
	v_lshlrev_b64 v[10:11], 1, v[0:1]
	v_mul_hi_u32 v22, v8, v0
	v_mul_hi_u32 v38, v8, v9
	v_add_nc_u32_e32 v14, 1, v0
	v_add_nc_u32_e32 v15, 2, v0
	v_mul_hi_u32 v37, v8, v7
	v_add_co_u32 v10, vcc_lo, s10, v10
	v_add_co_ci_u32_e64 v11, null, s11, v11, vcc_lo
	v_mad_u64_u32 v[34:35], null, s21, v22, v[0:1]
	v_add_nc_u32_e32 v35, 1, v22
	global_load_dwordx4 v[10:13], v[10:11], off
	v_not_b32_e32 v36, v22
	v_add_nc_u32_e32 v16, 3, v0
	v_mul_hi_u32 v39, v14, v8
	v_mul_hi_u32 v40, v15, v8
	v_cmp_le_u32_e32 vcc_lo, s20, v34
	v_mul_hi_u32 v32, v8, v6
	v_add_nc_u32_e32 v17, 4, v0
	v_mul_hi_u32 v30, v8, v5
	v_add_nc_u32_e32 v18, 5, v0
	v_cndmask_b32_e32 v22, v22, v35, vcc_lo
	v_mad_u64_u32 v[35:36], null, s20, v36, v[0:1]
	v_not_b32_e32 v36, v38
	v_mul_hi_u32 v41, v16, v8
	v_mul_hi_u32 v42, v17, v8
	v_mul_hi_u32 v28, v8, v4
	v_add_nc_u32_e32 v19, 6, v0
	v_mul_hi_u32 v26, v8, v3
	v_cndmask_b32_e32 v45, v34, v35, vcc_lo
	v_mad_u64_u32 v[34:35], null, s21, v38, v[14:15]
	v_mad_u64_u32 v[35:36], null, s20, v36, v[14:15]
	v_add_nc_u32_e32 v14, 1, v39
	v_add_nc_u32_e32 v36, 1, v40
	;; [unrolled: 1-line block ×3, first 2 shown]
	v_mul_hi_u32 v43, v18, v8
	v_cmp_le_u32_e32 vcc_lo, s20, v34
	v_mul_hi_u32 v44, v19, v8
	v_mul_hi_u32 v24, v8, v2
	v_mov_b32_e32 v21, v1
	v_mul_hi_u32 v46, v20, v8
	v_cndmask_b32_e32 v38, v34, v35, vcc_lo
	v_mad_u64_u32 v[34:35], null, s21, v37, v[15:16]
	v_cndmask_b32_e32 v14, v39, v14, vcc_lo
	v_not_b32_e32 v35, v37
	v_not_b32_e32 v39, v32
	v_cmp_le_u32_e64 s5, s20, v38
	v_mov_b32_e32 v23, v1
	v_mov_b32_e32 v25, v1
	v_cmp_le_u32_e32 vcc_lo, s20, v34
	v_mov_b32_e32 v27, v1
	v_mov_b32_e32 v29, v1
	;; [unrolled: 1-line block ×4, first 2 shown]
	v_cndmask_b32_e32 v37, v40, v36, vcc_lo
	v_mad_u64_u32 v[35:36], null, s20, v35, v[15:16]
	v_add_nc_u32_e32 v2, s19, v2
	v_add_nc_u32_e32 v3, s19, v3
	;; [unrolled: 1-line block ×6, first 2 shown]
	v_cndmask_b32_e32 v40, v34, v35, vcc_lo
	v_mad_u64_u32 v[34:35], null, s21, v32, v[16:17]
	v_mad_u64_u32 v[35:36], null, s20, v39, v[16:17]
	v_add_nc_u32_e32 v32, 1, v41
	v_add_nc_u32_e32 v9, s19, v9
	v_cmp_le_u32_e32 vcc_lo, s20, v34
	v_cndmask_b32_e32 v39, v34, v35, vcc_lo
	v_mad_u64_u32 v[34:35], null, s21, v30, v[17:18]
	v_cndmask_b32_e32 v32, v41, v32, vcc_lo
	v_not_b32_e32 v30, v30
	v_add_nc_u32_e32 v35, 1, v42
	v_not_b32_e32 v41, v28
	v_cmp_le_u32_e64 s0, s20, v39
	v_cmp_le_u32_e32 vcc_lo, s20, v34
	v_cndmask_b32_e32 v42, v42, v35, vcc_lo
	v_mad_u64_u32 v[35:36], null, s20, v30, v[17:18]
	v_cndmask_b32_e32 v30, v34, v35, vcc_lo
	v_mad_u64_u32 v[34:35], null, s21, v28, v[18:19]
	v_mad_u64_u32 v[35:36], null, s20, v41, v[18:19]
	v_add_nc_u32_e32 v28, 1, v43
	v_cmp_le_u32_e64 s1, s20, v30
	v_cmp_le_u32_e32 vcc_lo, s20, v34
	v_cndmask_b32_e32 v41, v34, v35, vcc_lo
	v_mad_u64_u32 v[34:35], null, s21, v26, v[19:20]
	v_cndmask_b32_e32 v28, v43, v28, vcc_lo
	v_not_b32_e32 v26, v26
	v_add_nc_u32_e32 v35, 1, v44
	v_not_b32_e32 v43, v24
	v_cmp_le_u32_e64 s2, s20, v41
	v_add_nc_u32_e32 v39, 1, v28
	v_cmp_le_u32_e32 vcc_lo, s20, v34
	v_cndmask_b32_e64 v28, v28, v39, s2
	v_cndmask_b32_e32 v44, v44, v35, vcc_lo
	v_mad_u64_u32 v[35:36], null, s20, v26, v[19:20]
	v_mul_lo_u32 v39, v28, s8
	v_add_nc_u32_e32 v30, 1, v44
	v_cndmask_b32_e32 v26, v34, v35, vcc_lo
	v_mad_u64_u32 v[34:35], null, s21, v24, v[20:21]
	v_mad_u64_u32 v[35:36], null, s20, v43, v[20:21]
	v_add_nc_u32_e32 v24, 1, v46
	v_add_nc_u32_e32 v36, 1, v22
	;; [unrolled: 1-line block ×3, first 2 shown]
	v_cmp_le_u32_e64 s3, s20, v26
	v_cmp_le_u32_e32 vcc_lo, s20, v34
	v_cndmask_b32_e64 v14, v14, v43, s5
	v_cndmask_b32_e64 v30, v44, v30, s3
	v_cndmask_b32_e32 v24, v46, v24, vcc_lo
	v_cndmask_b32_e32 v34, v34, v35, vcc_lo
	v_cmp_le_u32_e32 vcc_lo, s20, v45
	v_add_nc_u32_e32 v45, 1, v37
	v_mov_b32_e32 v35, v1
	v_add_nc_u32_e32 v41, 1, v24
	v_cmp_le_u32_e64 s4, s20, v34
	v_cndmask_b32_e32 v22, v22, v36, vcc_lo
	v_cmp_le_u32_e32 vcc_lo, s20, v40
	v_add_nc_u32_e32 v36, 1, v32
	v_add_nc_u32_e32 v40, 1, v42
	v_cndmask_b32_e64 v24, v24, v41, s4
	v_cndmask_b32_e32 v26, v37, v45, vcc_lo
	v_cndmask_b32_e64 v32, v32, v36, s0
	v_cndmask_b32_e64 v34, v42, v40, s1
	v_mad_u64_u32 v[36:37], null, s21, v22, v[0:1]
	v_mad_u64_u32 v[37:38], null, s21, v14, v[0:1]
	v_mul_lo_u32 v38, v14, s8
	v_mad_u64_u32 v[14:15], null, s21, v26, v[15:16]
	v_mad_u64_u32 v[15:16], null, s21, v32, v[16:17]
	;; [unrolled: 1-line block ×4, first 2 shown]
	v_add_nc_u32_e32 v0, s19, v0
	v_mad_u64_u32 v[18:19], null, s21, v30, v[19:20]
	v_mul_lo_u32 v22, v22, s8
	v_mad_u64_u32 v[19:20], null, s21, v24, v[20:21]
	v_mul_lo_u32 v41, v24, s8
	v_mul_lo_u32 v24, v36, s9
	v_mad_u64_u32 v[36:37], null, s9, v37, s[14:15]
	v_add_nc_u32_e32 v20, 8, v0
	v_mul_lo_u32 v26, v26, s8
	v_mul_lo_u32 v14, v14, s9
	;; [unrolled: 1-line block ×7, first 2 shown]
	v_cmp_lt_u32_e32 vcc_lo, s15, v20
	v_add3_u32 v20, v24, v22, s13
	v_mul_lo_u32 v40, v30, s8
	v_mul_lo_u32 v18, v18, s9
	;; [unrolled: 1-line block ×3, first 2 shown]
	v_add3_u32 v22, v36, v38, s13
	v_add3_u32 v24, v14, v26, s13
	;; [unrolled: 1-line block ×3, first 2 shown]
	v_lshlrev_b64 v[14:15], 1, v[20:21]
	v_add3_u32 v28, v16, v34, s13
	v_add3_u32 v30, v17, v39, s13
	v_lshlrev_b64 v[16:17], 1, v[22:23]
	v_add3_u32 v32, v18, v40, s13
	v_add3_u32 v34, v19, v41, s13
	v_lshlrev_b64 v[18:19], 1, v[24:25]
	s_or_b32 s22, vcc_lo, s22
	v_lshlrev_b64 v[20:21], 1, v[26:27]
	v_add_co_u32 v14, vcc_lo, s6, v14
	v_lshlrev_b64 v[22:23], 1, v[28:29]
	v_add_co_ci_u32_e64 v15, null, s7, v15, vcc_lo
	v_add_co_u32 v16, vcc_lo, s6, v16
	v_lshlrev_b64 v[24:25], 1, v[30:31]
	v_add_co_ci_u32_e64 v17, null, s7, v17, vcc_lo
	;; [unrolled: 3-line block ×4, first 2 shown]
	v_add_co_u32 v22, vcc_lo, s6, v22
	v_add_co_ci_u32_e64 v23, null, s7, v23, vcc_lo
	v_add_co_u32 v24, vcc_lo, s6, v24
	v_add_co_ci_u32_e64 v25, null, s7, v25, vcc_lo
	;; [unrolled: 2-line block ×4, first 2 shown]
	s_waitcnt vmcnt(0)
	global_store_short v[14:15], v10, off
	global_store_short_d16_hi v[16:17], v10, off
	global_store_short v[18:19], v11, off
	global_store_short_d16_hi v[20:21], v11, off
	;; [unrolled: 2-line block ×4, first 2 shown]
	s_andn2_b32 exec_lo, exec_lo, s22
	s_cbranch_execnz .LBB26_3
; %bb.4:
	s_or_b32 exec_lo, exec_lo, s22
.LBB26_5:
	s_or_b32 exec_lo, exec_lo, s18
	v_cmp_gt_u32_e32 vcc_lo, s15, v0
	s_and_b32 exec_lo, exec_lo, vcc_lo
	s_cbranch_execz .LBB26_8
; %bb.6:
	s_cmp_eq_u32 s12, 1
	v_mov_b32_e32 v2, 0
	s_cselect_b32 s2, s17, s16
	s_mov_b32 s4, 0
	v_cvt_f32_u32_e32 v1, s2
	s_sub_i32 s3, 0, s2
	v_rcp_iflag_f32_e32 v1, v1
	v_mul_f32_e32 v1, 0x4f7ffffe, v1
	v_cvt_u32_f32_e32 v3, v1
	v_mul_lo_u32 v1, s3, v3
	v_mul_hi_u32 v4, v3, v1
	v_mov_b32_e32 v1, v2
	v_lshlrev_b64 v[5:6], 1, v[0:1]
	v_add_nc_u32_e32 v7, v3, v4
	v_add_co_u32 v5, vcc_lo, s10, v5
	v_mad_u64_u32 v[3:4], null, v0, v7, 0
	v_add_co_ci_u32_e64 v6, null, s11, v6, vcc_lo
	s_inst_prefetch 0x1
	.p2align	6
.LBB26_7:                               ; =>This Inner Loop Header: Depth=1
	global_load_ushort v10, v[5:6], off
	v_mul_lo_u32 v1, s2, v4
	v_not_b32_e32 v8, v4
	v_add_nc_u32_e32 v11, 1, v4
	v_add_co_u32 v5, s0, v5, 2
	v_add_co_ci_u32_e64 v6, null, 0, v6, s0
	v_mad_u64_u32 v[8:9], null, s2, v8, v[0:1]
	v_sub_nc_u32_e32 v1, v0, v1
	v_cmp_le_u32_e32 vcc_lo, s2, v1
	v_cndmask_b32_e32 v9, v4, v11, vcc_lo
	v_cndmask_b32_e32 v1, v1, v8, vcc_lo
	v_add_nc_u32_e32 v8, 1, v9
	v_cmp_le_u32_e32 vcc_lo, s2, v1
	v_cndmask_b32_e32 v1, v9, v8, vcc_lo
	v_add_co_u32 v3, vcc_lo, v3, v7
	v_add_co_ci_u32_e64 v4, null, 0, v4, vcc_lo
	v_mad_u64_u32 v[8:9], null, s3, v1, v[0:1]
	v_mul_lo_u32 v1, v1, s8
	v_add_nc_u32_e32 v0, 1, v0
	v_mul_lo_u32 v8, v8, s9
	v_cmp_le_u32_e64 s0, s15, v0
	s_or_b32 s4, s0, s4
	v_add3_u32 v1, v8, v1, s13
	v_lshlrev_b64 v[8:9], 1, v[1:2]
	v_add_co_u32 v8, s1, s6, v8
	v_add_co_ci_u32_e64 v9, null, s7, v9, s1
	s_waitcnt vmcnt(0)
	global_store_short v[8:9], v10, off
	s_andn2_b32 exec_lo, exec_lo, s4
	s_cbranch_execnz .LBB26_7
.LBB26_8:
	s_inst_prefetch 0x2
	s_endpgm
	.section	.rodata,"a",@progbits
	.p2align	6, 0x0
	.amdhsa_kernel _ZN2at6native12_GLOBAL__N_135CatArrayBatchedCopy_alignedK_contigINS1_10OpaqueTypeILj2EEEjLi2ELi128ELi1ELi16EEEvPT_NS1_25CatArrInputTensorMetadataIS5_T0_XT2_EXT3_EEENS1_16TensorSizeStrideIS8_Lj4EEEiS8_
		.amdhsa_group_segment_fixed_size 0
		.amdhsa_private_segment_fixed_size 0
		.amdhsa_kernarg_size 3024
		.amdhsa_user_sgpr_count 6
		.amdhsa_user_sgpr_private_segment_buffer 1
		.amdhsa_user_sgpr_dispatch_ptr 0
		.amdhsa_user_sgpr_queue_ptr 0
		.amdhsa_user_sgpr_kernarg_segment_ptr 1
		.amdhsa_user_sgpr_dispatch_id 0
		.amdhsa_user_sgpr_flat_scratch_init 0
		.amdhsa_user_sgpr_private_segment_size 0
		.amdhsa_wavefront_size32 1
		.amdhsa_uses_dynamic_stack 0
		.amdhsa_system_sgpr_private_segment_wavefront_offset 0
		.amdhsa_system_sgpr_workgroup_id_x 1
		.amdhsa_system_sgpr_workgroup_id_y 1
		.amdhsa_system_sgpr_workgroup_id_z 0
		.amdhsa_system_sgpr_workgroup_info 0
		.amdhsa_system_vgpr_workitem_id 0
		.amdhsa_next_free_vgpr 47
		.amdhsa_next_free_sgpr 23
		.amdhsa_reserve_vcc 1
		.amdhsa_reserve_flat_scratch 0
		.amdhsa_float_round_mode_32 0
		.amdhsa_float_round_mode_16_64 0
		.amdhsa_float_denorm_mode_32 3
		.amdhsa_float_denorm_mode_16_64 3
		.amdhsa_dx10_clamp 1
		.amdhsa_ieee_mode 1
		.amdhsa_fp16_overflow 0
		.amdhsa_workgroup_processor_mode 1
		.amdhsa_memory_ordered 1
		.amdhsa_forward_progress 1
		.amdhsa_shared_vgpr_count 0
		.amdhsa_exception_fp_ieee_invalid_op 0
		.amdhsa_exception_fp_denorm_src 0
		.amdhsa_exception_fp_ieee_div_zero 0
		.amdhsa_exception_fp_ieee_overflow 0
		.amdhsa_exception_fp_ieee_underflow 0
		.amdhsa_exception_fp_ieee_inexact 0
		.amdhsa_exception_int_div_zero 0
	.end_amdhsa_kernel
	.section	.text._ZN2at6native12_GLOBAL__N_135CatArrayBatchedCopy_alignedK_contigINS1_10OpaqueTypeILj2EEEjLi2ELi128ELi1ELi16EEEvPT_NS1_25CatArrInputTensorMetadataIS5_T0_XT2_EXT3_EEENS1_16TensorSizeStrideIS8_Lj4EEEiS8_,"axG",@progbits,_ZN2at6native12_GLOBAL__N_135CatArrayBatchedCopy_alignedK_contigINS1_10OpaqueTypeILj2EEEjLi2ELi128ELi1ELi16EEEvPT_NS1_25CatArrInputTensorMetadataIS5_T0_XT2_EXT3_EEENS1_16TensorSizeStrideIS8_Lj4EEEiS8_,comdat
.Lfunc_end26:
	.size	_ZN2at6native12_GLOBAL__N_135CatArrayBatchedCopy_alignedK_contigINS1_10OpaqueTypeILj2EEEjLi2ELi128ELi1ELi16EEEvPT_NS1_25CatArrInputTensorMetadataIS5_T0_XT2_EXT3_EEENS1_16TensorSizeStrideIS8_Lj4EEEiS8_, .Lfunc_end26-_ZN2at6native12_GLOBAL__N_135CatArrayBatchedCopy_alignedK_contigINS1_10OpaqueTypeILj2EEEjLi2ELi128ELi1ELi16EEEvPT_NS1_25CatArrInputTensorMetadataIS5_T0_XT2_EXT3_EEENS1_16TensorSizeStrideIS8_Lj4EEEiS8_
                                        ; -- End function
	.set _ZN2at6native12_GLOBAL__N_135CatArrayBatchedCopy_alignedK_contigINS1_10OpaqueTypeILj2EEEjLi2ELi128ELi1ELi16EEEvPT_NS1_25CatArrInputTensorMetadataIS5_T0_XT2_EXT3_EEENS1_16TensorSizeStrideIS8_Lj4EEEiS8_.num_vgpr, 47
	.set _ZN2at6native12_GLOBAL__N_135CatArrayBatchedCopy_alignedK_contigINS1_10OpaqueTypeILj2EEEjLi2ELi128ELi1ELi16EEEvPT_NS1_25CatArrInputTensorMetadataIS5_T0_XT2_EXT3_EEENS1_16TensorSizeStrideIS8_Lj4EEEiS8_.num_agpr, 0
	.set _ZN2at6native12_GLOBAL__N_135CatArrayBatchedCopy_alignedK_contigINS1_10OpaqueTypeILj2EEEjLi2ELi128ELi1ELi16EEEvPT_NS1_25CatArrInputTensorMetadataIS5_T0_XT2_EXT3_EEENS1_16TensorSizeStrideIS8_Lj4EEEiS8_.numbered_sgpr, 23
	.set _ZN2at6native12_GLOBAL__N_135CatArrayBatchedCopy_alignedK_contigINS1_10OpaqueTypeILj2EEEjLi2ELi128ELi1ELi16EEEvPT_NS1_25CatArrInputTensorMetadataIS5_T0_XT2_EXT3_EEENS1_16TensorSizeStrideIS8_Lj4EEEiS8_.num_named_barrier, 0
	.set _ZN2at6native12_GLOBAL__N_135CatArrayBatchedCopy_alignedK_contigINS1_10OpaqueTypeILj2EEEjLi2ELi128ELi1ELi16EEEvPT_NS1_25CatArrInputTensorMetadataIS5_T0_XT2_EXT3_EEENS1_16TensorSizeStrideIS8_Lj4EEEiS8_.private_seg_size, 0
	.set _ZN2at6native12_GLOBAL__N_135CatArrayBatchedCopy_alignedK_contigINS1_10OpaqueTypeILj2EEEjLi2ELi128ELi1ELi16EEEvPT_NS1_25CatArrInputTensorMetadataIS5_T0_XT2_EXT3_EEENS1_16TensorSizeStrideIS8_Lj4EEEiS8_.uses_vcc, 1
	.set _ZN2at6native12_GLOBAL__N_135CatArrayBatchedCopy_alignedK_contigINS1_10OpaqueTypeILj2EEEjLi2ELi128ELi1ELi16EEEvPT_NS1_25CatArrInputTensorMetadataIS5_T0_XT2_EXT3_EEENS1_16TensorSizeStrideIS8_Lj4EEEiS8_.uses_flat_scratch, 0
	.set _ZN2at6native12_GLOBAL__N_135CatArrayBatchedCopy_alignedK_contigINS1_10OpaqueTypeILj2EEEjLi2ELi128ELi1ELi16EEEvPT_NS1_25CatArrInputTensorMetadataIS5_T0_XT2_EXT3_EEENS1_16TensorSizeStrideIS8_Lj4EEEiS8_.has_dyn_sized_stack, 0
	.set _ZN2at6native12_GLOBAL__N_135CatArrayBatchedCopy_alignedK_contigINS1_10OpaqueTypeILj2EEEjLi2ELi128ELi1ELi16EEEvPT_NS1_25CatArrInputTensorMetadataIS5_T0_XT2_EXT3_EEENS1_16TensorSizeStrideIS8_Lj4EEEiS8_.has_recursion, 0
	.set _ZN2at6native12_GLOBAL__N_135CatArrayBatchedCopy_alignedK_contigINS1_10OpaqueTypeILj2EEEjLi2ELi128ELi1ELi16EEEvPT_NS1_25CatArrInputTensorMetadataIS5_T0_XT2_EXT3_EEENS1_16TensorSizeStrideIS8_Lj4EEEiS8_.has_indirect_call, 0
	.section	.AMDGPU.csdata,"",@progbits
; Kernel info:
; codeLenInByte = 1856
; TotalNumSgprs: 25
; NumVgprs: 47
; ScratchSize: 0
; MemoryBound: 0
; FloatMode: 240
; IeeeMode: 1
; LDSByteSize: 0 bytes/workgroup (compile time only)
; SGPRBlocks: 0
; VGPRBlocks: 5
; NumSGPRsForWavesPerEU: 25
; NumVGPRsForWavesPerEU: 47
; Occupancy: 16
; WaveLimiterHint : 1
; COMPUTE_PGM_RSRC2:SCRATCH_EN: 0
; COMPUTE_PGM_RSRC2:USER_SGPR: 6
; COMPUTE_PGM_RSRC2:TRAP_HANDLER: 0
; COMPUTE_PGM_RSRC2:TGID_X_EN: 1
; COMPUTE_PGM_RSRC2:TGID_Y_EN: 1
; COMPUTE_PGM_RSRC2:TGID_Z_EN: 0
; COMPUTE_PGM_RSRC2:TIDIG_COMP_CNT: 0
	.section	.text._ZN2at6native12_GLOBAL__N_135CatArrayBatchedCopy_alignedK_contigINS1_10OpaqueTypeILj2EEEjLi2ELi128ELi1ELi8EEEvPT_NS1_25CatArrInputTensorMetadataIS5_T0_XT2_EXT3_EEENS1_16TensorSizeStrideIS8_Lj4EEEiS8_,"axG",@progbits,_ZN2at6native12_GLOBAL__N_135CatArrayBatchedCopy_alignedK_contigINS1_10OpaqueTypeILj2EEEjLi2ELi128ELi1ELi8EEEvPT_NS1_25CatArrInputTensorMetadataIS5_T0_XT2_EXT3_EEENS1_16TensorSizeStrideIS8_Lj4EEEiS8_,comdat
	.globl	_ZN2at6native12_GLOBAL__N_135CatArrayBatchedCopy_alignedK_contigINS1_10OpaqueTypeILj2EEEjLi2ELi128ELi1ELi8EEEvPT_NS1_25CatArrInputTensorMetadataIS5_T0_XT2_EXT3_EEENS1_16TensorSizeStrideIS8_Lj4EEEiS8_ ; -- Begin function _ZN2at6native12_GLOBAL__N_135CatArrayBatchedCopy_alignedK_contigINS1_10OpaqueTypeILj2EEEjLi2ELi128ELi1ELi8EEEvPT_NS1_25CatArrInputTensorMetadataIS5_T0_XT2_EXT3_EEENS1_16TensorSizeStrideIS8_Lj4EEEiS8_
	.p2align	8
	.type	_ZN2at6native12_GLOBAL__N_135CatArrayBatchedCopy_alignedK_contigINS1_10OpaqueTypeILj2EEEjLi2ELi128ELi1ELi8EEEvPT_NS1_25CatArrInputTensorMetadataIS5_T0_XT2_EXT3_EEENS1_16TensorSizeStrideIS8_Lj4EEEiS8_,@function
_ZN2at6native12_GLOBAL__N_135CatArrayBatchedCopy_alignedK_contigINS1_10OpaqueTypeILj2EEEjLi2ELi128ELi1ELi8EEEvPT_NS1_25CatArrInputTensorMetadataIS5_T0_XT2_EXT3_EEENS1_16TensorSizeStrideIS8_Lj4EEEiS8_: ; @_ZN2at6native12_GLOBAL__N_135CatArrayBatchedCopy_alignedK_contigINS1_10OpaqueTypeILj2EEEjLi2ELi128ELi1ELi8EEEvPT_NS1_25CatArrInputTensorMetadataIS5_T0_XT2_EXT3_EEENS1_16TensorSizeStrideIS8_Lj4EEEiS8_
; %bb.0:
	s_mov_b32 s2, s7
	s_load_dword s7, s[4:5], 0xadc
	s_mov_b32 s3, 0
	s_add_u32 s0, s4, 0xad0
	s_addc_u32 s1, s5, 0
	s_lshl_b64 s[2:3], s[2:3], 2
	s_waitcnt lgkmcnt(0)
	s_and_b32 s12, s7, 0xffff
	s_add_u32 s8, s4, s2
	s_addc_u32 s9, s5, s3
	s_mul_i32 s6, s6, s12
	s_load_dword s13, s[8:9], 0x808
	v_add_lshl_u32 v0, s6, v0, 2
	s_add_u32 s6, s8, 8
	s_addc_u32 s7, s9, 0
	s_mov_b32 s8, exec_lo
	s_waitcnt lgkmcnt(0)
	v_cmpx_gt_u32_e64 s13, v0
	s_cbranch_execz .LBB27_8
; %bb.1:
	s_add_u32 s8, s6, s2
	s_addc_u32 s9, s7, s3
	s_sub_u32 s2, 0, s2
	s_subb_u32 s3, 0, s3
	s_add_u32 s2, s8, s2
	s_addc_u32 s3, s9, s3
	s_clause 0x6
	s_load_dwordx2 s[6:7], s[4:5], 0x0
	s_load_dwordx2 s[10:11], s[4:5], 0xac8
	s_load_dword s14, s[4:5], 0xaac
	s_load_dwordx2 s[4:5], s[4:5], 0xab8
	s_load_dword s16, s[2:3], 0x400
	;; [unrolled: 2-line block ×3, first 2 shown]
	v_add_nc_u32_e32 v1, 4, v0
	s_waitcnt lgkmcnt(0)
	s_mul_i32 s3, s16, s11
	s_mov_b32 s11, exec_lo
	v_cmpx_ge_u32_e64 s13, v1
	s_cbranch_execz .LBB27_5
; %bb.2:
	s_load_dword s0, s[0:1], 0x0
	v_add_nc_u32_e32 v2, 3, v0
	v_add_nc_u32_e32 v3, 2, v0
	s_mov_b32 s19, 0
	s_waitcnt lgkmcnt(0)
	s_mul_i32 s0, s0, s12
	s_mov_b32 s12, s5
	s_lshl_b32 s16, s0, 2
	s_cmp_eq_u32 s10, 1
	s_cselect_b32 s17, s15, s14
	v_cvt_f32_u32_e32 v1, s17
	s_sub_i32 s18, 0, s17
	v_rcp_iflag_f32_e32 v1, v1
	v_mul_f32_e32 v1, 0x4f7ffffe, v1
	v_cvt_u32_f32_e32 v4, v1
	v_mul_lo_u32 v1, s18, v4
	v_mul_hi_u32 v5, v4, v1
	v_mov_b32_e32 v1, 0
	v_add_nc_u32_e32 v4, v4, v5
	v_add_nc_u32_e32 v5, 1, v0
.LBB27_3:                               ; =>This Inner Loop Header: Depth=1
	v_lshlrev_b64 v[6:7], 1, v[0:1]
	v_mul_hi_u32 v12, v4, v0
	v_mul_hi_u32 v20, v4, v5
	v_mul_hi_u32 v16, v4, v3
	v_mul_hi_u32 v14, v4, v2
	v_add_nc_u32_e32 v8, 1, v0
	v_add_co_u32 v6, vcc_lo, s8, v6
	v_add_co_ci_u32_e64 v7, null, s9, v7, vcc_lo
	v_add_nc_u32_e32 v9, 2, v0
	v_add_nc_u32_e32 v10, 3, v0
	v_mov_b32_e32 v11, v1
	global_load_dwordx2 v[6:7], v[6:7], off
	v_not_b32_e32 v23, v12
	v_mad_u64_u32 v[18:19], null, s18, v12, v[0:1]
	v_not_b32_e32 v24, v20
	v_mad_u64_u32 v[19:20], null, s18, v20, v[8:9]
	v_mul_hi_u32 v27, v8, v4
	v_mad_u64_u32 v[20:21], null, s18, v16, v[9:10]
	v_mad_u64_u32 v[21:22], null, s18, v14, v[10:11]
	v_mul_hi_u32 v28, v9, v4
	v_not_b32_e32 v25, v16
	v_mad_u64_u32 v[22:23], null, s17, v23, v[0:1]
	v_mul_hi_u32 v29, v10, v4
	v_not_b32_e32 v26, v14
	v_add_nc_u32_e32 v30, 1, v12
	v_mad_u64_u32 v[23:24], null, s17, v24, v[8:9]
	v_cmp_le_u32_e32 vcc_lo, s17, v18
	v_mad_u64_u32 v[24:25], null, s17, v25, v[9:10]
	v_add_nc_u32_e32 v14, 1, v27
	v_mad_u64_u32 v[25:26], null, s17, v26, v[10:11]
	v_cmp_le_u32_e64 s2, s17, v19
	v_add_nc_u32_e32 v8, 1, v28
	v_cndmask_b32_e32 v12, v12, v30, vcc_lo
	v_cmp_le_u32_e64 s0, s17, v20
	v_cndmask_b32_e32 v18, v18, v22, vcc_lo
	v_add_nc_u32_e32 v16, 1, v29
	v_cmp_le_u32_e64 s1, s17, v21
	v_cndmask_b32_e64 v14, v27, v14, s2
	v_cndmask_b32_e64 v19, v19, v23, s2
	;; [unrolled: 1-line block ×3, first 2 shown]
	v_add_nc_u32_e32 v22, 1, v12
	v_cndmask_b32_e64 v20, v20, v24, s0
	v_cmp_le_u32_e32 vcc_lo, s17, v18
	v_cndmask_b32_e64 v16, v29, v16, s1
	v_cndmask_b32_e64 v21, v21, v25, s1
	v_add_nc_u32_e32 v23, 1, v14
	v_cmp_le_u32_e64 s1, s17, v19
	v_add_nc_u32_e32 v24, 1, v8
	v_cndmask_b32_e32 v12, v12, v22, vcc_lo
	v_cmp_le_u32_e32 vcc_lo, s17, v20
	v_add_nc_u32_e32 v25, 1, v16
	v_cmp_le_u32_e64 s0, s17, v21
	v_cndmask_b32_e64 v14, v14, v23, s1
	v_mad_u64_u32 v[18:19], null, s18, v12, v[0:1]
	v_cndmask_b32_e32 v21, v8, v24, vcc_lo
	v_cndmask_b32_e64 v16, v16, v25, s0
	v_mad_u64_u32 v[19:20], null, s18, v14, v[0:1]
	v_add_nc_u32_e32 v0, s16, v0
	v_mad_u64_u32 v[8:9], null, s18, v21, v[9:10]
	v_mad_u64_u32 v[9:10], null, s18, v16, v[10:11]
	v_mul_lo_u32 v12, v12, s4
	v_mul_lo_u32 v20, v21, s4
	;; [unrolled: 1-line block ×4, first 2 shown]
	v_mad_u64_u32 v[18:19], null, s5, v19, s[12:13]
	v_add_nc_u32_e32 v10, 4, v0
	v_mul_lo_u32 v8, v8, s5
	v_mul_lo_u32 v16, v16, s4
	;; [unrolled: 1-line block ×3, first 2 shown]
	v_mov_b32_e32 v13, v1
	v_cmp_lt_u32_e32 vcc_lo, s13, v10
	v_add3_u32 v10, v21, v12, s3
	v_add3_u32 v12, v18, v14, s3
	v_mov_b32_e32 v15, v1
	v_add3_u32 v14, v8, v20, s3
	v_mov_b32_e32 v17, v1
	v_add3_u32 v16, v9, v16, s3
	v_lshlrev_b64 v[8:9], 1, v[10:11]
	v_lshlrev_b64 v[10:11], 1, v[12:13]
	;; [unrolled: 1-line block ×3, first 2 shown]
	v_add_nc_u32_e32 v2, s16, v2
	v_lshlrev_b64 v[14:15], 1, v[16:17]
	v_add_nc_u32_e32 v3, s16, v3
	v_add_co_u32 v8, s0, s6, v8
	v_add_co_ci_u32_e64 v9, null, s7, v9, s0
	v_add_co_u32 v10, s0, s6, v10
	v_add_co_ci_u32_e64 v11, null, s7, v11, s0
	v_add_co_u32 v12, s0, s6, v12
	v_add_nc_u32_e32 v5, s16, v5
	v_add_co_ci_u32_e64 v13, null, s7, v13, s0
	v_add_co_u32 v14, s0, s6, v14
	v_add_co_ci_u32_e64 v15, null, s7, v15, s0
	s_or_b32 s19, vcc_lo, s19
	s_waitcnt vmcnt(0)
	global_store_short v[8:9], v6, off
	global_store_short_d16_hi v[10:11], v6, off
	global_store_short v[12:13], v7, off
	global_store_short_d16_hi v[14:15], v7, off
	s_andn2_b32 exec_lo, exec_lo, s19
	s_cbranch_execnz .LBB27_3
; %bb.4:
	s_or_b32 exec_lo, exec_lo, s19
.LBB27_5:
	s_or_b32 exec_lo, exec_lo, s11
	v_cmp_gt_u32_e32 vcc_lo, s13, v0
	s_and_b32 exec_lo, exec_lo, vcc_lo
	s_cbranch_execz .LBB27_8
; %bb.6:
	s_cmp_eq_u32 s10, 1
	v_mov_b32_e32 v2, 0
	s_cselect_b32 s2, s15, s14
	v_cvt_f32_u32_e32 v1, s2
	s_sub_i32 s10, 0, s2
	v_rcp_iflag_f32_e32 v1, v1
	v_mul_f32_e32 v1, 0x4f7ffffe, v1
	v_cvt_u32_f32_e32 v3, v1
	v_mul_lo_u32 v1, s10, v3
	v_mul_hi_u32 v4, v3, v1
	v_mov_b32_e32 v1, v2
	v_lshlrev_b64 v[5:6], 1, v[0:1]
	v_add_nc_u32_e32 v7, v3, v4
	v_add_co_u32 v5, vcc_lo, s8, v5
	v_mad_u64_u32 v[3:4], null, v0, v7, 0
	v_add_co_ci_u32_e64 v6, null, s9, v6, vcc_lo
	s_mov_b32 s8, 0
	s_inst_prefetch 0x1
	.p2align	6
.LBB27_7:                               ; =>This Inner Loop Header: Depth=1
	global_load_ushort v10, v[5:6], off
	v_mul_lo_u32 v1, s2, v4
	v_not_b32_e32 v8, v4
	v_add_nc_u32_e32 v11, 1, v4
	v_add_co_u32 v5, s0, v5, 2
	v_add_co_ci_u32_e64 v6, null, 0, v6, s0
	v_mad_u64_u32 v[8:9], null, s2, v8, v[0:1]
	v_sub_nc_u32_e32 v1, v0, v1
	v_cmp_le_u32_e32 vcc_lo, s2, v1
	v_cndmask_b32_e32 v9, v4, v11, vcc_lo
	v_cndmask_b32_e32 v1, v1, v8, vcc_lo
	v_add_nc_u32_e32 v8, 1, v9
	v_cmp_le_u32_e32 vcc_lo, s2, v1
	v_cndmask_b32_e32 v1, v9, v8, vcc_lo
	v_add_co_u32 v3, vcc_lo, v3, v7
	v_add_co_ci_u32_e64 v4, null, 0, v4, vcc_lo
	v_mad_u64_u32 v[8:9], null, s10, v1, v[0:1]
	v_mul_lo_u32 v1, v1, s4
	v_add_nc_u32_e32 v0, 1, v0
	v_mul_lo_u32 v8, v8, s5
	v_cmp_le_u32_e64 s0, s13, v0
	s_or_b32 s8, s0, s8
	v_add3_u32 v1, v8, v1, s3
	v_lshlrev_b64 v[8:9], 1, v[1:2]
	v_add_co_u32 v8, s1, s6, v8
	v_add_co_ci_u32_e64 v9, null, s7, v9, s1
	s_waitcnt vmcnt(0)
	global_store_short v[8:9], v10, off
	s_andn2_b32 exec_lo, exec_lo, s8
	s_cbranch_execnz .LBB27_7
.LBB27_8:
	s_inst_prefetch 0x2
	s_endpgm
	.section	.rodata,"a",@progbits
	.p2align	6, 0x0
	.amdhsa_kernel _ZN2at6native12_GLOBAL__N_135CatArrayBatchedCopy_alignedK_contigINS1_10OpaqueTypeILj2EEEjLi2ELi128ELi1ELi8EEEvPT_NS1_25CatArrInputTensorMetadataIS5_T0_XT2_EXT3_EEENS1_16TensorSizeStrideIS8_Lj4EEEiS8_
		.amdhsa_group_segment_fixed_size 0
		.amdhsa_private_segment_fixed_size 0
		.amdhsa_kernarg_size 3024
		.amdhsa_user_sgpr_count 6
		.amdhsa_user_sgpr_private_segment_buffer 1
		.amdhsa_user_sgpr_dispatch_ptr 0
		.amdhsa_user_sgpr_queue_ptr 0
		.amdhsa_user_sgpr_kernarg_segment_ptr 1
		.amdhsa_user_sgpr_dispatch_id 0
		.amdhsa_user_sgpr_flat_scratch_init 0
		.amdhsa_user_sgpr_private_segment_size 0
		.amdhsa_wavefront_size32 1
		.amdhsa_uses_dynamic_stack 0
		.amdhsa_system_sgpr_private_segment_wavefront_offset 0
		.amdhsa_system_sgpr_workgroup_id_x 1
		.amdhsa_system_sgpr_workgroup_id_y 1
		.amdhsa_system_sgpr_workgroup_id_z 0
		.amdhsa_system_sgpr_workgroup_info 0
		.amdhsa_system_vgpr_workitem_id 0
		.amdhsa_next_free_vgpr 31
		.amdhsa_next_free_sgpr 20
		.amdhsa_reserve_vcc 1
		.amdhsa_reserve_flat_scratch 0
		.amdhsa_float_round_mode_32 0
		.amdhsa_float_round_mode_16_64 0
		.amdhsa_float_denorm_mode_32 3
		.amdhsa_float_denorm_mode_16_64 3
		.amdhsa_dx10_clamp 1
		.amdhsa_ieee_mode 1
		.amdhsa_fp16_overflow 0
		.amdhsa_workgroup_processor_mode 1
		.amdhsa_memory_ordered 1
		.amdhsa_forward_progress 1
		.amdhsa_shared_vgpr_count 0
		.amdhsa_exception_fp_ieee_invalid_op 0
		.amdhsa_exception_fp_denorm_src 0
		.amdhsa_exception_fp_ieee_div_zero 0
		.amdhsa_exception_fp_ieee_overflow 0
		.amdhsa_exception_fp_ieee_underflow 0
		.amdhsa_exception_fp_ieee_inexact 0
		.amdhsa_exception_int_div_zero 0
	.end_amdhsa_kernel
	.section	.text._ZN2at6native12_GLOBAL__N_135CatArrayBatchedCopy_alignedK_contigINS1_10OpaqueTypeILj2EEEjLi2ELi128ELi1ELi8EEEvPT_NS1_25CatArrInputTensorMetadataIS5_T0_XT2_EXT3_EEENS1_16TensorSizeStrideIS8_Lj4EEEiS8_,"axG",@progbits,_ZN2at6native12_GLOBAL__N_135CatArrayBatchedCopy_alignedK_contigINS1_10OpaqueTypeILj2EEEjLi2ELi128ELi1ELi8EEEvPT_NS1_25CatArrInputTensorMetadataIS5_T0_XT2_EXT3_EEENS1_16TensorSizeStrideIS8_Lj4EEEiS8_,comdat
.Lfunc_end27:
	.size	_ZN2at6native12_GLOBAL__N_135CatArrayBatchedCopy_alignedK_contigINS1_10OpaqueTypeILj2EEEjLi2ELi128ELi1ELi8EEEvPT_NS1_25CatArrInputTensorMetadataIS5_T0_XT2_EXT3_EEENS1_16TensorSizeStrideIS8_Lj4EEEiS8_, .Lfunc_end27-_ZN2at6native12_GLOBAL__N_135CatArrayBatchedCopy_alignedK_contigINS1_10OpaqueTypeILj2EEEjLi2ELi128ELi1ELi8EEEvPT_NS1_25CatArrInputTensorMetadataIS5_T0_XT2_EXT3_EEENS1_16TensorSizeStrideIS8_Lj4EEEiS8_
                                        ; -- End function
	.set _ZN2at6native12_GLOBAL__N_135CatArrayBatchedCopy_alignedK_contigINS1_10OpaqueTypeILj2EEEjLi2ELi128ELi1ELi8EEEvPT_NS1_25CatArrInputTensorMetadataIS5_T0_XT2_EXT3_EEENS1_16TensorSizeStrideIS8_Lj4EEEiS8_.num_vgpr, 31
	.set _ZN2at6native12_GLOBAL__N_135CatArrayBatchedCopy_alignedK_contigINS1_10OpaqueTypeILj2EEEjLi2ELi128ELi1ELi8EEEvPT_NS1_25CatArrInputTensorMetadataIS5_T0_XT2_EXT3_EEENS1_16TensorSizeStrideIS8_Lj4EEEiS8_.num_agpr, 0
	.set _ZN2at6native12_GLOBAL__N_135CatArrayBatchedCopy_alignedK_contigINS1_10OpaqueTypeILj2EEEjLi2ELi128ELi1ELi8EEEvPT_NS1_25CatArrInputTensorMetadataIS5_T0_XT2_EXT3_EEENS1_16TensorSizeStrideIS8_Lj4EEEiS8_.numbered_sgpr, 20
	.set _ZN2at6native12_GLOBAL__N_135CatArrayBatchedCopy_alignedK_contigINS1_10OpaqueTypeILj2EEEjLi2ELi128ELi1ELi8EEEvPT_NS1_25CatArrInputTensorMetadataIS5_T0_XT2_EXT3_EEENS1_16TensorSizeStrideIS8_Lj4EEEiS8_.num_named_barrier, 0
	.set _ZN2at6native12_GLOBAL__N_135CatArrayBatchedCopy_alignedK_contigINS1_10OpaqueTypeILj2EEEjLi2ELi128ELi1ELi8EEEvPT_NS1_25CatArrInputTensorMetadataIS5_T0_XT2_EXT3_EEENS1_16TensorSizeStrideIS8_Lj4EEEiS8_.private_seg_size, 0
	.set _ZN2at6native12_GLOBAL__N_135CatArrayBatchedCopy_alignedK_contigINS1_10OpaqueTypeILj2EEEjLi2ELi128ELi1ELi8EEEvPT_NS1_25CatArrInputTensorMetadataIS5_T0_XT2_EXT3_EEENS1_16TensorSizeStrideIS8_Lj4EEEiS8_.uses_vcc, 1
	.set _ZN2at6native12_GLOBAL__N_135CatArrayBatchedCopy_alignedK_contigINS1_10OpaqueTypeILj2EEEjLi2ELi128ELi1ELi8EEEvPT_NS1_25CatArrInputTensorMetadataIS5_T0_XT2_EXT3_EEENS1_16TensorSizeStrideIS8_Lj4EEEiS8_.uses_flat_scratch, 0
	.set _ZN2at6native12_GLOBAL__N_135CatArrayBatchedCopy_alignedK_contigINS1_10OpaqueTypeILj2EEEjLi2ELi128ELi1ELi8EEEvPT_NS1_25CatArrInputTensorMetadataIS5_T0_XT2_EXT3_EEENS1_16TensorSizeStrideIS8_Lj4EEEiS8_.has_dyn_sized_stack, 0
	.set _ZN2at6native12_GLOBAL__N_135CatArrayBatchedCopy_alignedK_contigINS1_10OpaqueTypeILj2EEEjLi2ELi128ELi1ELi8EEEvPT_NS1_25CatArrInputTensorMetadataIS5_T0_XT2_EXT3_EEENS1_16TensorSizeStrideIS8_Lj4EEEiS8_.has_recursion, 0
	.set _ZN2at6native12_GLOBAL__N_135CatArrayBatchedCopy_alignedK_contigINS1_10OpaqueTypeILj2EEEjLi2ELi128ELi1ELi8EEEvPT_NS1_25CatArrInputTensorMetadataIS5_T0_XT2_EXT3_EEENS1_16TensorSizeStrideIS8_Lj4EEEiS8_.has_indirect_call, 0
	.section	.AMDGPU.csdata,"",@progbits
; Kernel info:
; codeLenInByte = 1280
; TotalNumSgprs: 22
; NumVgprs: 31
; ScratchSize: 0
; MemoryBound: 0
; FloatMode: 240
; IeeeMode: 1
; LDSByteSize: 0 bytes/workgroup (compile time only)
; SGPRBlocks: 0
; VGPRBlocks: 3
; NumSGPRsForWavesPerEU: 22
; NumVGPRsForWavesPerEU: 31
; Occupancy: 16
; WaveLimiterHint : 1
; COMPUTE_PGM_RSRC2:SCRATCH_EN: 0
; COMPUTE_PGM_RSRC2:USER_SGPR: 6
; COMPUTE_PGM_RSRC2:TRAP_HANDLER: 0
; COMPUTE_PGM_RSRC2:TGID_X_EN: 1
; COMPUTE_PGM_RSRC2:TGID_Y_EN: 1
; COMPUTE_PGM_RSRC2:TGID_Z_EN: 0
; COMPUTE_PGM_RSRC2:TIDIG_COMP_CNT: 0
	.section	.text._ZN2at6native12_GLOBAL__N_126CatArrayBatchedCopy_contigINS1_10OpaqueTypeILj2EEEjLi2ELi128ELi1EEEvPT_NS1_25CatArrInputTensorMetadataIS5_T0_XT2_EXT3_EEENS1_16TensorSizeStrideIS8_Lj4EEEiS8_,"axG",@progbits,_ZN2at6native12_GLOBAL__N_126CatArrayBatchedCopy_contigINS1_10OpaqueTypeILj2EEEjLi2ELi128ELi1EEEvPT_NS1_25CatArrInputTensorMetadataIS5_T0_XT2_EXT3_EEENS1_16TensorSizeStrideIS8_Lj4EEEiS8_,comdat
	.globl	_ZN2at6native12_GLOBAL__N_126CatArrayBatchedCopy_contigINS1_10OpaqueTypeILj2EEEjLi2ELi128ELi1EEEvPT_NS1_25CatArrInputTensorMetadataIS5_T0_XT2_EXT3_EEENS1_16TensorSizeStrideIS8_Lj4EEEiS8_ ; -- Begin function _ZN2at6native12_GLOBAL__N_126CatArrayBatchedCopy_contigINS1_10OpaqueTypeILj2EEEjLi2ELi128ELi1EEEvPT_NS1_25CatArrInputTensorMetadataIS5_T0_XT2_EXT3_EEENS1_16TensorSizeStrideIS8_Lj4EEEiS8_
	.p2align	8
	.type	_ZN2at6native12_GLOBAL__N_126CatArrayBatchedCopy_contigINS1_10OpaqueTypeILj2EEEjLi2ELi128ELi1EEEvPT_NS1_25CatArrInputTensorMetadataIS5_T0_XT2_EXT3_EEENS1_16TensorSizeStrideIS8_Lj4EEEiS8_,@function
_ZN2at6native12_GLOBAL__N_126CatArrayBatchedCopy_contigINS1_10OpaqueTypeILj2EEEjLi2ELi128ELi1EEEvPT_NS1_25CatArrInputTensorMetadataIS5_T0_XT2_EXT3_EEENS1_16TensorSizeStrideIS8_Lj4EEEiS8_: ; @_ZN2at6native12_GLOBAL__N_126CatArrayBatchedCopy_contigINS1_10OpaqueTypeILj2EEEjLi2ELi128ELi1EEEvPT_NS1_25CatArrInputTensorMetadataIS5_T0_XT2_EXT3_EEENS1_16TensorSizeStrideIS8_Lj4EEEiS8_
; %bb.0:
	s_mov_b32 s0, s7
	s_load_dword s7, s[4:5], 0xadc
	s_mov_b32 s1, 0
	s_add_u32 s8, s4, 0xad0
	s_addc_u32 s9, s5, 0
	s_lshl_b64 s[2:3], s[0:1], 2
	s_mov_b32 s11, exec_lo
	s_waitcnt lgkmcnt(0)
	s_and_b32 s0, s7, 0xffff
	s_add_u32 s12, s4, s2
	s_addc_u32 s13, s5, s3
	v_mad_u64_u32 v[0:1], null, s6, s0, v[0:1]
	s_load_dword s10, s[12:13], 0x808
	s_add_u32 s6, s12, 8
	s_addc_u32 s7, s13, 0
	s_waitcnt lgkmcnt(0)
	v_cmpx_gt_u32_e64 s10, v0
	s_cbranch_execz .LBB28_3
; %bb.1:
	s_add_u32 s6, s6, s2
	s_addc_u32 s7, s7, s3
	s_sub_u32 s2, 0, s2
	s_subb_u32 s3, 0, s3
	s_add_u32 s12, s6, s2
	s_addc_u32 s13, s7, s3
	s_clause 0x4
	s_load_dwordx2 s[14:15], s[4:5], 0xac8
	s_load_dword s11, s[12:13], 0x600
	s_load_dword s16, s[4:5], 0xaac
	s_load_dwordx2 s[2:3], s[4:5], 0xab8
	s_load_dword s13, s[12:13], 0x400
	s_load_dword s9, s[8:9], 0x0
	s_clause 0x1
	s_load_dwordx2 s[4:5], s[4:5], 0x0
	s_load_dwordx2 s[6:7], s[6:7], 0x0
	s_waitcnt lgkmcnt(0)
	s_cmp_eq_u32 s14, 1
	s_cselect_b32 s11, s11, s16
	v_cvt_f32_u32_e32 v1, s11
	s_sub_i32 s12, 0, s11
	s_mul_i32 s8, s13, s15
	s_mul_i32 s9, s9, s0
	v_rcp_iflag_f32_e32 v1, v1
	v_mul_f32_e32 v1, 0x4f7ffffe, v1
	v_cvt_u32_f32_e32 v1, v1
	v_mul_lo_u32 v2, s12, v1
	v_mul_hi_u32 v2, v1, v2
	v_add_nc_u32_e32 v2, v1, v2
	v_mov_b32_e32 v1, 0
	s_inst_prefetch 0x1
	.p2align	6
.LBB28_2:                               ; =>This Inner Loop Header: Depth=1
	v_lshlrev_b64 v[3:4], 1, v[0:1]
	v_mul_hi_u32 v6, v2, v0
	v_add_co_u32 v3, vcc_lo, s6, v3
	v_add_co_ci_u32_e64 v4, null, s7, v4, vcc_lo
	v_add_nc_u32_e32 v7, 1, v6
	global_load_ushort v5, v[3:4], off
	v_mul_lo_u32 v3, s11, v6
	v_not_b32_e32 v4, v6
	v_sub_nc_u32_e32 v8, v0, v3
	v_mad_u64_u32 v[3:4], null, s11, v4, v[0:1]
	v_cmp_le_u32_e32 vcc_lo, s11, v8
	v_cndmask_b32_e32 v4, v6, v7, vcc_lo
	v_cndmask_b32_e32 v3, v8, v3, vcc_lo
	v_add_nc_u32_e32 v6, 1, v4
	v_cmp_le_u32_e32 vcc_lo, s11, v3
	v_cndmask_b32_e32 v6, v4, v6, vcc_lo
	v_mad_u64_u32 v[3:4], null, s12, v6, v[0:1]
	v_mul_lo_u32 v6, v6, s2
	v_mov_b32_e32 v4, v1
	v_add_nc_u32_e32 v0, s9, v0
	v_mul_lo_u32 v3, v3, s3
	v_cmp_le_u32_e32 vcc_lo, s10, v0
	s_or_b32 s1, vcc_lo, s1
	v_add3_u32 v3, v6, s8, v3
	v_lshlrev_b64 v[3:4], 1, v[3:4]
	v_add_co_u32 v3, s0, s4, v3
	v_add_co_ci_u32_e64 v4, null, s5, v4, s0
	s_waitcnt vmcnt(0)
	global_store_short v[3:4], v5, off
	s_andn2_b32 exec_lo, exec_lo, s1
	s_cbranch_execnz .LBB28_2
.LBB28_3:
	s_inst_prefetch 0x2
	s_endpgm
	.section	.rodata,"a",@progbits
	.p2align	6, 0x0
	.amdhsa_kernel _ZN2at6native12_GLOBAL__N_126CatArrayBatchedCopy_contigINS1_10OpaqueTypeILj2EEEjLi2ELi128ELi1EEEvPT_NS1_25CatArrInputTensorMetadataIS5_T0_XT2_EXT3_EEENS1_16TensorSizeStrideIS8_Lj4EEEiS8_
		.amdhsa_group_segment_fixed_size 0
		.amdhsa_private_segment_fixed_size 0
		.amdhsa_kernarg_size 3024
		.amdhsa_user_sgpr_count 6
		.amdhsa_user_sgpr_private_segment_buffer 1
		.amdhsa_user_sgpr_dispatch_ptr 0
		.amdhsa_user_sgpr_queue_ptr 0
		.amdhsa_user_sgpr_kernarg_segment_ptr 1
		.amdhsa_user_sgpr_dispatch_id 0
		.amdhsa_user_sgpr_flat_scratch_init 0
		.amdhsa_user_sgpr_private_segment_size 0
		.amdhsa_wavefront_size32 1
		.amdhsa_uses_dynamic_stack 0
		.amdhsa_system_sgpr_private_segment_wavefront_offset 0
		.amdhsa_system_sgpr_workgroup_id_x 1
		.amdhsa_system_sgpr_workgroup_id_y 1
		.amdhsa_system_sgpr_workgroup_id_z 0
		.amdhsa_system_sgpr_workgroup_info 0
		.amdhsa_system_vgpr_workitem_id 0
		.amdhsa_next_free_vgpr 9
		.amdhsa_next_free_sgpr 17
		.amdhsa_reserve_vcc 1
		.amdhsa_reserve_flat_scratch 0
		.amdhsa_float_round_mode_32 0
		.amdhsa_float_round_mode_16_64 0
		.amdhsa_float_denorm_mode_32 3
		.amdhsa_float_denorm_mode_16_64 3
		.amdhsa_dx10_clamp 1
		.amdhsa_ieee_mode 1
		.amdhsa_fp16_overflow 0
		.amdhsa_workgroup_processor_mode 1
		.amdhsa_memory_ordered 1
		.amdhsa_forward_progress 1
		.amdhsa_shared_vgpr_count 0
		.amdhsa_exception_fp_ieee_invalid_op 0
		.amdhsa_exception_fp_denorm_src 0
		.amdhsa_exception_fp_ieee_div_zero 0
		.amdhsa_exception_fp_ieee_overflow 0
		.amdhsa_exception_fp_ieee_underflow 0
		.amdhsa_exception_fp_ieee_inexact 0
		.amdhsa_exception_int_div_zero 0
	.end_amdhsa_kernel
	.section	.text._ZN2at6native12_GLOBAL__N_126CatArrayBatchedCopy_contigINS1_10OpaqueTypeILj2EEEjLi2ELi128ELi1EEEvPT_NS1_25CatArrInputTensorMetadataIS5_T0_XT2_EXT3_EEENS1_16TensorSizeStrideIS8_Lj4EEEiS8_,"axG",@progbits,_ZN2at6native12_GLOBAL__N_126CatArrayBatchedCopy_contigINS1_10OpaqueTypeILj2EEEjLi2ELi128ELi1EEEvPT_NS1_25CatArrInputTensorMetadataIS5_T0_XT2_EXT3_EEENS1_16TensorSizeStrideIS8_Lj4EEEiS8_,comdat
.Lfunc_end28:
	.size	_ZN2at6native12_GLOBAL__N_126CatArrayBatchedCopy_contigINS1_10OpaqueTypeILj2EEEjLi2ELi128ELi1EEEvPT_NS1_25CatArrInputTensorMetadataIS5_T0_XT2_EXT3_EEENS1_16TensorSizeStrideIS8_Lj4EEEiS8_, .Lfunc_end28-_ZN2at6native12_GLOBAL__N_126CatArrayBatchedCopy_contigINS1_10OpaqueTypeILj2EEEjLi2ELi128ELi1EEEvPT_NS1_25CatArrInputTensorMetadataIS5_T0_XT2_EXT3_EEENS1_16TensorSizeStrideIS8_Lj4EEEiS8_
                                        ; -- End function
	.set _ZN2at6native12_GLOBAL__N_126CatArrayBatchedCopy_contigINS1_10OpaqueTypeILj2EEEjLi2ELi128ELi1EEEvPT_NS1_25CatArrInputTensorMetadataIS5_T0_XT2_EXT3_EEENS1_16TensorSizeStrideIS8_Lj4EEEiS8_.num_vgpr, 9
	.set _ZN2at6native12_GLOBAL__N_126CatArrayBatchedCopy_contigINS1_10OpaqueTypeILj2EEEjLi2ELi128ELi1EEEvPT_NS1_25CatArrInputTensorMetadataIS5_T0_XT2_EXT3_EEENS1_16TensorSizeStrideIS8_Lj4EEEiS8_.num_agpr, 0
	.set _ZN2at6native12_GLOBAL__N_126CatArrayBatchedCopy_contigINS1_10OpaqueTypeILj2EEEjLi2ELi128ELi1EEEvPT_NS1_25CatArrInputTensorMetadataIS5_T0_XT2_EXT3_EEENS1_16TensorSizeStrideIS8_Lj4EEEiS8_.numbered_sgpr, 17
	.set _ZN2at6native12_GLOBAL__N_126CatArrayBatchedCopy_contigINS1_10OpaqueTypeILj2EEEjLi2ELi128ELi1EEEvPT_NS1_25CatArrInputTensorMetadataIS5_T0_XT2_EXT3_EEENS1_16TensorSizeStrideIS8_Lj4EEEiS8_.num_named_barrier, 0
	.set _ZN2at6native12_GLOBAL__N_126CatArrayBatchedCopy_contigINS1_10OpaqueTypeILj2EEEjLi2ELi128ELi1EEEvPT_NS1_25CatArrInputTensorMetadataIS5_T0_XT2_EXT3_EEENS1_16TensorSizeStrideIS8_Lj4EEEiS8_.private_seg_size, 0
	.set _ZN2at6native12_GLOBAL__N_126CatArrayBatchedCopy_contigINS1_10OpaqueTypeILj2EEEjLi2ELi128ELi1EEEvPT_NS1_25CatArrInputTensorMetadataIS5_T0_XT2_EXT3_EEENS1_16TensorSizeStrideIS8_Lj4EEEiS8_.uses_vcc, 1
	.set _ZN2at6native12_GLOBAL__N_126CatArrayBatchedCopy_contigINS1_10OpaqueTypeILj2EEEjLi2ELi128ELi1EEEvPT_NS1_25CatArrInputTensorMetadataIS5_T0_XT2_EXT3_EEENS1_16TensorSizeStrideIS8_Lj4EEEiS8_.uses_flat_scratch, 0
	.set _ZN2at6native12_GLOBAL__N_126CatArrayBatchedCopy_contigINS1_10OpaqueTypeILj2EEEjLi2ELi128ELi1EEEvPT_NS1_25CatArrInputTensorMetadataIS5_T0_XT2_EXT3_EEENS1_16TensorSizeStrideIS8_Lj4EEEiS8_.has_dyn_sized_stack, 0
	.set _ZN2at6native12_GLOBAL__N_126CatArrayBatchedCopy_contigINS1_10OpaqueTypeILj2EEEjLi2ELi128ELi1EEEvPT_NS1_25CatArrInputTensorMetadataIS5_T0_XT2_EXT3_EEENS1_16TensorSizeStrideIS8_Lj4EEEiS8_.has_recursion, 0
	.set _ZN2at6native12_GLOBAL__N_126CatArrayBatchedCopy_contigINS1_10OpaqueTypeILj2EEEjLi2ELi128ELi1EEEvPT_NS1_25CatArrInputTensorMetadataIS5_T0_XT2_EXT3_EEENS1_16TensorSizeStrideIS8_Lj4EEEiS8_.has_indirect_call, 0
	.section	.AMDGPU.csdata,"",@progbits
; Kernel info:
; codeLenInByte = 512
; TotalNumSgprs: 19
; NumVgprs: 9
; ScratchSize: 0
; MemoryBound: 0
; FloatMode: 240
; IeeeMode: 1
; LDSByteSize: 0 bytes/workgroup (compile time only)
; SGPRBlocks: 0
; VGPRBlocks: 1
; NumSGPRsForWavesPerEU: 19
; NumVGPRsForWavesPerEU: 9
; Occupancy: 16
; WaveLimiterHint : 1
; COMPUTE_PGM_RSRC2:SCRATCH_EN: 0
; COMPUTE_PGM_RSRC2:USER_SGPR: 6
; COMPUTE_PGM_RSRC2:TRAP_HANDLER: 0
; COMPUTE_PGM_RSRC2:TGID_X_EN: 1
; COMPUTE_PGM_RSRC2:TGID_Y_EN: 1
; COMPUTE_PGM_RSRC2:TGID_Z_EN: 0
; COMPUTE_PGM_RSRC2:TIDIG_COMP_CNT: 0
	.section	.text._ZN2at6native12_GLOBAL__N_119CatArrayBatchedCopyINS1_10OpaqueTypeILj2EEEjLi2ELi128ELi1EEEvPT_NS1_25CatArrInputTensorMetadataIS5_T0_XT2_EXT3_EEENS1_16TensorSizeStrideIS8_Lj4EEEiS8_,"axG",@progbits,_ZN2at6native12_GLOBAL__N_119CatArrayBatchedCopyINS1_10OpaqueTypeILj2EEEjLi2ELi128ELi1EEEvPT_NS1_25CatArrInputTensorMetadataIS5_T0_XT2_EXT3_EEENS1_16TensorSizeStrideIS8_Lj4EEEiS8_,comdat
	.globl	_ZN2at6native12_GLOBAL__N_119CatArrayBatchedCopyINS1_10OpaqueTypeILj2EEEjLi2ELi128ELi1EEEvPT_NS1_25CatArrInputTensorMetadataIS5_T0_XT2_EXT3_EEENS1_16TensorSizeStrideIS8_Lj4EEEiS8_ ; -- Begin function _ZN2at6native12_GLOBAL__N_119CatArrayBatchedCopyINS1_10OpaqueTypeILj2EEEjLi2ELi128ELi1EEEvPT_NS1_25CatArrInputTensorMetadataIS5_T0_XT2_EXT3_EEENS1_16TensorSizeStrideIS8_Lj4EEEiS8_
	.p2align	8
	.type	_ZN2at6native12_GLOBAL__N_119CatArrayBatchedCopyINS1_10OpaqueTypeILj2EEEjLi2ELi128ELi1EEEvPT_NS1_25CatArrInputTensorMetadataIS5_T0_XT2_EXT3_EEENS1_16TensorSizeStrideIS8_Lj4EEEiS8_,@function
_ZN2at6native12_GLOBAL__N_119CatArrayBatchedCopyINS1_10OpaqueTypeILj2EEEjLi2ELi128ELi1EEEvPT_NS1_25CatArrInputTensorMetadataIS5_T0_XT2_EXT3_EEENS1_16TensorSizeStrideIS8_Lj4EEEiS8_: ; @_ZN2at6native12_GLOBAL__N_119CatArrayBatchedCopyINS1_10OpaqueTypeILj2EEEjLi2ELi128ELi1EEEvPT_NS1_25CatArrInputTensorMetadataIS5_T0_XT2_EXT3_EEENS1_16TensorSizeStrideIS8_Lj4EEEiS8_
; %bb.0:
	s_load_dword s3, s[4:5], 0xadc
	s_mov_b32 s0, s7
	s_or_b32 s2, s4, 8
	s_mov_b32 s1, 0
	s_add_u32 s8, s4, 0xad0
	s_addc_u32 s9, s5, 0
	s_lshl_b64 s[10:11], s[0:1], 2
	s_waitcnt lgkmcnt(0)
	s_and_b32 s17, s3, 0xffff
	s_add_u32 s12, s2, s10
	s_addc_u32 s13, s5, s11
	v_mad_u64_u32 v[0:1], null, s6, s17, v[0:1]
	s_load_dword s14, s[12:13], 0x800
	s_mov_b32 s6, exec_lo
	s_waitcnt lgkmcnt(0)
	v_cmpx_gt_u32_e64 s14, v0
	s_cbranch_execz .LBB29_5
; %bb.1:
	v_mov_b32_e32 v1, 0x800
	s_add_u32 s6, s2, s0
	s_addc_u32 s7, s5, 0
	s_mov_b32 s3, s5
	global_load_ubyte v1, v1, s[6:7] offset:512
	s_waitcnt vmcnt(0)
	v_and_b32_e32 v1, 1, v1
	v_cmp_eq_u32_e32 vcc_lo, 1, v1
	s_xor_b32 s15, vcc_lo, -1
	s_add_u32 s18, s12, s10
	s_addc_u32 s19, s13, s11
	s_sub_u32 s0, 0, s10
	s_subb_u32 s7, 0, s11
	s_add_u32 s6, s18, s0
	s_addc_u32 s7, s19, s7
	s_clause 0x5
	s_load_dwordx2 s[20:21], s[4:5], 0xac8
	s_load_dword s0, s[6:7], 0x600
	s_load_dword s10, s[4:5], 0xaac
	;; [unrolled: 1-line block ×3, first 2 shown]
	s_load_dwordx2 s[2:3], s[2:3], 0xa90
	s_load_dword s16, s[6:7], 0x400
	s_waitcnt lgkmcnt(0)
	s_cmp_eq_u32 s20, 1
	s_cselect_b32 s10, s0, s10
	s_cselect_b32 s11, s0, s11
	v_cvt_f32_u32_e32 v1, s10
	v_cvt_f32_u32_e32 v2, s11
	s_sub_i32 s12, 0, s10
	s_sub_i32 s13, 0, s11
	s_load_dword s0, s[8:9], 0x0
	v_rcp_iflag_f32_e32 v1, v1
	v_rcp_iflag_f32_e32 v2, v2
	s_clause 0x2
	s_load_dwordx2 s[6:7], s[4:5], 0x0
	s_load_dwordx2 s[4:5], s[4:5], 0xab8
	;; [unrolled: 1-line block ×3, first 2 shown]
	s_mul_i32 s16, s16, s21
	v_mul_f32_e32 v1, 0x4f7ffffe, v1
	v_mul_f32_e32 v2, 0x4f7ffffe, v2
	v_cvt_u32_f32_e32 v3, v1
	v_cvt_u32_f32_e32 v2, v2
	s_waitcnt lgkmcnt(0)
	s_mul_i32 s17, s0, s17
	v_mul_lo_u32 v1, s12, v3
	v_mul_lo_u32 v4, s13, v2
	v_mul_hi_u32 v5, v3, v1
	v_mul_hi_u32 v6, v2, v4
	v_mov_b32_e32 v1, 0
	v_add_nc_u32_e32 v4, v3, v5
	v_add_nc_u32_e32 v5, v2, v6
	s_branch .LBB29_3
.LBB29_2:                               ;   in Loop: Header=BB29_3 Depth=1
	v_lshlrev_b64 v[2:3], 1, v[2:3]
	v_mul_hi_u32 v9, v4, v0
	v_add_co_u32 v2, vcc_lo, s8, v2
	v_add_co_ci_u32_e64 v3, null, s9, v3, vcc_lo
	v_not_b32_e32 v6, v9
	global_load_ushort v8, v[2:3], off
	v_mad_u64_u32 v[2:3], null, s12, v9, v[0:1]
	v_mad_u64_u32 v[6:7], null, s10, v6, v[0:1]
	v_add_nc_u32_e32 v3, 1, v9
	v_cmp_le_u32_e32 vcc_lo, s10, v2
	v_cndmask_b32_e32 v3, v9, v3, vcc_lo
	v_cndmask_b32_e32 v2, v2, v6, vcc_lo
	v_add_nc_u32_e32 v6, 1, v3
	v_cmp_le_u32_e32 vcc_lo, s10, v2
	v_cndmask_b32_e32 v6, v3, v6, vcc_lo
	v_mad_u64_u32 v[2:3], null, s12, v6, v[0:1]
	v_mul_lo_u32 v3, v6, s4
	v_add_nc_u32_e32 v0, s17, v0
	v_cmp_le_u32_e32 vcc_lo, s14, v0
	v_mul_lo_u32 v2, v2, s5
	s_or_b32 s1, vcc_lo, s1
	v_add3_u32 v2, v2, v3, s16
	v_mov_b32_e32 v3, v1
	v_lshlrev_b64 v[2:3], 1, v[2:3]
	v_add_co_u32 v2, s0, s6, v2
	v_add_co_ci_u32_e64 v3, null, s7, v3, s0
	s_waitcnt vmcnt(0)
	global_store_short v[2:3], v8, off
	s_andn2_b32 exec_lo, exec_lo, s1
	s_cbranch_execz .LBB29_5
.LBB29_3:                               ; =>This Inner Loop Header: Depth=1
	v_mov_b32_e32 v3, v1
	v_mov_b32_e32 v2, v0
	s_andn2_b32 vcc_lo, exec_lo, s15
	s_cbranch_vccnz .LBB29_2
; %bb.4:                                ;   in Loop: Header=BB29_3 Depth=1
	v_mul_hi_u32 v8, v5, v0
	v_not_b32_e32 v6, v8
	v_mad_u64_u32 v[2:3], null, s13, v8, v[0:1]
	v_add_nc_u32_e32 v3, 1, v8
	v_mad_u64_u32 v[6:7], null, s11, v6, v[0:1]
	v_cmp_le_u32_e32 vcc_lo, s11, v2
	v_cndmask_b32_e32 v3, v8, v3, vcc_lo
	v_cndmask_b32_e32 v2, v2, v6, vcc_lo
	v_add_nc_u32_e32 v6, 1, v3
	v_cmp_le_u32_e32 vcc_lo, s11, v2
	v_cndmask_b32_e32 v6, v3, v6, vcc_lo
	v_mad_u64_u32 v[2:3], null, s13, v6, v[0:1]
	v_mul_lo_u32 v3, v6, s2
	v_mad_u64_u32 v[2:3], null, v2, s3, v[3:4]
	v_mov_b32_e32 v3, v1
	s_branch .LBB29_2
.LBB29_5:
	s_endpgm
	.section	.rodata,"a",@progbits
	.p2align	6, 0x0
	.amdhsa_kernel _ZN2at6native12_GLOBAL__N_119CatArrayBatchedCopyINS1_10OpaqueTypeILj2EEEjLi2ELi128ELi1EEEvPT_NS1_25CatArrInputTensorMetadataIS5_T0_XT2_EXT3_EEENS1_16TensorSizeStrideIS8_Lj4EEEiS8_
		.amdhsa_group_segment_fixed_size 0
		.amdhsa_private_segment_fixed_size 0
		.amdhsa_kernarg_size 3024
		.amdhsa_user_sgpr_count 6
		.amdhsa_user_sgpr_private_segment_buffer 1
		.amdhsa_user_sgpr_dispatch_ptr 0
		.amdhsa_user_sgpr_queue_ptr 0
		.amdhsa_user_sgpr_kernarg_segment_ptr 1
		.amdhsa_user_sgpr_dispatch_id 0
		.amdhsa_user_sgpr_flat_scratch_init 0
		.amdhsa_user_sgpr_private_segment_size 0
		.amdhsa_wavefront_size32 1
		.amdhsa_uses_dynamic_stack 0
		.amdhsa_system_sgpr_private_segment_wavefront_offset 0
		.amdhsa_system_sgpr_workgroup_id_x 1
		.amdhsa_system_sgpr_workgroup_id_y 1
		.amdhsa_system_sgpr_workgroup_id_z 0
		.amdhsa_system_sgpr_workgroup_info 0
		.amdhsa_system_vgpr_workitem_id 0
		.amdhsa_next_free_vgpr 10
		.amdhsa_next_free_sgpr 22
		.amdhsa_reserve_vcc 1
		.amdhsa_reserve_flat_scratch 0
		.amdhsa_float_round_mode_32 0
		.amdhsa_float_round_mode_16_64 0
		.amdhsa_float_denorm_mode_32 3
		.amdhsa_float_denorm_mode_16_64 3
		.amdhsa_dx10_clamp 1
		.amdhsa_ieee_mode 1
		.amdhsa_fp16_overflow 0
		.amdhsa_workgroup_processor_mode 1
		.amdhsa_memory_ordered 1
		.amdhsa_forward_progress 1
		.amdhsa_shared_vgpr_count 0
		.amdhsa_exception_fp_ieee_invalid_op 0
		.amdhsa_exception_fp_denorm_src 0
		.amdhsa_exception_fp_ieee_div_zero 0
		.amdhsa_exception_fp_ieee_overflow 0
		.amdhsa_exception_fp_ieee_underflow 0
		.amdhsa_exception_fp_ieee_inexact 0
		.amdhsa_exception_int_div_zero 0
	.end_amdhsa_kernel
	.section	.text._ZN2at6native12_GLOBAL__N_119CatArrayBatchedCopyINS1_10OpaqueTypeILj2EEEjLi2ELi128ELi1EEEvPT_NS1_25CatArrInputTensorMetadataIS5_T0_XT2_EXT3_EEENS1_16TensorSizeStrideIS8_Lj4EEEiS8_,"axG",@progbits,_ZN2at6native12_GLOBAL__N_119CatArrayBatchedCopyINS1_10OpaqueTypeILj2EEEjLi2ELi128ELi1EEEvPT_NS1_25CatArrInputTensorMetadataIS5_T0_XT2_EXT3_EEENS1_16TensorSizeStrideIS8_Lj4EEEiS8_,comdat
.Lfunc_end29:
	.size	_ZN2at6native12_GLOBAL__N_119CatArrayBatchedCopyINS1_10OpaqueTypeILj2EEEjLi2ELi128ELi1EEEvPT_NS1_25CatArrInputTensorMetadataIS5_T0_XT2_EXT3_EEENS1_16TensorSizeStrideIS8_Lj4EEEiS8_, .Lfunc_end29-_ZN2at6native12_GLOBAL__N_119CatArrayBatchedCopyINS1_10OpaqueTypeILj2EEEjLi2ELi128ELi1EEEvPT_NS1_25CatArrInputTensorMetadataIS5_T0_XT2_EXT3_EEENS1_16TensorSizeStrideIS8_Lj4EEEiS8_
                                        ; -- End function
	.set _ZN2at6native12_GLOBAL__N_119CatArrayBatchedCopyINS1_10OpaqueTypeILj2EEEjLi2ELi128ELi1EEEvPT_NS1_25CatArrInputTensorMetadataIS5_T0_XT2_EXT3_EEENS1_16TensorSizeStrideIS8_Lj4EEEiS8_.num_vgpr, 10
	.set _ZN2at6native12_GLOBAL__N_119CatArrayBatchedCopyINS1_10OpaqueTypeILj2EEEjLi2ELi128ELi1EEEvPT_NS1_25CatArrInputTensorMetadataIS5_T0_XT2_EXT3_EEENS1_16TensorSizeStrideIS8_Lj4EEEiS8_.num_agpr, 0
	.set _ZN2at6native12_GLOBAL__N_119CatArrayBatchedCopyINS1_10OpaqueTypeILj2EEEjLi2ELi128ELi1EEEvPT_NS1_25CatArrInputTensorMetadataIS5_T0_XT2_EXT3_EEENS1_16TensorSizeStrideIS8_Lj4EEEiS8_.numbered_sgpr, 22
	.set _ZN2at6native12_GLOBAL__N_119CatArrayBatchedCopyINS1_10OpaqueTypeILj2EEEjLi2ELi128ELi1EEEvPT_NS1_25CatArrInputTensorMetadataIS5_T0_XT2_EXT3_EEENS1_16TensorSizeStrideIS8_Lj4EEEiS8_.num_named_barrier, 0
	.set _ZN2at6native12_GLOBAL__N_119CatArrayBatchedCopyINS1_10OpaqueTypeILj2EEEjLi2ELi128ELi1EEEvPT_NS1_25CatArrInputTensorMetadataIS5_T0_XT2_EXT3_EEENS1_16TensorSizeStrideIS8_Lj4EEEiS8_.private_seg_size, 0
	.set _ZN2at6native12_GLOBAL__N_119CatArrayBatchedCopyINS1_10OpaqueTypeILj2EEEjLi2ELi128ELi1EEEvPT_NS1_25CatArrInputTensorMetadataIS5_T0_XT2_EXT3_EEENS1_16TensorSizeStrideIS8_Lj4EEEiS8_.uses_vcc, 1
	.set _ZN2at6native12_GLOBAL__N_119CatArrayBatchedCopyINS1_10OpaqueTypeILj2EEEjLi2ELi128ELi1EEEvPT_NS1_25CatArrInputTensorMetadataIS5_T0_XT2_EXT3_EEENS1_16TensorSizeStrideIS8_Lj4EEEiS8_.uses_flat_scratch, 0
	.set _ZN2at6native12_GLOBAL__N_119CatArrayBatchedCopyINS1_10OpaqueTypeILj2EEEjLi2ELi128ELi1EEEvPT_NS1_25CatArrInputTensorMetadataIS5_T0_XT2_EXT3_EEENS1_16TensorSizeStrideIS8_Lj4EEEiS8_.has_dyn_sized_stack, 0
	.set _ZN2at6native12_GLOBAL__N_119CatArrayBatchedCopyINS1_10OpaqueTypeILj2EEEjLi2ELi128ELi1EEEvPT_NS1_25CatArrInputTensorMetadataIS5_T0_XT2_EXT3_EEENS1_16TensorSizeStrideIS8_Lj4EEEiS8_.has_recursion, 0
	.set _ZN2at6native12_GLOBAL__N_119CatArrayBatchedCopyINS1_10OpaqueTypeILj2EEEjLi2ELi128ELi1EEEvPT_NS1_25CatArrInputTensorMetadataIS5_T0_XT2_EXT3_EEENS1_16TensorSizeStrideIS8_Lj4EEEiS8_.has_indirect_call, 0
	.section	.AMDGPU.csdata,"",@progbits
; Kernel info:
; codeLenInByte = 660
; TotalNumSgprs: 24
; NumVgprs: 10
; ScratchSize: 0
; MemoryBound: 0
; FloatMode: 240
; IeeeMode: 1
; LDSByteSize: 0 bytes/workgroup (compile time only)
; SGPRBlocks: 0
; VGPRBlocks: 1
; NumSGPRsForWavesPerEU: 24
; NumVGPRsForWavesPerEU: 10
; Occupancy: 16
; WaveLimiterHint : 1
; COMPUTE_PGM_RSRC2:SCRATCH_EN: 0
; COMPUTE_PGM_RSRC2:USER_SGPR: 6
; COMPUTE_PGM_RSRC2:TRAP_HANDLER: 0
; COMPUTE_PGM_RSRC2:TGID_X_EN: 1
; COMPUTE_PGM_RSRC2:TGID_Y_EN: 1
; COMPUTE_PGM_RSRC2:TGID_Z_EN: 0
; COMPUTE_PGM_RSRC2:TIDIG_COMP_CNT: 0
	.section	.text._ZN2at6native12_GLOBAL__N_130CatArrayBatchedCopy_vectorizedINS1_10OpaqueTypeILj2EEEjLi3ELi128ELi1ELi16ELi8EEEvPcNS1_25CatArrInputTensorMetadataIT_T0_XT2_EXT3_EEENS1_16TensorSizeStrideIS8_Lj4EEEiS8_,"axG",@progbits,_ZN2at6native12_GLOBAL__N_130CatArrayBatchedCopy_vectorizedINS1_10OpaqueTypeILj2EEEjLi3ELi128ELi1ELi16ELi8EEEvPcNS1_25CatArrInputTensorMetadataIT_T0_XT2_EXT3_EEENS1_16TensorSizeStrideIS8_Lj4EEEiS8_,comdat
	.globl	_ZN2at6native12_GLOBAL__N_130CatArrayBatchedCopy_vectorizedINS1_10OpaqueTypeILj2EEEjLi3ELi128ELi1ELi16ELi8EEEvPcNS1_25CatArrInputTensorMetadataIT_T0_XT2_EXT3_EEENS1_16TensorSizeStrideIS8_Lj4EEEiS8_ ; -- Begin function _ZN2at6native12_GLOBAL__N_130CatArrayBatchedCopy_vectorizedINS1_10OpaqueTypeILj2EEEjLi3ELi128ELi1ELi16ELi8EEEvPcNS1_25CatArrInputTensorMetadataIT_T0_XT2_EXT3_EEENS1_16TensorSizeStrideIS8_Lj4EEEiS8_
	.p2align	8
	.type	_ZN2at6native12_GLOBAL__N_130CatArrayBatchedCopy_vectorizedINS1_10OpaqueTypeILj2EEEjLi3ELi128ELi1ELi16ELi8EEEvPcNS1_25CatArrInputTensorMetadataIT_T0_XT2_EXT3_EEENS1_16TensorSizeStrideIS8_Lj4EEEiS8_,@function
_ZN2at6native12_GLOBAL__N_130CatArrayBatchedCopy_vectorizedINS1_10OpaqueTypeILj2EEEjLi3ELi128ELi1ELi16ELi8EEEvPcNS1_25CatArrInputTensorMetadataIT_T0_XT2_EXT3_EEENS1_16TensorSizeStrideIS8_Lj4EEEiS8_: ; @_ZN2at6native12_GLOBAL__N_130CatArrayBatchedCopy_vectorizedINS1_10OpaqueTypeILj2EEEjLi3ELi128ELi1ELi16ELi8EEEvPcNS1_25CatArrInputTensorMetadataIT_T0_XT2_EXT3_EEENS1_16TensorSizeStrideIS8_Lj4EEEiS8_
; %bb.0:
	s_mov_b32 s0, s7
	s_load_dword s7, s[4:5], 0xadc
	s_mov_b32 s1, 0
	s_add_u32 s2, s4, 0xad0
	s_addc_u32 s3, s5, 0
	s_lshl_b64 s[8:9], s[0:1], 2
	s_waitcnt lgkmcnt(0)
	s_and_b32 s13, s7, 0xffff
	s_add_u32 s10, s4, s8
	s_addc_u32 s11, s5, s9
	v_mad_u64_u32 v[0:1], null, s6, s13, v[0:1]
	s_load_dword s12, s[10:11], 0x808
	s_add_u32 s0, s10, 8
	s_addc_u32 s7, s11, 0
	s_mov_b32 s10, exec_lo
	s_waitcnt lgkmcnt(0)
	s_lshr_b32 s6, s12, 3
	v_cmpx_gt_u32_e64 s6, v0
	s_cbranch_execz .LBB30_3
; %bb.1:
	s_add_u32 s14, s0, s8
	s_addc_u32 s15, s7, s9
	s_sub_u32 s0, 0, s8
	s_subb_u32 s7, 0, s9
	s_add_u32 s8, s14, s0
	s_addc_u32 s9, s15, s7
	s_clause 0x5
	s_load_dwordx2 s[16:17], s[4:5], 0xac8
	s_load_dword s0, s[8:9], 0x400
	s_load_dword s7, s[8:9], 0x600
	s_load_dwordx2 s[18:19], s[4:5], 0xaac
	s_load_dwordx4 s[8:11], s[4:5], 0xab8
	s_load_dwordx2 s[22:23], s[4:5], 0x0
	s_waitcnt lgkmcnt(0)
	s_mul_i32 s0, s0, s17
	s_mul_i32 s7, s7, s17
	s_lshr_b32 s0, s0, 3
	s_lshr_b32 s7, s7, 3
	s_lshl_b64 s[20:21], s[0:1], 4
	s_cmp_eq_u32 s16, 2
	s_cselect_b32 s4, s7, s19
	s_cmp_eq_u32 s16, 1
	v_cvt_f32_u32_e32 v1, s4
	s_cselect_b32 s5, s7, s18
	s_add_u32 s7, s22, s20
	v_cvt_f32_u32_e32 v2, s5
	s_addc_u32 s11, s23, s21
	v_rcp_iflag_f32_e32 v1, v1
	s_sub_i32 s12, 0, s4
	s_sub_i32 s0, 0, s5
	v_rcp_iflag_f32_e32 v2, v2
	s_load_dword s16, s[2:3], 0x0
	s_load_dwordx2 s[2:3], s[14:15], 0x0
	v_mul_f32_e32 v1, 0x4f7ffffe, v1
	v_mul_f32_e32 v2, 0x4f7ffffe, v2
	v_cvt_u32_f32_e32 v1, v1
	v_cvt_u32_f32_e32 v3, v2
	v_mul_lo_u32 v2, s12, v1
	v_mul_lo_u32 v4, s0, v3
	s_waitcnt lgkmcnt(0)
	s_mul_i32 s13, s16, s13
	v_mul_hi_u32 v2, v1, v2
	v_mul_hi_u32 v4, v3, v4
	v_add_nc_u32_e32 v2, v1, v2
	v_mov_b32_e32 v1, 0
	v_add_nc_u32_e32 v3, v3, v4
.LBB30_2:                               ; =>This Inner Loop Header: Depth=1
	v_lshlrev_b64 v[4:5], 4, v[0:1]
	v_mul_hi_u32 v10, v2, v0
	v_add_co_u32 v4, vcc_lo, s2, v4
	v_add_co_ci_u32_e64 v5, null, s3, v5, vcc_lo
	v_mul_lo_u32 v11, s4, v10
	v_not_b32_e32 v8, v10
	v_add_nc_u32_e32 v12, 1, v10
	global_load_dwordx4 v[4:7], v[4:5], off
	v_mad_u64_u32 v[8:9], null, s4, v8, v[0:1]
	v_sub_nc_u32_e32 v9, v0, v11
	v_cmp_le_u32_e32 vcc_lo, s4, v9
	v_cndmask_b32_e32 v10, v10, v12, vcc_lo
	v_cndmask_b32_e32 v8, v9, v8, vcc_lo
	v_add_nc_u32_e32 v9, 1, v10
	v_cmp_le_u32_e32 vcc_lo, s4, v8
	v_cndmask_b32_e32 v10, v10, v9, vcc_lo
	v_mul_hi_u32 v8, v10, v3
	v_mul_lo_u32 v9, v8, s5
	v_add_nc_u32_e32 v11, 1, v8
	v_sub_nc_u32_e32 v9, v10, v9
	v_subrev_nc_u32_e32 v12, s5, v9
	v_cmp_le_u32_e32 vcc_lo, s5, v9
	v_cndmask_b32_e32 v8, v8, v11, vcc_lo
	v_cndmask_b32_e32 v9, v9, v12, vcc_lo
	v_add_nc_u32_e32 v11, 1, v8
	v_cmp_le_u32_e32 vcc_lo, s5, v9
	v_cndmask_b32_e32 v11, v8, v11, vcc_lo
	v_mad_u64_u32 v[8:9], null, s12, v10, v[0:1]
	v_add_nc_u32_e32 v0, s13, v0
	v_mul_lo_u32 v12, v11, s5
	v_cmp_le_u32_e32 vcc_lo, s6, v0
	v_mul_lo_u32 v8, v8, s10
	v_sub_nc_u32_e32 v9, v10, v12
	v_mul_lo_u32 v10, v11, s8
	s_or_b32 s1, vcc_lo, s1
	v_mul_lo_u32 v11, v9, s9
	v_mov_b32_e32 v9, v1
	v_add3_u32 v8, v8, v10, v11
	v_lshlrev_b64 v[8:9], 4, v[8:9]
	v_add_co_u32 v8, s0, s7, v8
	v_add_co_ci_u32_e64 v9, null, s11, v9, s0
	s_waitcnt vmcnt(0)
	global_store_dwordx4 v[8:9], v[4:7], off
	s_andn2_b32 exec_lo, exec_lo, s1
	s_cbranch_execnz .LBB30_2
.LBB30_3:
	s_endpgm
	.section	.rodata,"a",@progbits
	.p2align	6, 0x0
	.amdhsa_kernel _ZN2at6native12_GLOBAL__N_130CatArrayBatchedCopy_vectorizedINS1_10OpaqueTypeILj2EEEjLi3ELi128ELi1ELi16ELi8EEEvPcNS1_25CatArrInputTensorMetadataIT_T0_XT2_EXT3_EEENS1_16TensorSizeStrideIS8_Lj4EEEiS8_
		.amdhsa_group_segment_fixed_size 0
		.amdhsa_private_segment_fixed_size 0
		.amdhsa_kernarg_size 3024
		.amdhsa_user_sgpr_count 6
		.amdhsa_user_sgpr_private_segment_buffer 1
		.amdhsa_user_sgpr_dispatch_ptr 0
		.amdhsa_user_sgpr_queue_ptr 0
		.amdhsa_user_sgpr_kernarg_segment_ptr 1
		.amdhsa_user_sgpr_dispatch_id 0
		.amdhsa_user_sgpr_flat_scratch_init 0
		.amdhsa_user_sgpr_private_segment_size 0
		.amdhsa_wavefront_size32 1
		.amdhsa_uses_dynamic_stack 0
		.amdhsa_system_sgpr_private_segment_wavefront_offset 0
		.amdhsa_system_sgpr_workgroup_id_x 1
		.amdhsa_system_sgpr_workgroup_id_y 1
		.amdhsa_system_sgpr_workgroup_id_z 0
		.amdhsa_system_sgpr_workgroup_info 0
		.amdhsa_system_vgpr_workitem_id 0
		.amdhsa_next_free_vgpr 13
		.amdhsa_next_free_sgpr 24
		.amdhsa_reserve_vcc 1
		.amdhsa_reserve_flat_scratch 0
		.amdhsa_float_round_mode_32 0
		.amdhsa_float_round_mode_16_64 0
		.amdhsa_float_denorm_mode_32 3
		.amdhsa_float_denorm_mode_16_64 3
		.amdhsa_dx10_clamp 1
		.amdhsa_ieee_mode 1
		.amdhsa_fp16_overflow 0
		.amdhsa_workgroup_processor_mode 1
		.amdhsa_memory_ordered 1
		.amdhsa_forward_progress 1
		.amdhsa_shared_vgpr_count 0
		.amdhsa_exception_fp_ieee_invalid_op 0
		.amdhsa_exception_fp_denorm_src 0
		.amdhsa_exception_fp_ieee_div_zero 0
		.amdhsa_exception_fp_ieee_overflow 0
		.amdhsa_exception_fp_ieee_underflow 0
		.amdhsa_exception_fp_ieee_inexact 0
		.amdhsa_exception_int_div_zero 0
	.end_amdhsa_kernel
	.section	.text._ZN2at6native12_GLOBAL__N_130CatArrayBatchedCopy_vectorizedINS1_10OpaqueTypeILj2EEEjLi3ELi128ELi1ELi16ELi8EEEvPcNS1_25CatArrInputTensorMetadataIT_T0_XT2_EXT3_EEENS1_16TensorSizeStrideIS8_Lj4EEEiS8_,"axG",@progbits,_ZN2at6native12_GLOBAL__N_130CatArrayBatchedCopy_vectorizedINS1_10OpaqueTypeILj2EEEjLi3ELi128ELi1ELi16ELi8EEEvPcNS1_25CatArrInputTensorMetadataIT_T0_XT2_EXT3_EEENS1_16TensorSizeStrideIS8_Lj4EEEiS8_,comdat
.Lfunc_end30:
	.size	_ZN2at6native12_GLOBAL__N_130CatArrayBatchedCopy_vectorizedINS1_10OpaqueTypeILj2EEEjLi3ELi128ELi1ELi16ELi8EEEvPcNS1_25CatArrInputTensorMetadataIT_T0_XT2_EXT3_EEENS1_16TensorSizeStrideIS8_Lj4EEEiS8_, .Lfunc_end30-_ZN2at6native12_GLOBAL__N_130CatArrayBatchedCopy_vectorizedINS1_10OpaqueTypeILj2EEEjLi3ELi128ELi1ELi16ELi8EEEvPcNS1_25CatArrInputTensorMetadataIT_T0_XT2_EXT3_EEENS1_16TensorSizeStrideIS8_Lj4EEEiS8_
                                        ; -- End function
	.set _ZN2at6native12_GLOBAL__N_130CatArrayBatchedCopy_vectorizedINS1_10OpaqueTypeILj2EEEjLi3ELi128ELi1ELi16ELi8EEEvPcNS1_25CatArrInputTensorMetadataIT_T0_XT2_EXT3_EEENS1_16TensorSizeStrideIS8_Lj4EEEiS8_.num_vgpr, 13
	.set _ZN2at6native12_GLOBAL__N_130CatArrayBatchedCopy_vectorizedINS1_10OpaqueTypeILj2EEEjLi3ELi128ELi1ELi16ELi8EEEvPcNS1_25CatArrInputTensorMetadataIT_T0_XT2_EXT3_EEENS1_16TensorSizeStrideIS8_Lj4EEEiS8_.num_agpr, 0
	.set _ZN2at6native12_GLOBAL__N_130CatArrayBatchedCopy_vectorizedINS1_10OpaqueTypeILj2EEEjLi3ELi128ELi1ELi16ELi8EEEvPcNS1_25CatArrInputTensorMetadataIT_T0_XT2_EXT3_EEENS1_16TensorSizeStrideIS8_Lj4EEEiS8_.numbered_sgpr, 24
	.set _ZN2at6native12_GLOBAL__N_130CatArrayBatchedCopy_vectorizedINS1_10OpaqueTypeILj2EEEjLi3ELi128ELi1ELi16ELi8EEEvPcNS1_25CatArrInputTensorMetadataIT_T0_XT2_EXT3_EEENS1_16TensorSizeStrideIS8_Lj4EEEiS8_.num_named_barrier, 0
	.set _ZN2at6native12_GLOBAL__N_130CatArrayBatchedCopy_vectorizedINS1_10OpaqueTypeILj2EEEjLi3ELi128ELi1ELi16ELi8EEEvPcNS1_25CatArrInputTensorMetadataIT_T0_XT2_EXT3_EEENS1_16TensorSizeStrideIS8_Lj4EEEiS8_.private_seg_size, 0
	.set _ZN2at6native12_GLOBAL__N_130CatArrayBatchedCopy_vectorizedINS1_10OpaqueTypeILj2EEEjLi3ELi128ELi1ELi16ELi8EEEvPcNS1_25CatArrInputTensorMetadataIT_T0_XT2_EXT3_EEENS1_16TensorSizeStrideIS8_Lj4EEEiS8_.uses_vcc, 1
	.set _ZN2at6native12_GLOBAL__N_130CatArrayBatchedCopy_vectorizedINS1_10OpaqueTypeILj2EEEjLi3ELi128ELi1ELi16ELi8EEEvPcNS1_25CatArrInputTensorMetadataIT_T0_XT2_EXT3_EEENS1_16TensorSizeStrideIS8_Lj4EEEiS8_.uses_flat_scratch, 0
	.set _ZN2at6native12_GLOBAL__N_130CatArrayBatchedCopy_vectorizedINS1_10OpaqueTypeILj2EEEjLi3ELi128ELi1ELi16ELi8EEEvPcNS1_25CatArrInputTensorMetadataIT_T0_XT2_EXT3_EEENS1_16TensorSizeStrideIS8_Lj4EEEiS8_.has_dyn_sized_stack, 0
	.set _ZN2at6native12_GLOBAL__N_130CatArrayBatchedCopy_vectorizedINS1_10OpaqueTypeILj2EEEjLi3ELi128ELi1ELi16ELi8EEEvPcNS1_25CatArrInputTensorMetadataIT_T0_XT2_EXT3_EEENS1_16TensorSizeStrideIS8_Lj4EEEiS8_.has_recursion, 0
	.set _ZN2at6native12_GLOBAL__N_130CatArrayBatchedCopy_vectorizedINS1_10OpaqueTypeILj2EEEjLi3ELi128ELi1ELi16ELi8EEEvPcNS1_25CatArrInputTensorMetadataIT_T0_XT2_EXT3_EEENS1_16TensorSizeStrideIS8_Lj4EEEiS8_.has_indirect_call, 0
	.section	.AMDGPU.csdata,"",@progbits
; Kernel info:
; codeLenInByte = 600
; TotalNumSgprs: 26
; NumVgprs: 13
; ScratchSize: 0
; MemoryBound: 0
; FloatMode: 240
; IeeeMode: 1
; LDSByteSize: 0 bytes/workgroup (compile time only)
; SGPRBlocks: 0
; VGPRBlocks: 1
; NumSGPRsForWavesPerEU: 26
; NumVGPRsForWavesPerEU: 13
; Occupancy: 16
; WaveLimiterHint : 1
; COMPUTE_PGM_RSRC2:SCRATCH_EN: 0
; COMPUTE_PGM_RSRC2:USER_SGPR: 6
; COMPUTE_PGM_RSRC2:TRAP_HANDLER: 0
; COMPUTE_PGM_RSRC2:TGID_X_EN: 1
; COMPUTE_PGM_RSRC2:TGID_Y_EN: 1
; COMPUTE_PGM_RSRC2:TGID_Z_EN: 0
; COMPUTE_PGM_RSRC2:TIDIG_COMP_CNT: 0
	.section	.text._ZN2at6native12_GLOBAL__N_135CatArrayBatchedCopy_alignedK_contigINS1_10OpaqueTypeILj2EEEjLi3ELi128ELi1ELi16EEEvPT_NS1_25CatArrInputTensorMetadataIS5_T0_XT2_EXT3_EEENS1_16TensorSizeStrideIS8_Lj4EEEiS8_,"axG",@progbits,_ZN2at6native12_GLOBAL__N_135CatArrayBatchedCopy_alignedK_contigINS1_10OpaqueTypeILj2EEEjLi3ELi128ELi1ELi16EEEvPT_NS1_25CatArrInputTensorMetadataIS5_T0_XT2_EXT3_EEENS1_16TensorSizeStrideIS8_Lj4EEEiS8_,comdat
	.globl	_ZN2at6native12_GLOBAL__N_135CatArrayBatchedCopy_alignedK_contigINS1_10OpaqueTypeILj2EEEjLi3ELi128ELi1ELi16EEEvPT_NS1_25CatArrInputTensorMetadataIS5_T0_XT2_EXT3_EEENS1_16TensorSizeStrideIS8_Lj4EEEiS8_ ; -- Begin function _ZN2at6native12_GLOBAL__N_135CatArrayBatchedCopy_alignedK_contigINS1_10OpaqueTypeILj2EEEjLi3ELi128ELi1ELi16EEEvPT_NS1_25CatArrInputTensorMetadataIS5_T0_XT2_EXT3_EEENS1_16TensorSizeStrideIS8_Lj4EEEiS8_
	.p2align	8
	.type	_ZN2at6native12_GLOBAL__N_135CatArrayBatchedCopy_alignedK_contigINS1_10OpaqueTypeILj2EEEjLi3ELi128ELi1ELi16EEEvPT_NS1_25CatArrInputTensorMetadataIS5_T0_XT2_EXT3_EEENS1_16TensorSizeStrideIS8_Lj4EEEiS8_,@function
_ZN2at6native12_GLOBAL__N_135CatArrayBatchedCopy_alignedK_contigINS1_10OpaqueTypeILj2EEEjLi3ELi128ELi1ELi16EEEvPT_NS1_25CatArrInputTensorMetadataIS5_T0_XT2_EXT3_EEENS1_16TensorSizeStrideIS8_Lj4EEEiS8_: ; @_ZN2at6native12_GLOBAL__N_135CatArrayBatchedCopy_alignedK_contigINS1_10OpaqueTypeILj2EEEjLi3ELi128ELi1ELi16EEEvPT_NS1_25CatArrInputTensorMetadataIS5_T0_XT2_EXT3_EEENS1_16TensorSizeStrideIS8_Lj4EEEiS8_
; %bb.0:
	s_mov_b32 s2, s7
	s_load_dword s7, s[4:5], 0xadc
	s_mov_b32 s3, 0
	s_add_u32 s0, s4, 0xad0
	s_addc_u32 s1, s5, 0
	s_lshl_b64 s[2:3], s[2:3], 2
	s_waitcnt lgkmcnt(0)
	s_and_b32 s7, s7, 0xffff
	s_add_u32 s8, s4, s2
	s_addc_u32 s9, s5, s3
	s_mul_i32 s6, s6, s7
	s_load_dword s20, s[8:9], 0x808
	v_add_lshl_u32 v4, s6, v0, 3
	s_add_u32 s6, s8, 8
	s_addc_u32 s8, s9, 0
	s_mov_b32 s9, exec_lo
	s_waitcnt lgkmcnt(0)
	v_cmpx_gt_u32_e64 s20, v4
	s_cbranch_execz .LBB31_8
; %bb.1:
	s_add_u32 s14, s6, s2
	s_addc_u32 s15, s8, s3
	s_sub_u32 s2, 0, s2
	s_subb_u32 s3, 0, s3
	s_add_u32 s2, s14, s2
	s_addc_u32 s3, s15, s3
	s_clause 0x3
	s_load_dwordx2 s[12:13], s[4:5], 0x0
	s_load_dwordx2 s[16:17], s[4:5], 0xaac
	;; [unrolled: 1-line block ×3, first 2 shown]
	s_load_dwordx4 s[8:11], s[4:5], 0xab8
	s_waitcnt lgkmcnt(0)
	s_clause 0x2
	s_load_dword s11, s[2:3], 0x400
	s_load_dwordx2 s[14:15], s[14:15], 0x0
	s_load_dword s21, s[2:3], 0x600
	v_add_nc_u32_e32 v0, 8, v4
	s_waitcnt lgkmcnt(0)
	s_mul_i32 s11, s11, s19
	s_mov_b32 s19, exec_lo
	v_cmpx_ge_u32_e64 s20, v0
	s_cbranch_execz .LBB31_5
; %bb.2:
	s_load_dword s0, s[0:1], 0x0
	v_mov_b32_e32 v5, 0
	v_add_nc_u32_e32 v15, 7, v4
	v_add_nc_u32_e32 v16, 6, v4
	;; [unrolled: 1-line block ×7, first 2 shown]
	s_mov_b32 s26, 0
	s_waitcnt lgkmcnt(0)
	s_mul_i32 s0, s0, s7
	s_lshl_b32 s22, s0, 3
	s_cmp_eq_u32 s18, 2
	s_cselect_b32 s23, s21, s17
	s_cmp_eq_u32 s18, 1
	v_cvt_f32_u32_e32 v0, s23
	s_cselect_b32 s24, s21, s16
	s_sub_i32 s25, 0, s23
	v_cvt_f32_u32_e32 v1, s24
	s_sub_i32 s0, 0, s24
	v_rcp_iflag_f32_e32 v0, v0
	v_rcp_iflag_f32_e32 v1, v1
	v_mul_f32_e32 v0, 0x4f7ffffe, v0
	v_mul_f32_e32 v1, 0x4f7ffffe, v1
	v_cvt_u32_f32_e32 v0, v0
	v_cvt_u32_f32_e32 v1, v1
	v_mul_lo_u32 v2, s25, v0
	v_mul_lo_u32 v3, s0, v1
	v_mul_hi_u32 v2, v0, v2
	v_mul_hi_u32 v3, v1, v3
	v_add_nc_u32_e32 v21, v0, v2
	v_add_nc_u32_e32 v22, v1, v3
.LBB31_3:                               ; =>This Inner Loop Header: Depth=1
	v_mul_hi_u32 v3, v21, v4
	v_mul_hi_u32 v1, v21, v15
	;; [unrolled: 1-line block ×4, first 2 shown]
	v_add_nc_u32_e32 v0, 1, v4
	v_add_nc_u32_e32 v7, 3, v4
	;; [unrolled: 1-line block ×3, first 2 shown]
	v_lshlrev_b64 v[28:29], 1, v[4:5]
	v_not_b32_e32 v34, v3
	v_mad_u64_u32 v[30:31], null, s25, v3, v[4:5]
	v_mad_u64_u32 v[31:32], null, s25, v27, v[0:1]
	;; [unrolled: 1-line block ×3, first 2 shown]
	v_mul_hi_u32 v13, v21, v17
	v_mad_u64_u32 v[33:34], null, s23, v34, v[4:5]
	v_mul_hi_u32 v2, v21, v16
	v_add_co_u32 v28, vcc_lo, s14, v28
	v_add_nc_u32_e32 v9, 5, v4
	v_add_nc_u32_e32 v10, 6, v4
	v_add_co_ci_u32_e64 v29, null, s15, v29, vcc_lo
	v_cmp_le_u32_e32 vcc_lo, s23, v30
	v_add_nc_u32_e32 v11, 7, v4
	v_mul_hi_u32 v36, v0, v21
	v_not_b32_e32 v49, v27
	v_add_nc_u32_e32 v35, 1, v3
	v_cndmask_b32_e32 v51, v30, v33, vcc_lo
	v_mad_u64_u32 v[33:34], null, s25, v13, v[9:10]
	v_not_b32_e32 v44, v2
	v_cndmask_b32_e32 v50, v3, v35, vcc_lo
	v_mad_u64_u32 v[34:35], null, s25, v2, v[10:11]
	v_mad_u64_u32 v[2:3], null, s23, v49, v[0:1]
	v_mov_b32_e32 v12, v5
	v_add_nc_u32_e32 v0, 1, v36
	v_cmp_le_u32_e32 vcc_lo, s23, v31
	v_not_b32_e32 v43, v1
	v_not_b32_e32 v45, v13
	v_mul_hi_u32 v26, v21, v20
	v_add_nc_u32_e32 v6, 2, v4
	v_cndmask_b32_e32 v13, v36, v0, vcc_lo
	v_mad_u64_u32 v[35:36], null, s25, v1, v[11:12]
	v_cndmask_b32_e32 v31, v31, v2, vcc_lo
	global_load_dwordx4 v[0:3], v[28:29], off
	v_mul_hi_u32 v24, v21, v18
	v_mul_hi_u32 v37, v6, v21
	v_not_b32_e32 v48, v26
	v_mad_u64_u32 v[26:27], null, s25, v26, v[6:7]
	v_mul_hi_u32 v38, v7, v21
	v_not_b32_e32 v47, v25
	v_mad_u64_u32 v[27:28], null, s23, v48, v[6:7]
	v_not_b32_e32 v46, v24
	v_mad_u64_u32 v[24:25], null, s25, v24, v[8:9]
	v_add_nc_u32_e32 v25, 1, v37
	v_cmp_le_u32_e32 vcc_lo, s23, v26
	v_mul_hi_u32 v39, v8, v21
	v_mul_hi_u32 v41, v10, v21
	v_cmp_le_u32_e64 s1, s23, v34
	v_mul_hi_u32 v40, v9, v21
	v_cndmask_b32_e32 v36, v37, v25, vcc_lo
	v_cndmask_b32_e32 v37, v26, v27, vcc_lo
	v_add_nc_u32_e32 v27, 1, v38
	v_mad_u64_u32 v[25:26], null, s23, v47, v[7:8]
	v_cmp_le_u32_e32 vcc_lo, s23, v32
	v_add_nc_u32_e32 v29, 1, v39
	v_cmp_le_u32_e64 s0, s23, v33
	v_add_nc_u32_e32 v30, 1, v40
	v_mul_hi_u32 v42, v11, v21
	v_cndmask_b32_e32 v38, v38, v27, vcc_lo
	v_mad_u64_u32 v[26:27], null, s23, v46, v[8:9]
	v_cndmask_b32_e32 v25, v32, v25, vcc_lo
	v_add_nc_u32_e32 v32, 1, v41
	v_cmp_le_u32_e32 vcc_lo, s23, v24
	v_mad_u64_u32 v[27:28], null, s23, v45, v[9:10]
	v_cndmask_b32_e64 v40, v40, v30, s0
	v_cndmask_b32_e64 v32, v41, v32, s1
	v_cndmask_b32_e32 v39, v39, v29, vcc_lo
	v_add_nc_u32_e32 v41, 1, v50
	v_cndmask_b32_e32 v24, v24, v26, vcc_lo
	v_cmp_le_u32_e32 vcc_lo, s23, v51
	v_mad_u64_u32 v[28:29], null, s23, v44, v[10:11]
	v_cndmask_b32_e64 v26, v33, v27, s0
	v_add_nc_u32_e32 v33, 1, v36
	v_cndmask_b32_e32 v41, v50, v41, vcc_lo
	v_cmp_le_u32_e32 vcc_lo, s23, v37
	v_mad_u64_u32 v[29:30], null, s23, v43, v[11:12]
	v_cndmask_b32_e64 v27, v34, v28, s1
	v_cmp_le_u32_e64 s2, s23, v35
	v_cndmask_b32_e32 v37, v36, v33, vcc_lo
	v_add_nc_u32_e32 v44, 1, v42
	v_add_nc_u32_e32 v34, 1, v38
	v_cmp_le_u32_e64 s3, s23, v27
	v_cmp_le_u32_e64 s0, s23, v25
	v_mul_hi_u32 v27, v37, v22
	v_cndmask_b32_e64 v28, v35, v29, s2
	v_add_nc_u32_e32 v29, 1, v13
	v_add_nc_u32_e32 v35, 1, v39
	v_cmp_le_u32_e64 s1, s23, v24
	v_cmp_le_u32_e64 s5, s23, v31
	v_cndmask_b32_e64 v30, v42, v44, s2
	v_add_nc_u32_e32 v42, 1, v40
	v_add_nc_u32_e32 v43, 1, v32
	v_cmp_le_u32_e64 s2, s23, v26
	v_cndmask_b32_e64 v38, v38, v34, s0
	v_mul_lo_u32 v46, v27, s24
	v_cmp_le_u32_e64 s4, s23, v28
	v_cndmask_b32_e64 v28, v13, v29, s5
	v_cndmask_b32_e64 v39, v39, v35, s1
	v_mul_hi_u32 v13, v41, v22
	v_cndmask_b32_e64 v40, v40, v42, s2
	v_cndmask_b32_e64 v42, v32, v43, s3
	v_mul_hi_u32 v29, v38, v22
	v_mul_hi_u32 v31, v39, v22
	v_sub_nc_u32_e32 v46, v37, v46
	v_mad_u64_u32 v[24:25], null, s25, v41, v[4:5]
	v_mul_hi_u32 v33, v42, v22
	v_mul_lo_u32 v36, v13, s24
	v_add_nc_u32_e32 v47, 1, v27
	v_mul_lo_u32 v48, v29, s24
	v_cmp_le_u32_e64 s2, s24, v46
	v_mad_u64_u32 v[25:26], null, s25, v28, v[4:5]
	v_add_nc_u32_e32 v44, 1, v30
	v_mul_hi_u32 v26, v28, v22
	v_mul_lo_u32 v50, v31, s24
	v_add_nc_u32_e32 v4, s22, v4
	v_sub_nc_u32_e32 v36, v41, v36
	v_cndmask_b32_e64 v47, v27, v47, s2
	v_mul_lo_u32 v27, v33, s24
	v_cndmask_b32_e64 v30, v30, v44, s4
	v_mul_hi_u32 v32, v40, v22
	v_sub_nc_u32_e32 v48, v38, v48
	v_add_nc_u32_e32 v35, 8, v4
	v_add_nc_u32_e32 v43, 1, v13
	v_mul_lo_u32 v44, s10, v25
	v_mul_lo_u32 v25, v26, s24
	v_cmp_le_u32_e64 s0, s24, v36
	v_sub_nc_u32_e32 v50, v39, v50
	v_mul_hi_u32 v34, v30, v22
	v_add_nc_u32_e32 v49, 1, v29
	v_cmp_le_u32_e64 s3, s24, v48
	v_sub_nc_u32_e32 v27, v42, v27
	v_cmp_lt_u32_e32 vcc_lo, s20, v35
	v_add_nc_u32_e32 v35, 1, v31
	v_cndmask_b32_e64 v13, v13, v43, s0
	v_mul_lo_u32 v43, v32, s24
	v_cmp_le_u32_e64 s4, s24, v50
	v_sub_nc_u32_e32 v25, v28, v25
	v_cndmask_b32_e64 v29, v29, v49, s3
	v_add_nc_u32_e32 v49, 1, v33
	v_cmp_le_u32_e64 s6, s24, v27
	v_cndmask_b32_e64 v31, v31, v35, s4
	v_mul_lo_u32 v35, v34, s24
	v_add_nc_u32_e32 v45, 1, v26
	v_cmp_le_u32_e64 s1, s24, v25
	v_sub_nc_u32_e32 v43, v40, v43
	v_cndmask_b32_e64 v33, v33, v49, s6
	v_subrev_nc_u32_e32 v49, s24, v36
	v_mov_b32_e32 v14, v5
	v_cndmask_b32_e64 v26, v26, v45, s1
	v_add_nc_u32_e32 v45, 1, v32
	v_cmp_le_u32_e64 s5, s24, v43
	v_sub_nc_u32_e32 v35, v30, v35
	v_cndmask_b32_e64 v36, v36, v49, s0
	v_subrev_nc_u32_e32 v49, s24, v46
	s_or_b32 s26, vcc_lo, s26
	v_cndmask_b32_e64 v32, v32, v45, s5
	v_add_nc_u32_e32 v45, 1, v34
	v_cmp_le_u32_e64 s7, s24, v35
	v_cndmask_b32_e64 v46, v46, v49, s2
	v_subrev_nc_u32_e32 v49, s24, v50
	v_cmp_le_u32_e64 s0, s24, v36
	v_add_nc_u32_e32 v15, s22, v15
	v_cndmask_b32_e64 v34, v34, v45, s7
	v_subrev_nc_u32_e32 v45, s24, v25
	v_cndmask_b32_e64 v49, v50, v49, s4
	v_subrev_nc_u32_e32 v50, s24, v27
	v_add_nc_u32_e32 v16, s22, v16
	v_add_nc_u32_e32 v17, s22, v17
	v_cndmask_b32_e64 v45, v25, v45, s1
	v_subrev_nc_u32_e32 v25, s24, v48
	v_cndmask_b32_e64 v50, v27, v50, s6
	v_add_nc_u32_e32 v27, 1, v13
	v_add_nc_u32_e32 v18, s22, v18
	;; [unrolled: 1-line block ×3, first 2 shown]
	v_cndmask_b32_e64 v48, v48, v25, s3
	v_subrev_nc_u32_e32 v25, s24, v43
	v_cndmask_b32_e64 v36, v13, v27, s0
	v_add_nc_u32_e32 v13, 1, v26
	v_cmp_le_u32_e64 s0, s24, v45
	v_add_nc_u32_e32 v45, 1, v47
	v_cndmask_b32_e64 v43, v43, v25, s5
	v_subrev_nc_u32_e32 v25, s24, v35
	v_mov_b32_e32 v27, v5
	v_cndmask_b32_e64 v26, v26, v13, s0
	v_cmp_le_u32_e64 s0, s24, v46
	v_add_nc_u32_e32 v13, 1, v29
	v_add_nc_u32_e32 v46, 1, v31
	v_cndmask_b32_e64 v35, v35, v25, s7
	v_mov_b32_e32 v25, v5
	v_cndmask_b32_e64 v45, v47, v45, s0
	v_cmp_le_u32_e64 s0, s24, v48
	v_add_nc_u32_e32 v20, s22, v20
	v_add_nc_u32_e32 v23, s22, v23
	v_cndmask_b32_e64 v47, v29, v13, s0
	v_cmp_le_u32_e64 s0, s24, v49
	v_add_nc_u32_e32 v13, 1, v32
	v_mov_b32_e32 v29, v5
	v_cndmask_b32_e64 v46, v31, v46, s0
	v_cmp_le_u32_e64 s0, s24, v43
	v_add_nc_u32_e32 v43, 1, v33
	v_mov_b32_e32 v31, v5
	v_cndmask_b32_e64 v48, v32, v13, s0
	v_cmp_le_u32_e64 s0, s24, v50
	v_add_nc_u32_e32 v13, 1, v34
	v_cndmask_b32_e64 v43, v33, v43, s0
	v_cmp_le_u32_e64 s0, s24, v35
	v_cndmask_b32_e64 v49, v34, v13, s0
	v_mad_u64_u32 v[34:35], null, s25, v37, v[6:7]
	v_mad_u64_u32 v[6:7], null, s25, v38, v[7:8]
	;; [unrolled: 1-line block ×4, first 2 shown]
	v_mul_lo_u32 v13, v36, s8
	v_mul_lo_u32 v9, v36, s24
	v_mad_u64_u32 v[32:33], null, v24, s10, v[13:14]
	v_sub_nc_u32_e32 v24, v41, v9
	v_mul_lo_u32 v9, v26, s24
	v_mul_lo_u32 v13, v26, s8
	;; [unrolled: 1-line block ×3, first 2 shown]
	v_mov_b32_e32 v33, v5
	v_sub_nc_u32_e32 v26, v28, v9
	v_mul_lo_u32 v9, v45, s8
	v_add3_u32 v28, v44, s10, v13
	v_mul_lo_u32 v13, v47, s24
	v_sub_nc_u32_e32 v40, v40, v41
	v_mad_u64_u32 v[34:35], null, v34, s10, v[9:10]
	v_mul_lo_u32 v9, v47, s8
	v_sub_nc_u32_e32 v38, v38, v13
	v_mul_lo_u32 v13, v49, s8
	v_mad_u64_u32 v[35:36], null, v6, s10, v[9:10]
	v_mad_u64_u32 v[9:10], null, s25, v42, v[10:11]
	;; [unrolled: 1-line block ×3, first 2 shown]
	v_mul_lo_u32 v11, v45, s24
	v_mul_lo_u32 v6, v46, s8
	;; [unrolled: 1-line block ×3, first 2 shown]
	v_sub_nc_u32_e32 v44, v37, v11
	v_mul_lo_u32 v37, v43, s24
	v_mul_lo_u32 v11, v43, s8
	;; [unrolled: 1-line block ×3, first 2 shown]
	v_mad_u64_u32 v[6:7], null, v7, s10, v[6:7]
	v_mul_lo_u32 v7, v48, s8
	v_sub_nc_u32_e32 v39, v39, v36
	v_sub_nc_u32_e32 v41, v42, v37
	v_mad_u64_u32 v[36:37], null, v9, s10, v[11:12]
	v_mad_u64_u32 v[9:10], null, v10, s10, v[13:14]
	v_sub_nc_u32_e32 v11, v30, v43
	v_mul_lo_u32 v10, v24, s9
	v_mul_lo_u32 v13, v26, s9
	;; [unrolled: 1-line block ×3, first 2 shown]
	v_mad_u64_u32 v[7:8], null, v8, s10, v[7:8]
	v_mul_lo_u32 v30, v39, s9
	v_mul_lo_u32 v37, v40, s9
	;; [unrolled: 1-line block ×4, first 2 shown]
	v_add3_u32 v11, v32, v10, s11
	v_add3_u32 v13, v28, v13, s11
	v_mul_lo_u32 v38, v41, s9
	v_add3_u32 v24, v34, v24, s11
	v_add3_u32 v28, v6, v30, s11
	;; [unrolled: 1-line block ×4, first 2 shown]
	v_lshlrev_b64 v[9:10], 1, v[11:12]
	v_mov_b32_e32 v8, v5
	v_add3_u32 v26, v35, v26, s11
	v_lshlrev_b64 v[11:12], 1, v[13:14]
	v_lshlrev_b64 v[13:14], 1, v[24:25]
	v_add3_u32 v32, v36, v38, s11
	v_lshlrev_b64 v[6:7], 1, v[7:8]
	v_lshlrev_b64 v[24:25], 1, v[26:27]
	v_add_co_u32 v8, vcc_lo, s12, v9
	v_lshlrev_b64 v[26:27], 1, v[28:29]
	v_add_co_ci_u32_e64 v9, null, s13, v10, vcc_lo
	v_add_co_u32 v10, vcc_lo, s12, v11
	v_lshlrev_b64 v[28:29], 1, v[30:31]
	v_add_co_ci_u32_e64 v11, null, s13, v12, vcc_lo
	;; [unrolled: 3-line block ×3, first 2 shown]
	v_add_co_u32 v24, vcc_lo, s12, v24
	v_add_co_ci_u32_e64 v25, null, s13, v25, vcc_lo
	v_add_co_u32 v26, vcc_lo, s12, v26
	v_add_co_ci_u32_e64 v27, null, s13, v27, vcc_lo
	;; [unrolled: 2-line block ×5, first 2 shown]
	s_waitcnt vmcnt(0)
	global_store_short v[8:9], v0, off
	global_store_short_d16_hi v[10:11], v0, off
	global_store_short v[12:13], v1, off
	global_store_short_d16_hi v[24:25], v1, off
	;; [unrolled: 2-line block ×4, first 2 shown]
	s_andn2_b32 exec_lo, exec_lo, s26
	s_cbranch_execnz .LBB31_3
; %bb.4:
	s_or_b32 exec_lo, exec_lo, s26
.LBB31_5:
	s_or_b32 exec_lo, exec_lo, s19
	v_cmp_gt_u32_e32 vcc_lo, s20, v4
	s_and_b32 exec_lo, exec_lo, vcc_lo
	s_cbranch_execz .LBB31_8
; %bb.6:
	s_cmp_eq_u32 s18, 2
	s_mov_b32 s5, 0
	s_cselect_b32 s2, s21, s17
	s_cmp_eq_u32 s18, 1
	v_cvt_f32_u32_e32 v0, s2
	s_cselect_b32 s3, s21, s16
	s_sub_i32 s4, 0, s2
	v_cvt_f32_u32_e32 v1, s3
	s_sub_i32 s0, 0, s3
	v_rcp_iflag_f32_e32 v0, v0
	v_rcp_iflag_f32_e32 v1, v1
	v_mul_f32_e32 v0, 0x4f7ffffe, v0
	v_mul_f32_e32 v1, 0x4f7ffffe, v1
	v_cvt_u32_f32_e32 v0, v0
	v_cvt_u32_f32_e32 v2, v1
	v_mov_b32_e32 v1, 0
	v_mul_lo_u32 v3, s4, v0
	v_mul_lo_u32 v5, s0, v2
	v_mul_hi_u32 v3, v0, v3
	v_mul_hi_u32 v8, v2, v5
	v_mov_b32_e32 v5, v1
	v_add_nc_u32_e32 v7, v0, v3
	v_lshlrev_b64 v[5:6], 1, v[4:5]
	v_add_nc_u32_e32 v8, v2, v8
	v_mad_u64_u32 v[2:3], null, v4, v7, 0
	v_add_co_u32 v5, vcc_lo, s14, v5
	v_add_co_ci_u32_e64 v6, null, s15, v6, vcc_lo
.LBB31_7:                               ; =>This Inner Loop Header: Depth=1
	global_load_ushort v11, v[5:6], off
	v_mul_lo_u32 v0, s2, v3
	v_not_b32_e32 v9, v3
	v_add_nc_u32_e32 v12, 1, v3
	v_mad_u64_u32 v[9:10], null, s2, v9, v[4:5]
	v_sub_nc_u32_e32 v0, v4, v0
	v_cmp_le_u32_e32 vcc_lo, s2, v0
	v_cndmask_b32_e32 v10, v3, v12, vcc_lo
	v_cndmask_b32_e32 v0, v0, v9, vcc_lo
	v_add_nc_u32_e32 v9, 1, v10
	v_cmp_le_u32_e32 vcc_lo, s2, v0
	v_cndmask_b32_e32 v12, v10, v9, vcc_lo
	v_add_co_u32 v2, vcc_lo, v2, v7
	v_add_co_ci_u32_e64 v3, null, 0, v3, vcc_lo
	v_mul_hi_u32 v0, v12, v8
	v_mul_lo_u32 v9, v0, s3
	v_add_nc_u32_e32 v10, 1, v0
	v_sub_nc_u32_e32 v9, v12, v9
	v_subrev_nc_u32_e32 v13, s3, v9
	v_cmp_le_u32_e64 s0, s3, v9
	v_cndmask_b32_e64 v0, v0, v10, s0
	v_cndmask_b32_e64 v9, v9, v13, s0
	v_add_nc_u32_e32 v10, 1, v0
	v_cmp_le_u32_e64 s0, s3, v9
	v_cndmask_b32_e64 v0, v0, v10, s0
	v_mad_u64_u32 v[9:10], null, s4, v12, v[4:5]
	v_add_nc_u32_e32 v4, 1, v4
	v_add_co_u32 v5, s0, v5, 2
	v_mul_lo_u32 v10, v0, s3
	v_mul_lo_u32 v0, v0, s8
	v_add_co_ci_u32_e64 v6, null, 0, v6, s0
	v_cmp_le_u32_e64 s0, s20, v4
	v_sub_nc_u32_e32 v12, v12, v10
	v_mad_u64_u32 v[9:10], null, v9, s10, v[0:1]
	s_or_b32 s5, s0, s5
	v_mul_lo_u32 v0, v12, s9
	v_add3_u32 v0, v9, v0, s11
	v_lshlrev_b64 v[9:10], 1, v[0:1]
	v_add_co_u32 v9, s1, s12, v9
	v_add_co_ci_u32_e64 v10, null, s13, v10, s1
	s_waitcnt vmcnt(0)
	global_store_short v[9:10], v11, off
	s_andn2_b32 exec_lo, exec_lo, s5
	s_cbranch_execnz .LBB31_7
.LBB31_8:
	s_endpgm
	.section	.rodata,"a",@progbits
	.p2align	6, 0x0
	.amdhsa_kernel _ZN2at6native12_GLOBAL__N_135CatArrayBatchedCopy_alignedK_contigINS1_10OpaqueTypeILj2EEEjLi3ELi128ELi1ELi16EEEvPT_NS1_25CatArrInputTensorMetadataIS5_T0_XT2_EXT3_EEENS1_16TensorSizeStrideIS8_Lj4EEEiS8_
		.amdhsa_group_segment_fixed_size 0
		.amdhsa_private_segment_fixed_size 0
		.amdhsa_kernarg_size 3024
		.amdhsa_user_sgpr_count 6
		.amdhsa_user_sgpr_private_segment_buffer 1
		.amdhsa_user_sgpr_dispatch_ptr 0
		.amdhsa_user_sgpr_queue_ptr 0
		.amdhsa_user_sgpr_kernarg_segment_ptr 1
		.amdhsa_user_sgpr_dispatch_id 0
		.amdhsa_user_sgpr_flat_scratch_init 0
		.amdhsa_user_sgpr_private_segment_size 0
		.amdhsa_wavefront_size32 1
		.amdhsa_uses_dynamic_stack 0
		.amdhsa_system_sgpr_private_segment_wavefront_offset 0
		.amdhsa_system_sgpr_workgroup_id_x 1
		.amdhsa_system_sgpr_workgroup_id_y 1
		.amdhsa_system_sgpr_workgroup_id_z 0
		.amdhsa_system_sgpr_workgroup_info 0
		.amdhsa_system_vgpr_workitem_id 0
		.amdhsa_next_free_vgpr 52
		.amdhsa_next_free_sgpr 27
		.amdhsa_reserve_vcc 1
		.amdhsa_reserve_flat_scratch 0
		.amdhsa_float_round_mode_32 0
		.amdhsa_float_round_mode_16_64 0
		.amdhsa_float_denorm_mode_32 3
		.amdhsa_float_denorm_mode_16_64 3
		.amdhsa_dx10_clamp 1
		.amdhsa_ieee_mode 1
		.amdhsa_fp16_overflow 0
		.amdhsa_workgroup_processor_mode 1
		.amdhsa_memory_ordered 1
		.amdhsa_forward_progress 1
		.amdhsa_shared_vgpr_count 0
		.amdhsa_exception_fp_ieee_invalid_op 0
		.amdhsa_exception_fp_denorm_src 0
		.amdhsa_exception_fp_ieee_div_zero 0
		.amdhsa_exception_fp_ieee_overflow 0
		.amdhsa_exception_fp_ieee_underflow 0
		.amdhsa_exception_fp_ieee_inexact 0
		.amdhsa_exception_int_div_zero 0
	.end_amdhsa_kernel
	.section	.text._ZN2at6native12_GLOBAL__N_135CatArrayBatchedCopy_alignedK_contigINS1_10OpaqueTypeILj2EEEjLi3ELi128ELi1ELi16EEEvPT_NS1_25CatArrInputTensorMetadataIS5_T0_XT2_EXT3_EEENS1_16TensorSizeStrideIS8_Lj4EEEiS8_,"axG",@progbits,_ZN2at6native12_GLOBAL__N_135CatArrayBatchedCopy_alignedK_contigINS1_10OpaqueTypeILj2EEEjLi3ELi128ELi1ELi16EEEvPT_NS1_25CatArrInputTensorMetadataIS5_T0_XT2_EXT3_EEENS1_16TensorSizeStrideIS8_Lj4EEEiS8_,comdat
.Lfunc_end31:
	.size	_ZN2at6native12_GLOBAL__N_135CatArrayBatchedCopy_alignedK_contigINS1_10OpaqueTypeILj2EEEjLi3ELi128ELi1ELi16EEEvPT_NS1_25CatArrInputTensorMetadataIS5_T0_XT2_EXT3_EEENS1_16TensorSizeStrideIS8_Lj4EEEiS8_, .Lfunc_end31-_ZN2at6native12_GLOBAL__N_135CatArrayBatchedCopy_alignedK_contigINS1_10OpaqueTypeILj2EEEjLi3ELi128ELi1ELi16EEEvPT_NS1_25CatArrInputTensorMetadataIS5_T0_XT2_EXT3_EEENS1_16TensorSizeStrideIS8_Lj4EEEiS8_
                                        ; -- End function
	.set _ZN2at6native12_GLOBAL__N_135CatArrayBatchedCopy_alignedK_contigINS1_10OpaqueTypeILj2EEEjLi3ELi128ELi1ELi16EEEvPT_NS1_25CatArrInputTensorMetadataIS5_T0_XT2_EXT3_EEENS1_16TensorSizeStrideIS8_Lj4EEEiS8_.num_vgpr, 52
	.set _ZN2at6native12_GLOBAL__N_135CatArrayBatchedCopy_alignedK_contigINS1_10OpaqueTypeILj2EEEjLi3ELi128ELi1ELi16EEEvPT_NS1_25CatArrInputTensorMetadataIS5_T0_XT2_EXT3_EEENS1_16TensorSizeStrideIS8_Lj4EEEiS8_.num_agpr, 0
	.set _ZN2at6native12_GLOBAL__N_135CatArrayBatchedCopy_alignedK_contigINS1_10OpaqueTypeILj2EEEjLi3ELi128ELi1ELi16EEEvPT_NS1_25CatArrInputTensorMetadataIS5_T0_XT2_EXT3_EEENS1_16TensorSizeStrideIS8_Lj4EEEiS8_.numbered_sgpr, 27
	.set _ZN2at6native12_GLOBAL__N_135CatArrayBatchedCopy_alignedK_contigINS1_10OpaqueTypeILj2EEEjLi3ELi128ELi1ELi16EEEvPT_NS1_25CatArrInputTensorMetadataIS5_T0_XT2_EXT3_EEENS1_16TensorSizeStrideIS8_Lj4EEEiS8_.num_named_barrier, 0
	.set _ZN2at6native12_GLOBAL__N_135CatArrayBatchedCopy_alignedK_contigINS1_10OpaqueTypeILj2EEEjLi3ELi128ELi1ELi16EEEvPT_NS1_25CatArrInputTensorMetadataIS5_T0_XT2_EXT3_EEENS1_16TensorSizeStrideIS8_Lj4EEEiS8_.private_seg_size, 0
	.set _ZN2at6native12_GLOBAL__N_135CatArrayBatchedCopy_alignedK_contigINS1_10OpaqueTypeILj2EEEjLi3ELi128ELi1ELi16EEEvPT_NS1_25CatArrInputTensorMetadataIS5_T0_XT2_EXT3_EEENS1_16TensorSizeStrideIS8_Lj4EEEiS8_.uses_vcc, 1
	.set _ZN2at6native12_GLOBAL__N_135CatArrayBatchedCopy_alignedK_contigINS1_10OpaqueTypeILj2EEEjLi3ELi128ELi1ELi16EEEvPT_NS1_25CatArrInputTensorMetadataIS5_T0_XT2_EXT3_EEENS1_16TensorSizeStrideIS8_Lj4EEEiS8_.uses_flat_scratch, 0
	.set _ZN2at6native12_GLOBAL__N_135CatArrayBatchedCopy_alignedK_contigINS1_10OpaqueTypeILj2EEEjLi3ELi128ELi1ELi16EEEvPT_NS1_25CatArrInputTensorMetadataIS5_T0_XT2_EXT3_EEENS1_16TensorSizeStrideIS8_Lj4EEEiS8_.has_dyn_sized_stack, 0
	.set _ZN2at6native12_GLOBAL__N_135CatArrayBatchedCopy_alignedK_contigINS1_10OpaqueTypeILj2EEEjLi3ELi128ELi1ELi16EEEvPT_NS1_25CatArrInputTensorMetadataIS5_T0_XT2_EXT3_EEENS1_16TensorSizeStrideIS8_Lj4EEEiS8_.has_recursion, 0
	.set _ZN2at6native12_GLOBAL__N_135CatArrayBatchedCopy_alignedK_contigINS1_10OpaqueTypeILj2EEEjLi3ELi128ELi1ELi16EEEvPT_NS1_25CatArrInputTensorMetadataIS5_T0_XT2_EXT3_EEENS1_16TensorSizeStrideIS8_Lj4EEEiS8_.has_indirect_call, 0
	.section	.AMDGPU.csdata,"",@progbits
; Kernel info:
; codeLenInByte = 2820
; TotalNumSgprs: 29
; NumVgprs: 52
; ScratchSize: 0
; MemoryBound: 0
; FloatMode: 240
; IeeeMode: 1
; LDSByteSize: 0 bytes/workgroup (compile time only)
; SGPRBlocks: 0
; VGPRBlocks: 6
; NumSGPRsForWavesPerEU: 29
; NumVGPRsForWavesPerEU: 52
; Occupancy: 16
; WaveLimiterHint : 1
; COMPUTE_PGM_RSRC2:SCRATCH_EN: 0
; COMPUTE_PGM_RSRC2:USER_SGPR: 6
; COMPUTE_PGM_RSRC2:TRAP_HANDLER: 0
; COMPUTE_PGM_RSRC2:TGID_X_EN: 1
; COMPUTE_PGM_RSRC2:TGID_Y_EN: 1
; COMPUTE_PGM_RSRC2:TGID_Z_EN: 0
; COMPUTE_PGM_RSRC2:TIDIG_COMP_CNT: 0
	.section	.text._ZN2at6native12_GLOBAL__N_135CatArrayBatchedCopy_alignedK_contigINS1_10OpaqueTypeILj2EEEjLi3ELi128ELi1ELi8EEEvPT_NS1_25CatArrInputTensorMetadataIS5_T0_XT2_EXT3_EEENS1_16TensorSizeStrideIS8_Lj4EEEiS8_,"axG",@progbits,_ZN2at6native12_GLOBAL__N_135CatArrayBatchedCopy_alignedK_contigINS1_10OpaqueTypeILj2EEEjLi3ELi128ELi1ELi8EEEvPT_NS1_25CatArrInputTensorMetadataIS5_T0_XT2_EXT3_EEENS1_16TensorSizeStrideIS8_Lj4EEEiS8_,comdat
	.globl	_ZN2at6native12_GLOBAL__N_135CatArrayBatchedCopy_alignedK_contigINS1_10OpaqueTypeILj2EEEjLi3ELi128ELi1ELi8EEEvPT_NS1_25CatArrInputTensorMetadataIS5_T0_XT2_EXT3_EEENS1_16TensorSizeStrideIS8_Lj4EEEiS8_ ; -- Begin function _ZN2at6native12_GLOBAL__N_135CatArrayBatchedCopy_alignedK_contigINS1_10OpaqueTypeILj2EEEjLi3ELi128ELi1ELi8EEEvPT_NS1_25CatArrInputTensorMetadataIS5_T0_XT2_EXT3_EEENS1_16TensorSizeStrideIS8_Lj4EEEiS8_
	.p2align	8
	.type	_ZN2at6native12_GLOBAL__N_135CatArrayBatchedCopy_alignedK_contigINS1_10OpaqueTypeILj2EEEjLi3ELi128ELi1ELi8EEEvPT_NS1_25CatArrInputTensorMetadataIS5_T0_XT2_EXT3_EEENS1_16TensorSizeStrideIS8_Lj4EEEiS8_,@function
_ZN2at6native12_GLOBAL__N_135CatArrayBatchedCopy_alignedK_contigINS1_10OpaqueTypeILj2EEEjLi3ELi128ELi1ELi8EEEvPT_NS1_25CatArrInputTensorMetadataIS5_T0_XT2_EXT3_EEENS1_16TensorSizeStrideIS8_Lj4EEEiS8_: ; @_ZN2at6native12_GLOBAL__N_135CatArrayBatchedCopy_alignedK_contigINS1_10OpaqueTypeILj2EEEjLi3ELi128ELi1ELi8EEEvPT_NS1_25CatArrInputTensorMetadataIS5_T0_XT2_EXT3_EEENS1_16TensorSizeStrideIS8_Lj4EEEiS8_
; %bb.0:
	s_mov_b32 s2, s7
	s_load_dword s7, s[4:5], 0xadc
	s_mov_b32 s3, 0
	s_add_u32 s0, s4, 0xad0
	s_addc_u32 s1, s5, 0
	s_lshl_b64 s[2:3], s[2:3], 2
	s_waitcnt lgkmcnt(0)
	s_and_b32 s18, s7, 0xffff
	s_add_u32 s8, s4, s2
	s_addc_u32 s9, s5, s3
	s_mul_i32 s6, s6, s18
	s_load_dword s16, s[8:9], 0x808
	v_add_lshl_u32 v0, s6, v0, 2
	s_add_u32 s6, s8, 8
	s_addc_u32 s7, s9, 0
	s_mov_b32 s8, exec_lo
	s_waitcnt lgkmcnt(0)
	v_cmpx_gt_u32_e64 s16, v0
	s_cbranch_execz .LBB32_8
; %bb.1:
	s_add_u32 s10, s6, s2
	s_addc_u32 s11, s7, s3
	s_sub_u32 s2, 0, s2
	s_subb_u32 s3, 0, s3
	s_add_u32 s2, s10, s2
	s_addc_u32 s3, s11, s3
	s_clause 0x3
	s_load_dwordx2 s[8:9], s[4:5], 0x0
	s_load_dwordx2 s[12:13], s[4:5], 0xaac
	;; [unrolled: 1-line block ×3, first 2 shown]
	s_load_dwordx4 s[4:7], s[4:5], 0xab8
	s_waitcnt lgkmcnt(0)
	s_clause 0x2
	s_load_dword s7, s[2:3], 0x400
	s_load_dwordx2 s[10:11], s[10:11], 0x0
	s_load_dword s17, s[2:3], 0x600
	v_add_nc_u32_e32 v1, 4, v0
	s_waitcnt lgkmcnt(0)
	s_mul_i32 s7, s7, s15
	s_mov_b32 s15, exec_lo
	v_cmpx_ge_u32_e64 s16, v1
	s_cbranch_execz .LBB32_5
; %bb.2:
	s_load_dword s0, s[0:1], 0x0
	v_add_nc_u32_e32 v3, 2, v0
	s_mov_b32 s22, 0
	s_waitcnt lgkmcnt(0)
	s_mul_i32 s0, s0, s18
	s_lshl_b32 s18, s0, 2
	s_cmp_eq_u32 s14, 2
	s_cselect_b32 s19, s17, s13
	s_cmp_eq_u32 s14, 1
	v_cvt_f32_u32_e32 v1, s19
	s_cselect_b32 s20, s17, s12
	s_sub_i32 s21, 0, s19
	v_cvt_f32_u32_e32 v2, s20
	s_sub_i32 s0, 0, s20
	v_rcp_iflag_f32_e32 v1, v1
	v_rcp_iflag_f32_e32 v2, v2
	v_mul_f32_e32 v1, 0x4f7ffffe, v1
	v_mul_f32_e32 v2, 0x4f7ffffe, v2
	v_cvt_u32_f32_e32 v4, v1
	v_cvt_u32_f32_e32 v5, v2
	v_mul_lo_u32 v1, s21, v4
	v_mul_lo_u32 v2, s0, v5
	v_mul_hi_u32 v6, v4, v1
	v_mov_b32_e32 v1, 0
	v_mul_hi_u32 v7, v5, v2
	v_add_nc_u32_e32 v2, 3, v0
	v_add_nc_u32_e32 v4, v4, v6
	;; [unrolled: 1-line block ×4, first 2 shown]
.LBB32_3:                               ; =>This Inner Loop Header: Depth=1
	v_lshlrev_b64 v[7:8], 1, v[0:1]
	v_mul_hi_u32 v13, v4, v0
	v_mul_hi_u32 v21, v4, v6
	;; [unrolled: 1-line block ×4, first 2 shown]
	v_add_nc_u32_e32 v9, 1, v0
	v_add_co_u32 v7, vcc_lo, s10, v7
	v_add_co_ci_u32_e64 v8, null, s11, v8, vcc_lo
	v_add_nc_u32_e32 v10, 2, v0
	v_add_nc_u32_e32 v11, 3, v0
	v_mov_b32_e32 v12, v1
	global_load_dwordx2 v[7:8], v[7:8], off
	v_not_b32_e32 v24, v13
	v_mad_u64_u32 v[19:20], null, s21, v13, v[0:1]
	v_not_b32_e32 v25, v21
	v_mad_u64_u32 v[20:21], null, s21, v21, v[9:10]
	v_mad_u64_u32 v[21:22], null, s21, v17, v[10:11]
	;; [unrolled: 1-line block ×3, first 2 shown]
	v_mul_hi_u32 v28, v9, v4
	v_mad_u64_u32 v[23:24], null, s19, v24, v[0:1]
	v_add_nc_u32_e32 v31, 1, v13
	v_cmp_le_u32_e32 vcc_lo, s19, v19
	v_not_b32_e32 v26, v17
	v_mul_hi_u32 v30, v11, v4
	v_not_b32_e32 v27, v15
	v_mad_u64_u32 v[24:25], null, s19, v25, v[9:10]
	v_add_nc_u32_e32 v15, 1, v28
	v_cndmask_b32_e32 v13, v13, v31, vcc_lo
	v_cmp_le_u32_e64 s2, s19, v20
	v_cndmask_b32_e32 v19, v19, v23, vcc_lo
	v_mad_u64_u32 v[25:26], null, s19, v26, v[10:11]
	v_mul_hi_u32 v29, v10, v4
	v_mad_u64_u32 v[26:27], null, s19, v27, v[11:12]
	v_add_nc_u32_e32 v17, 1, v30
	v_cmp_le_u32_e64 s1, s19, v22
	v_cndmask_b32_e64 v15, v28, v15, s2
	v_add_nc_u32_e32 v23, 1, v13
	v_cndmask_b32_e64 v20, v20, v24, s2
	v_cmp_le_u32_e32 vcc_lo, s19, v19
	v_add_nc_u32_e32 v9, 1, v29
	v_cmp_le_u32_e64 s0, s19, v21
	v_cndmask_b32_e64 v17, v30, v17, s1
	v_cndmask_b32_e64 v22, v22, v26, s1
	v_add_nc_u32_e32 v24, 1, v15
	v_cndmask_b32_e32 v23, v13, v23, vcc_lo
	v_cmp_le_u32_e64 s1, s19, v20
	v_cndmask_b32_e64 v9, v29, v9, s0
	v_cndmask_b32_e64 v21, v21, v25, s0
	v_cmp_le_u32_e64 s0, s19, v22
	v_mul_hi_u32 v13, v23, v5
	v_cndmask_b32_e64 v22, v15, v24, s1
	v_add_nc_u32_e32 v26, 1, v17
	v_mad_u64_u32 v[19:20], null, s21, v23, v[0:1]
	v_add_nc_u32_e32 v25, 1, v9
	v_cmp_le_u32_e32 vcc_lo, s19, v21
	v_mad_u64_u32 v[20:21], null, s21, v22, v[0:1]
	v_mul_hi_u32 v15, v22, v5
	v_add_nc_u32_e32 v0, s18, v0
	v_cndmask_b32_e64 v17, v17, v26, s0
	v_mul_lo_u32 v26, v13, s20
	v_cndmask_b32_e32 v24, v9, v25, vcc_lo
	v_add_nc_u32_e32 v27, 1, v13
	v_add_nc_u32_e32 v25, 4, v0
	v_mul_lo_u32 v28, s6, v20
	v_mul_lo_u32 v20, v15, s20
	v_mul_hi_u32 v21, v24, v5
	v_mad_u64_u32 v[9:10], null, s21, v24, v[10:11]
	v_cmp_lt_u32_e32 vcc_lo, s16, v25
	v_sub_nc_u32_e32 v25, v23, v26
	v_mad_u64_u32 v[10:11], null, s21, v17, v[11:12]
	v_mul_hi_u32 v11, v17, v5
	v_sub_nc_u32_e32 v20, v22, v20
	v_cmp_le_u32_e64 s0, s20, v25
	v_mul_lo_u32 v30, v21, s20
	v_add_nc_u32_e32 v29, 1, v15
	v_add_nc_u32_e32 v32, 1, v21
	v_cmp_le_u32_e64 s1, s20, v20
	v_cndmask_b32_e64 v13, v13, v27, s0
	v_subrev_nc_u32_e32 v27, s20, v25
	v_mul_lo_u32 v31, v11, s20
	v_add_nc_u32_e32 v33, 1, v11
	v_sub_nc_u32_e32 v26, v24, v30
	v_cndmask_b32_e64 v15, v15, v29, s1
	v_subrev_nc_u32_e32 v29, s20, v20
	v_cndmask_b32_e64 v25, v25, v27, s0
	v_add_nc_u32_e32 v27, 1, v13
	v_cmp_le_u32_e64 s2, s20, v26
	v_sub_nc_u32_e32 v30, v17, v31
	v_subrev_nc_u32_e32 v31, s20, v26
	v_cndmask_b32_e64 v20, v20, v29, s1
	v_cmp_le_u32_e64 s0, s20, v25
	v_cndmask_b32_e64 v21, v21, v32, s2
	v_cmp_le_u32_e64 s3, s20, v30
	v_subrev_nc_u32_e32 v32, s20, v30
	v_add_nc_u32_e32 v29, 1, v15
	v_cndmask_b32_e64 v26, v26, v31, s2
	v_cndmask_b32_e64 v13, v13, v27, s0
	v_cmp_le_u32_e64 s0, s20, v20
	v_cndmask_b32_e64 v11, v11, v33, s3
	v_add_nc_u32_e32 v31, 1, v21
	v_cndmask_b32_e64 v30, v30, v32, s3
	v_mul_lo_u32 v25, v13, s20
	v_cndmask_b32_e64 v15, v15, v29, s0
	v_cmp_le_u32_e64 s0, s20, v26
	v_add_nc_u32_e32 v32, 1, v11
	v_mov_b32_e32 v14, v1
	v_mov_b32_e32 v16, v1
	v_mul_lo_u32 v26, v15, s20
	v_cndmask_b32_e64 v20, v21, v31, s0
	v_cmp_le_u32_e64 s0, s20, v30
	v_mul_lo_u32 v27, v15, s4
	v_sub_nc_u32_e32 v23, v23, v25
	v_mov_b32_e32 v18, v1
	v_mul_lo_u32 v29, v20, s20
	v_cndmask_b32_e64 v21, v11, v32, s0
	v_mul_lo_u32 v11, v13, s4
	v_mul_lo_u32 v13, v20, s4
	v_add_nc_u32_e32 v2, s18, v2
	v_add_nc_u32_e32 v3, s18, v3
	v_mul_lo_u32 v15, v21, s4
	v_mul_lo_u32 v30, v21, s20
	v_sub_nc_u32_e32 v24, v24, v29
	v_add_nc_u32_e32 v6, s18, v6
	v_mad_u64_u32 v[19:20], null, v19, s6, v[11:12]
	v_sub_nc_u32_e32 v11, v22, v26
	v_mad_u64_u32 v[20:21], null, v9, s6, v[13:14]
	v_mad_u64_u32 v[9:10], null, v10, s6, v[15:16]
	v_sub_nc_u32_e32 v13, v17, v30
	v_mul_lo_u32 v10, v23, s5
	v_mul_lo_u32 v15, v11, s5
	;; [unrolled: 1-line block ×3, first 2 shown]
	v_add3_u32 v22, v28, s6, v27
	v_mul_lo_u32 v21, v13, s5
	s_or_b32 s22, vcc_lo, s22
	v_add3_u32 v11, v19, v10, s7
	v_add3_u32 v13, v22, v15, s7
	;; [unrolled: 1-line block ×4, first 2 shown]
	v_lshlrev_b64 v[9:10], 1, v[11:12]
	v_lshlrev_b64 v[11:12], 1, v[13:14]
	;; [unrolled: 1-line block ×4, first 2 shown]
	v_add_co_u32 v9, s0, s8, v9
	v_add_co_ci_u32_e64 v10, null, s9, v10, s0
	v_add_co_u32 v11, s0, s8, v11
	v_add_co_ci_u32_e64 v12, null, s9, v12, s0
	;; [unrolled: 2-line block ×4, first 2 shown]
	s_waitcnt vmcnt(0)
	global_store_short v[9:10], v7, off
	global_store_short_d16_hi v[11:12], v7, off
	global_store_short v[13:14], v8, off
	global_store_short_d16_hi v[15:16], v8, off
	s_andn2_b32 exec_lo, exec_lo, s22
	s_cbranch_execnz .LBB32_3
; %bb.4:
	s_or_b32 exec_lo, exec_lo, s22
.LBB32_5:
	s_or_b32 exec_lo, exec_lo, s15
	v_cmp_gt_u32_e32 vcc_lo, s16, v0
	s_and_b32 exec_lo, exec_lo, vcc_lo
	s_cbranch_execz .LBB32_8
; %bb.6:
	s_cmp_eq_u32 s14, 2
	s_cselect_b32 s2, s17, s13
	s_cmp_eq_u32 s14, 1
	v_cvt_f32_u32_e32 v1, s2
	s_cselect_b32 s3, s17, s12
	s_sub_i32 s12, 0, s2
	v_cvt_f32_u32_e32 v2, s3
	s_sub_i32 s0, 0, s3
	v_rcp_iflag_f32_e32 v1, v1
	v_rcp_iflag_f32_e32 v2, v2
	v_mul_f32_e32 v1, 0x4f7ffffe, v1
	v_mul_f32_e32 v2, 0x4f7ffffe, v2
	v_cvt_u32_f32_e32 v3, v1
	v_cvt_u32_f32_e32 v4, v2
	v_mov_b32_e32 v2, 0
	v_mul_lo_u32 v1, s12, v3
	v_mul_lo_u32 v5, s0, v4
	v_mul_hi_u32 v6, v3, v1
	v_mov_b32_e32 v1, v2
	v_mul_hi_u32 v8, v4, v5
	v_add_nc_u32_e32 v7, v3, v6
	v_lshlrev_b64 v[5:6], 1, v[0:1]
	v_add_nc_u32_e32 v8, v4, v8
	v_mad_u64_u32 v[3:4], null, v0, v7, 0
	v_add_co_u32 v5, vcc_lo, s10, v5
	v_add_co_ci_u32_e64 v6, null, s11, v6, vcc_lo
	s_mov_b32 s10, 0
.LBB32_7:                               ; =>This Inner Loop Header: Depth=1
	global_load_ushort v11, v[5:6], off
	v_mul_lo_u32 v1, s2, v4
	v_not_b32_e32 v9, v4
	v_add_nc_u32_e32 v12, 1, v4
	v_mad_u64_u32 v[9:10], null, s2, v9, v[0:1]
	v_sub_nc_u32_e32 v1, v0, v1
	v_cmp_le_u32_e32 vcc_lo, s2, v1
	v_cndmask_b32_e32 v10, v4, v12, vcc_lo
	v_cndmask_b32_e32 v1, v1, v9, vcc_lo
	v_add_nc_u32_e32 v9, 1, v10
	v_cmp_le_u32_e32 vcc_lo, s2, v1
	v_cndmask_b32_e32 v12, v10, v9, vcc_lo
	v_add_co_u32 v3, vcc_lo, v3, v7
	v_add_co_ci_u32_e64 v4, null, 0, v4, vcc_lo
	v_mul_hi_u32 v1, v12, v8
	v_mul_lo_u32 v9, v1, s3
	v_add_nc_u32_e32 v10, 1, v1
	v_sub_nc_u32_e32 v9, v12, v9
	v_subrev_nc_u32_e32 v13, s3, v9
	v_cmp_le_u32_e64 s0, s3, v9
	v_cndmask_b32_e64 v1, v1, v10, s0
	v_cndmask_b32_e64 v9, v9, v13, s0
	v_add_nc_u32_e32 v10, 1, v1
	v_cmp_le_u32_e64 s0, s3, v9
	v_cndmask_b32_e64 v1, v1, v10, s0
	v_add_co_u32 v5, s0, v5, 2
	v_add_co_ci_u32_e64 v6, null, 0, v6, s0
	v_mad_u64_u32 v[9:10], null, s12, v12, v[0:1]
	v_mul_lo_u32 v10, v1, s3
	v_mul_lo_u32 v1, v1, s4
	v_add_nc_u32_e32 v0, 1, v0
	v_cmp_le_u32_e64 s0, s16, v0
	v_sub_nc_u32_e32 v12, v12, v10
	v_mad_u64_u32 v[9:10], null, v9, s6, v[1:2]
	s_or_b32 s10, s0, s10
	v_mul_lo_u32 v1, v12, s5
	v_add3_u32 v1, v9, v1, s7
	v_lshlrev_b64 v[9:10], 1, v[1:2]
	v_add_co_u32 v9, s1, s8, v9
	v_add_co_ci_u32_e64 v10, null, s9, v10, s1
	s_waitcnt vmcnt(0)
	global_store_short v[9:10], v11, off
	s_andn2_b32 exec_lo, exec_lo, s10
	s_cbranch_execnz .LBB32_7
.LBB32_8:
	s_endpgm
	.section	.rodata,"a",@progbits
	.p2align	6, 0x0
	.amdhsa_kernel _ZN2at6native12_GLOBAL__N_135CatArrayBatchedCopy_alignedK_contigINS1_10OpaqueTypeILj2EEEjLi3ELi128ELi1ELi8EEEvPT_NS1_25CatArrInputTensorMetadataIS5_T0_XT2_EXT3_EEENS1_16TensorSizeStrideIS8_Lj4EEEiS8_
		.amdhsa_group_segment_fixed_size 0
		.amdhsa_private_segment_fixed_size 0
		.amdhsa_kernarg_size 3024
		.amdhsa_user_sgpr_count 6
		.amdhsa_user_sgpr_private_segment_buffer 1
		.amdhsa_user_sgpr_dispatch_ptr 0
		.amdhsa_user_sgpr_queue_ptr 0
		.amdhsa_user_sgpr_kernarg_segment_ptr 1
		.amdhsa_user_sgpr_dispatch_id 0
		.amdhsa_user_sgpr_flat_scratch_init 0
		.amdhsa_user_sgpr_private_segment_size 0
		.amdhsa_wavefront_size32 1
		.amdhsa_uses_dynamic_stack 0
		.amdhsa_system_sgpr_private_segment_wavefront_offset 0
		.amdhsa_system_sgpr_workgroup_id_x 1
		.amdhsa_system_sgpr_workgroup_id_y 1
		.amdhsa_system_sgpr_workgroup_id_z 0
		.amdhsa_system_sgpr_workgroup_info 0
		.amdhsa_system_vgpr_workitem_id 0
		.amdhsa_next_free_vgpr 34
		.amdhsa_next_free_sgpr 23
		.amdhsa_reserve_vcc 1
		.amdhsa_reserve_flat_scratch 0
		.amdhsa_float_round_mode_32 0
		.amdhsa_float_round_mode_16_64 0
		.amdhsa_float_denorm_mode_32 3
		.amdhsa_float_denorm_mode_16_64 3
		.amdhsa_dx10_clamp 1
		.amdhsa_ieee_mode 1
		.amdhsa_fp16_overflow 0
		.amdhsa_workgroup_processor_mode 1
		.amdhsa_memory_ordered 1
		.amdhsa_forward_progress 1
		.amdhsa_shared_vgpr_count 0
		.amdhsa_exception_fp_ieee_invalid_op 0
		.amdhsa_exception_fp_denorm_src 0
		.amdhsa_exception_fp_ieee_div_zero 0
		.amdhsa_exception_fp_ieee_overflow 0
		.amdhsa_exception_fp_ieee_underflow 0
		.amdhsa_exception_fp_ieee_inexact 0
		.amdhsa_exception_int_div_zero 0
	.end_amdhsa_kernel
	.section	.text._ZN2at6native12_GLOBAL__N_135CatArrayBatchedCopy_alignedK_contigINS1_10OpaqueTypeILj2EEEjLi3ELi128ELi1ELi8EEEvPT_NS1_25CatArrInputTensorMetadataIS5_T0_XT2_EXT3_EEENS1_16TensorSizeStrideIS8_Lj4EEEiS8_,"axG",@progbits,_ZN2at6native12_GLOBAL__N_135CatArrayBatchedCopy_alignedK_contigINS1_10OpaqueTypeILj2EEEjLi3ELi128ELi1ELi8EEEvPT_NS1_25CatArrInputTensorMetadataIS5_T0_XT2_EXT3_EEENS1_16TensorSizeStrideIS8_Lj4EEEiS8_,comdat
.Lfunc_end32:
	.size	_ZN2at6native12_GLOBAL__N_135CatArrayBatchedCopy_alignedK_contigINS1_10OpaqueTypeILj2EEEjLi3ELi128ELi1ELi8EEEvPT_NS1_25CatArrInputTensorMetadataIS5_T0_XT2_EXT3_EEENS1_16TensorSizeStrideIS8_Lj4EEEiS8_, .Lfunc_end32-_ZN2at6native12_GLOBAL__N_135CatArrayBatchedCopy_alignedK_contigINS1_10OpaqueTypeILj2EEEjLi3ELi128ELi1ELi8EEEvPT_NS1_25CatArrInputTensorMetadataIS5_T0_XT2_EXT3_EEENS1_16TensorSizeStrideIS8_Lj4EEEiS8_
                                        ; -- End function
	.set _ZN2at6native12_GLOBAL__N_135CatArrayBatchedCopy_alignedK_contigINS1_10OpaqueTypeILj2EEEjLi3ELi128ELi1ELi8EEEvPT_NS1_25CatArrInputTensorMetadataIS5_T0_XT2_EXT3_EEENS1_16TensorSizeStrideIS8_Lj4EEEiS8_.num_vgpr, 34
	.set _ZN2at6native12_GLOBAL__N_135CatArrayBatchedCopy_alignedK_contigINS1_10OpaqueTypeILj2EEEjLi3ELi128ELi1ELi8EEEvPT_NS1_25CatArrInputTensorMetadataIS5_T0_XT2_EXT3_EEENS1_16TensorSizeStrideIS8_Lj4EEEiS8_.num_agpr, 0
	.set _ZN2at6native12_GLOBAL__N_135CatArrayBatchedCopy_alignedK_contigINS1_10OpaqueTypeILj2EEEjLi3ELi128ELi1ELi8EEEvPT_NS1_25CatArrInputTensorMetadataIS5_T0_XT2_EXT3_EEENS1_16TensorSizeStrideIS8_Lj4EEEiS8_.numbered_sgpr, 23
	.set _ZN2at6native12_GLOBAL__N_135CatArrayBatchedCopy_alignedK_contigINS1_10OpaqueTypeILj2EEEjLi3ELi128ELi1ELi8EEEvPT_NS1_25CatArrInputTensorMetadataIS5_T0_XT2_EXT3_EEENS1_16TensorSizeStrideIS8_Lj4EEEiS8_.num_named_barrier, 0
	.set _ZN2at6native12_GLOBAL__N_135CatArrayBatchedCopy_alignedK_contigINS1_10OpaqueTypeILj2EEEjLi3ELi128ELi1ELi8EEEvPT_NS1_25CatArrInputTensorMetadataIS5_T0_XT2_EXT3_EEENS1_16TensorSizeStrideIS8_Lj4EEEiS8_.private_seg_size, 0
	.set _ZN2at6native12_GLOBAL__N_135CatArrayBatchedCopy_alignedK_contigINS1_10OpaqueTypeILj2EEEjLi3ELi128ELi1ELi8EEEvPT_NS1_25CatArrInputTensorMetadataIS5_T0_XT2_EXT3_EEENS1_16TensorSizeStrideIS8_Lj4EEEiS8_.uses_vcc, 1
	.set _ZN2at6native12_GLOBAL__N_135CatArrayBatchedCopy_alignedK_contigINS1_10OpaqueTypeILj2EEEjLi3ELi128ELi1ELi8EEEvPT_NS1_25CatArrInputTensorMetadataIS5_T0_XT2_EXT3_EEENS1_16TensorSizeStrideIS8_Lj4EEEiS8_.uses_flat_scratch, 0
	.set _ZN2at6native12_GLOBAL__N_135CatArrayBatchedCopy_alignedK_contigINS1_10OpaqueTypeILj2EEEjLi3ELi128ELi1ELi8EEEvPT_NS1_25CatArrInputTensorMetadataIS5_T0_XT2_EXT3_EEENS1_16TensorSizeStrideIS8_Lj4EEEiS8_.has_dyn_sized_stack, 0
	.set _ZN2at6native12_GLOBAL__N_135CatArrayBatchedCopy_alignedK_contigINS1_10OpaqueTypeILj2EEEjLi3ELi128ELi1ELi8EEEvPT_NS1_25CatArrInputTensorMetadataIS5_T0_XT2_EXT3_EEENS1_16TensorSizeStrideIS8_Lj4EEEiS8_.has_recursion, 0
	.set _ZN2at6native12_GLOBAL__N_135CatArrayBatchedCopy_alignedK_contigINS1_10OpaqueTypeILj2EEEjLi3ELi128ELi1ELi8EEEvPT_NS1_25CatArrInputTensorMetadataIS5_T0_XT2_EXT3_EEENS1_16TensorSizeStrideIS8_Lj4EEEiS8_.has_indirect_call, 0
	.section	.AMDGPU.csdata,"",@progbits
; Kernel info:
; codeLenInByte = 1844
; TotalNumSgprs: 25
; NumVgprs: 34
; ScratchSize: 0
; MemoryBound: 0
; FloatMode: 240
; IeeeMode: 1
; LDSByteSize: 0 bytes/workgroup (compile time only)
; SGPRBlocks: 0
; VGPRBlocks: 4
; NumSGPRsForWavesPerEU: 25
; NumVGPRsForWavesPerEU: 34
; Occupancy: 16
; WaveLimiterHint : 1
; COMPUTE_PGM_RSRC2:SCRATCH_EN: 0
; COMPUTE_PGM_RSRC2:USER_SGPR: 6
; COMPUTE_PGM_RSRC2:TRAP_HANDLER: 0
; COMPUTE_PGM_RSRC2:TGID_X_EN: 1
; COMPUTE_PGM_RSRC2:TGID_Y_EN: 1
; COMPUTE_PGM_RSRC2:TGID_Z_EN: 0
; COMPUTE_PGM_RSRC2:TIDIG_COMP_CNT: 0
	.section	.text._ZN2at6native12_GLOBAL__N_126CatArrayBatchedCopy_contigINS1_10OpaqueTypeILj2EEEjLi3ELi128ELi1EEEvPT_NS1_25CatArrInputTensorMetadataIS5_T0_XT2_EXT3_EEENS1_16TensorSizeStrideIS8_Lj4EEEiS8_,"axG",@progbits,_ZN2at6native12_GLOBAL__N_126CatArrayBatchedCopy_contigINS1_10OpaqueTypeILj2EEEjLi3ELi128ELi1EEEvPT_NS1_25CatArrInputTensorMetadataIS5_T0_XT2_EXT3_EEENS1_16TensorSizeStrideIS8_Lj4EEEiS8_,comdat
	.globl	_ZN2at6native12_GLOBAL__N_126CatArrayBatchedCopy_contigINS1_10OpaqueTypeILj2EEEjLi3ELi128ELi1EEEvPT_NS1_25CatArrInputTensorMetadataIS5_T0_XT2_EXT3_EEENS1_16TensorSizeStrideIS8_Lj4EEEiS8_ ; -- Begin function _ZN2at6native12_GLOBAL__N_126CatArrayBatchedCopy_contigINS1_10OpaqueTypeILj2EEEjLi3ELi128ELi1EEEvPT_NS1_25CatArrInputTensorMetadataIS5_T0_XT2_EXT3_EEENS1_16TensorSizeStrideIS8_Lj4EEEiS8_
	.p2align	8
	.type	_ZN2at6native12_GLOBAL__N_126CatArrayBatchedCopy_contigINS1_10OpaqueTypeILj2EEEjLi3ELi128ELi1EEEvPT_NS1_25CatArrInputTensorMetadataIS5_T0_XT2_EXT3_EEENS1_16TensorSizeStrideIS8_Lj4EEEiS8_,@function
_ZN2at6native12_GLOBAL__N_126CatArrayBatchedCopy_contigINS1_10OpaqueTypeILj2EEEjLi3ELi128ELi1EEEvPT_NS1_25CatArrInputTensorMetadataIS5_T0_XT2_EXT3_EEENS1_16TensorSizeStrideIS8_Lj4EEEiS8_: ; @_ZN2at6native12_GLOBAL__N_126CatArrayBatchedCopy_contigINS1_10OpaqueTypeILj2EEEjLi3ELi128ELi1EEEvPT_NS1_25CatArrInputTensorMetadataIS5_T0_XT2_EXT3_EEENS1_16TensorSizeStrideIS8_Lj4EEEiS8_
; %bb.0:
	s_mov_b32 s0, s7
	s_load_dword s7, s[4:5], 0xadc
	s_mov_b32 s1, 0
	s_add_u32 s12, s4, 0xad0
	s_addc_u32 s13, s5, 0
	s_lshl_b64 s[2:3], s[0:1], 2
	s_waitcnt lgkmcnt(0)
	s_and_b32 s0, s7, 0xffff
	s_add_u32 s8, s4, s2
	s_addc_u32 s9, s5, s3
	v_mad_u64_u32 v[0:1], null, s6, s0, v[0:1]
	s_load_dword s7, s[8:9], 0x808
	s_add_u32 s6, s8, 8
	s_addc_u32 s8, s9, 0
	s_mov_b32 s9, exec_lo
	s_waitcnt lgkmcnt(0)
	v_cmpx_gt_u32_e64 s7, v0
	s_cbranch_execz .LBB33_3
; %bb.1:
	s_add_u32 s18, s6, s2
	s_addc_u32 s19, s8, s3
	s_sub_u32 s2, 0, s2
	s_load_dwordx2 s[16:17], s[4:5], 0xac8
	s_subb_u32 s3, 0, s3
	s_add_u32 s20, s18, s2
	s_addc_u32 s21, s19, s3
	s_clause 0x2
	s_load_dwordx2 s[2:3], s[4:5], 0xaac
	s_load_dword s6, s[20:21], 0x600
	s_load_dwordx4 s[8:11], s[4:5], 0xab8
	s_load_dword s12, s[12:13], 0x0
	s_waitcnt lgkmcnt(0)
	s_cmp_eq_u32 s16, 2
	s_cselect_b32 s11, s6, s3
	s_cmp_eq_u32 s16, 1
	v_cvt_f32_u32_e32 v1, s11
	s_cselect_b32 s14, s6, s2
	s_load_dwordx2 s[2:3], s[4:5], 0x0
	v_cvt_f32_u32_e32 v2, s14
	s_sub_i32 s15, 0, s11
	v_rcp_iflag_f32_e32 v1, v1
	s_sub_i32 s4, 0, s14
	s_load_dword s6, s[20:21], 0x400
	v_rcp_iflag_f32_e32 v2, v2
	s_mul_i32 s12, s12, s0
	v_mul_f32_e32 v1, 0x4f7ffffe, v1
	v_mul_f32_e32 v2, 0x4f7ffffe, v2
	v_cvt_u32_f32_e32 v1, v1
	v_cvt_u32_f32_e32 v3, v2
	v_mul_lo_u32 v2, s15, v1
	v_mul_lo_u32 v4, s4, v3
	s_load_dwordx2 s[4:5], s[18:19], 0x0
	s_waitcnt lgkmcnt(0)
	s_mul_i32 s6, s6, s17
	v_mul_hi_u32 v2, v1, v2
	v_mul_hi_u32 v4, v3, v4
	v_add_nc_u32_e32 v2, v1, v2
	v_mov_b32_e32 v1, 0
	v_add_nc_u32_e32 v3, v3, v4
.LBB33_2:                               ; =>This Inner Loop Header: Depth=1
	v_lshlrev_b64 v[4:5], 1, v[0:1]
	v_mul_hi_u32 v7, v2, v0
	v_add_co_u32 v4, vcc_lo, s4, v4
	v_add_co_ci_u32_e64 v5, null, s5, v5, vcc_lo
	v_mul_lo_u32 v8, s11, v7
	v_add_nc_u32_e32 v9, 1, v7
	global_load_ushort v6, v[4:5], off
	v_not_b32_e32 v4, v7
	v_mad_u64_u32 v[4:5], null, s11, v4, v[0:1]
	v_sub_nc_u32_e32 v5, v0, v8
	v_cmp_le_u32_e32 vcc_lo, s11, v5
	v_cndmask_b32_e32 v7, v7, v9, vcc_lo
	v_cndmask_b32_e32 v4, v5, v4, vcc_lo
	v_add_nc_u32_e32 v5, 1, v7
	v_cmp_le_u32_e32 vcc_lo, s11, v4
	v_cndmask_b32_e32 v7, v7, v5, vcc_lo
	v_mul_hi_u32 v4, v7, v3
	v_mul_lo_u32 v5, v4, s14
	v_add_nc_u32_e32 v8, 1, v4
	v_sub_nc_u32_e32 v5, v7, v5
	v_subrev_nc_u32_e32 v9, s14, v5
	v_cmp_le_u32_e32 vcc_lo, s14, v5
	v_cndmask_b32_e32 v4, v4, v8, vcc_lo
	v_cndmask_b32_e32 v5, v5, v9, vcc_lo
	v_add_nc_u32_e32 v8, 1, v4
	v_cmp_le_u32_e32 vcc_lo, s14, v5
	v_cndmask_b32_e32 v8, v4, v8, vcc_lo
	v_mad_u64_u32 v[4:5], null, s15, v7, v[0:1]
	v_add_nc_u32_e32 v0, s12, v0
	v_mul_lo_u32 v9, v8, s14
	v_cmp_le_u32_e32 vcc_lo, s7, v0
	v_mul_lo_u32 v10, v4, s10
	v_mad_u64_u32 v[4:5], null, v8, s8, s[6:7]
	v_mov_b32_e32 v5, v1
	v_sub_nc_u32_e32 v7, v7, v9
	s_or_b32 s1, vcc_lo, s1
	v_mul_lo_u32 v7, v7, s9
	v_add3_u32 v4, v4, v10, v7
	v_lshlrev_b64 v[4:5], 1, v[4:5]
	v_add_co_u32 v4, s0, s2, v4
	v_add_co_ci_u32_e64 v5, null, s3, v5, s0
	s_waitcnt vmcnt(0)
	global_store_short v[4:5], v6, off
	s_andn2_b32 exec_lo, exec_lo, s1
	s_cbranch_execnz .LBB33_2
.LBB33_3:
	s_endpgm
	.section	.rodata,"a",@progbits
	.p2align	6, 0x0
	.amdhsa_kernel _ZN2at6native12_GLOBAL__N_126CatArrayBatchedCopy_contigINS1_10OpaqueTypeILj2EEEjLi3ELi128ELi1EEEvPT_NS1_25CatArrInputTensorMetadataIS5_T0_XT2_EXT3_EEENS1_16TensorSizeStrideIS8_Lj4EEEiS8_
		.amdhsa_group_segment_fixed_size 0
		.amdhsa_private_segment_fixed_size 0
		.amdhsa_kernarg_size 3024
		.amdhsa_user_sgpr_count 6
		.amdhsa_user_sgpr_private_segment_buffer 1
		.amdhsa_user_sgpr_dispatch_ptr 0
		.amdhsa_user_sgpr_queue_ptr 0
		.amdhsa_user_sgpr_kernarg_segment_ptr 1
		.amdhsa_user_sgpr_dispatch_id 0
		.amdhsa_user_sgpr_flat_scratch_init 0
		.amdhsa_user_sgpr_private_segment_size 0
		.amdhsa_wavefront_size32 1
		.amdhsa_uses_dynamic_stack 0
		.amdhsa_system_sgpr_private_segment_wavefront_offset 0
		.amdhsa_system_sgpr_workgroup_id_x 1
		.amdhsa_system_sgpr_workgroup_id_y 1
		.amdhsa_system_sgpr_workgroup_id_z 0
		.amdhsa_system_sgpr_workgroup_info 0
		.amdhsa_system_vgpr_workitem_id 0
		.amdhsa_next_free_vgpr 11
		.amdhsa_next_free_sgpr 22
		.amdhsa_reserve_vcc 1
		.amdhsa_reserve_flat_scratch 0
		.amdhsa_float_round_mode_32 0
		.amdhsa_float_round_mode_16_64 0
		.amdhsa_float_denorm_mode_32 3
		.amdhsa_float_denorm_mode_16_64 3
		.amdhsa_dx10_clamp 1
		.amdhsa_ieee_mode 1
		.amdhsa_fp16_overflow 0
		.amdhsa_workgroup_processor_mode 1
		.amdhsa_memory_ordered 1
		.amdhsa_forward_progress 1
		.amdhsa_shared_vgpr_count 0
		.amdhsa_exception_fp_ieee_invalid_op 0
		.amdhsa_exception_fp_denorm_src 0
		.amdhsa_exception_fp_ieee_div_zero 0
		.amdhsa_exception_fp_ieee_overflow 0
		.amdhsa_exception_fp_ieee_underflow 0
		.amdhsa_exception_fp_ieee_inexact 0
		.amdhsa_exception_int_div_zero 0
	.end_amdhsa_kernel
	.section	.text._ZN2at6native12_GLOBAL__N_126CatArrayBatchedCopy_contigINS1_10OpaqueTypeILj2EEEjLi3ELi128ELi1EEEvPT_NS1_25CatArrInputTensorMetadataIS5_T0_XT2_EXT3_EEENS1_16TensorSizeStrideIS8_Lj4EEEiS8_,"axG",@progbits,_ZN2at6native12_GLOBAL__N_126CatArrayBatchedCopy_contigINS1_10OpaqueTypeILj2EEEjLi3ELi128ELi1EEEvPT_NS1_25CatArrInputTensorMetadataIS5_T0_XT2_EXT3_EEENS1_16TensorSizeStrideIS8_Lj4EEEiS8_,comdat
.Lfunc_end33:
	.size	_ZN2at6native12_GLOBAL__N_126CatArrayBatchedCopy_contigINS1_10OpaqueTypeILj2EEEjLi3ELi128ELi1EEEvPT_NS1_25CatArrInputTensorMetadataIS5_T0_XT2_EXT3_EEENS1_16TensorSizeStrideIS8_Lj4EEEiS8_, .Lfunc_end33-_ZN2at6native12_GLOBAL__N_126CatArrayBatchedCopy_contigINS1_10OpaqueTypeILj2EEEjLi3ELi128ELi1EEEvPT_NS1_25CatArrInputTensorMetadataIS5_T0_XT2_EXT3_EEENS1_16TensorSizeStrideIS8_Lj4EEEiS8_
                                        ; -- End function
	.set _ZN2at6native12_GLOBAL__N_126CatArrayBatchedCopy_contigINS1_10OpaqueTypeILj2EEEjLi3ELi128ELi1EEEvPT_NS1_25CatArrInputTensorMetadataIS5_T0_XT2_EXT3_EEENS1_16TensorSizeStrideIS8_Lj4EEEiS8_.num_vgpr, 11
	.set _ZN2at6native12_GLOBAL__N_126CatArrayBatchedCopy_contigINS1_10OpaqueTypeILj2EEEjLi3ELi128ELi1EEEvPT_NS1_25CatArrInputTensorMetadataIS5_T0_XT2_EXT3_EEENS1_16TensorSizeStrideIS8_Lj4EEEiS8_.num_agpr, 0
	.set _ZN2at6native12_GLOBAL__N_126CatArrayBatchedCopy_contigINS1_10OpaqueTypeILj2EEEjLi3ELi128ELi1EEEvPT_NS1_25CatArrInputTensorMetadataIS5_T0_XT2_EXT3_EEENS1_16TensorSizeStrideIS8_Lj4EEEiS8_.numbered_sgpr, 22
	.set _ZN2at6native12_GLOBAL__N_126CatArrayBatchedCopy_contigINS1_10OpaqueTypeILj2EEEjLi3ELi128ELi1EEEvPT_NS1_25CatArrInputTensorMetadataIS5_T0_XT2_EXT3_EEENS1_16TensorSizeStrideIS8_Lj4EEEiS8_.num_named_barrier, 0
	.set _ZN2at6native12_GLOBAL__N_126CatArrayBatchedCopy_contigINS1_10OpaqueTypeILj2EEEjLi3ELi128ELi1EEEvPT_NS1_25CatArrInputTensorMetadataIS5_T0_XT2_EXT3_EEENS1_16TensorSizeStrideIS8_Lj4EEEiS8_.private_seg_size, 0
	.set _ZN2at6native12_GLOBAL__N_126CatArrayBatchedCopy_contigINS1_10OpaqueTypeILj2EEEjLi3ELi128ELi1EEEvPT_NS1_25CatArrInputTensorMetadataIS5_T0_XT2_EXT3_EEENS1_16TensorSizeStrideIS8_Lj4EEEiS8_.uses_vcc, 1
	.set _ZN2at6native12_GLOBAL__N_126CatArrayBatchedCopy_contigINS1_10OpaqueTypeILj2EEEjLi3ELi128ELi1EEEvPT_NS1_25CatArrInputTensorMetadataIS5_T0_XT2_EXT3_EEENS1_16TensorSizeStrideIS8_Lj4EEEiS8_.uses_flat_scratch, 0
	.set _ZN2at6native12_GLOBAL__N_126CatArrayBatchedCopy_contigINS1_10OpaqueTypeILj2EEEjLi3ELi128ELi1EEEvPT_NS1_25CatArrInputTensorMetadataIS5_T0_XT2_EXT3_EEENS1_16TensorSizeStrideIS8_Lj4EEEiS8_.has_dyn_sized_stack, 0
	.set _ZN2at6native12_GLOBAL__N_126CatArrayBatchedCopy_contigINS1_10OpaqueTypeILj2EEEjLi3ELi128ELi1EEEvPT_NS1_25CatArrInputTensorMetadataIS5_T0_XT2_EXT3_EEENS1_16TensorSizeStrideIS8_Lj4EEEiS8_.has_recursion, 0
	.set _ZN2at6native12_GLOBAL__N_126CatArrayBatchedCopy_contigINS1_10OpaqueTypeILj2EEEjLi3ELi128ELi1EEEvPT_NS1_25CatArrInputTensorMetadataIS5_T0_XT2_EXT3_EEENS1_16TensorSizeStrideIS8_Lj4EEEiS8_.has_indirect_call, 0
	.section	.AMDGPU.csdata,"",@progbits
; Kernel info:
; codeLenInByte = 572
; TotalNumSgprs: 24
; NumVgprs: 11
; ScratchSize: 0
; MemoryBound: 0
; FloatMode: 240
; IeeeMode: 1
; LDSByteSize: 0 bytes/workgroup (compile time only)
; SGPRBlocks: 0
; VGPRBlocks: 1
; NumSGPRsForWavesPerEU: 24
; NumVGPRsForWavesPerEU: 11
; Occupancy: 16
; WaveLimiterHint : 1
; COMPUTE_PGM_RSRC2:SCRATCH_EN: 0
; COMPUTE_PGM_RSRC2:USER_SGPR: 6
; COMPUTE_PGM_RSRC2:TRAP_HANDLER: 0
; COMPUTE_PGM_RSRC2:TGID_X_EN: 1
; COMPUTE_PGM_RSRC2:TGID_Y_EN: 1
; COMPUTE_PGM_RSRC2:TGID_Z_EN: 0
; COMPUTE_PGM_RSRC2:TIDIG_COMP_CNT: 0
	.section	.text._ZN2at6native12_GLOBAL__N_119CatArrayBatchedCopyINS1_10OpaqueTypeILj2EEEjLi3ELi128ELi1EEEvPT_NS1_25CatArrInputTensorMetadataIS5_T0_XT2_EXT3_EEENS1_16TensorSizeStrideIS8_Lj4EEEiS8_,"axG",@progbits,_ZN2at6native12_GLOBAL__N_119CatArrayBatchedCopyINS1_10OpaqueTypeILj2EEEjLi3ELi128ELi1EEEvPT_NS1_25CatArrInputTensorMetadataIS5_T0_XT2_EXT3_EEENS1_16TensorSizeStrideIS8_Lj4EEEiS8_,comdat
	.globl	_ZN2at6native12_GLOBAL__N_119CatArrayBatchedCopyINS1_10OpaqueTypeILj2EEEjLi3ELi128ELi1EEEvPT_NS1_25CatArrInputTensorMetadataIS5_T0_XT2_EXT3_EEENS1_16TensorSizeStrideIS8_Lj4EEEiS8_ ; -- Begin function _ZN2at6native12_GLOBAL__N_119CatArrayBatchedCopyINS1_10OpaqueTypeILj2EEEjLi3ELi128ELi1EEEvPT_NS1_25CatArrInputTensorMetadataIS5_T0_XT2_EXT3_EEENS1_16TensorSizeStrideIS8_Lj4EEEiS8_
	.p2align	8
	.type	_ZN2at6native12_GLOBAL__N_119CatArrayBatchedCopyINS1_10OpaqueTypeILj2EEEjLi3ELi128ELi1EEEvPT_NS1_25CatArrInputTensorMetadataIS5_T0_XT2_EXT3_EEENS1_16TensorSizeStrideIS8_Lj4EEEiS8_,@function
_ZN2at6native12_GLOBAL__N_119CatArrayBatchedCopyINS1_10OpaqueTypeILj2EEEjLi3ELi128ELi1EEEvPT_NS1_25CatArrInputTensorMetadataIS5_T0_XT2_EXT3_EEENS1_16TensorSizeStrideIS8_Lj4EEEiS8_: ; @_ZN2at6native12_GLOBAL__N_119CatArrayBatchedCopyINS1_10OpaqueTypeILj2EEEjLi3ELi128ELi1EEEvPT_NS1_25CatArrInputTensorMetadataIS5_T0_XT2_EXT3_EEENS1_16TensorSizeStrideIS8_Lj4EEEiS8_
; %bb.0:
	s_mov_b32 s0, s7
	s_load_dword s7, s[4:5], 0xadc
	s_or_b32 s12, s4, 8
	s_mov_b32 s1, 0
	s_add_u32 s2, s4, 0xad0
	s_addc_u32 s3, s5, 0
	s_lshl_b64 s[8:9], s[0:1], 2
	s_waitcnt lgkmcnt(0)
	s_and_b32 s21, s7, 0xffff
	s_add_u32 s10, s12, s8
	s_addc_u32 s11, s5, s9
	v_mad_u64_u32 v[0:1], null, s6, s21, v[0:1]
	s_load_dword s7, s[10:11], 0x800
	s_mov_b32 s6, exec_lo
	s_waitcnt lgkmcnt(0)
	v_cmpx_gt_u32_e64 s7, v0
	s_cbranch_execz .LBB34_5
; %bb.1:
	v_mov_b32_e32 v1, 0x800
	s_add_u32 s14, s12, s0
	s_addc_u32 s15, s5, 0
	s_mov_b32 s13, s5
	global_load_ubyte v1, v1, s[14:15] offset:512
	s_waitcnt vmcnt(0)
	v_and_b32_e32 v1, 1, v1
	v_cmp_eq_u32_e32 vcc_lo, 1, v1
	s_xor_b32 s6, vcc_lo, -1
	s_add_u32 s22, s10, s8
	s_addc_u32 s23, s11, s9
	s_sub_u32 s0, 0, s8
	s_subb_u32 s8, 0, s9
	s_add_u32 s24, s22, s0
	s_addc_u32 s25, s23, s8
	s_clause 0x4
	s_load_dwordx2 s[26:27], s[4:5], 0xac8
	s_load_dword s0, s[24:25], 0x600
	s_load_dwordx2 s[14:15], s[4:5], 0xaac
	s_load_dwordx2 s[18:19], s[4:5], 0xa8c
	s_load_dwordx4 s[8:11], s[4:5], 0xab8
	s_waitcnt lgkmcnt(0)
	s_cmp_eq_u32 s26, 2
	s_cselect_b32 s11, s0, s15
	s_cselect_b32 s16, s0, s19
	s_cmp_eq_u32 s26, 1
	v_cvt_f32_u32_e32 v1, s11
	s_cselect_b32 s17, s0, s14
	s_cselect_b32 s18, s0, s18
	v_cvt_f32_u32_e32 v2, s16
	v_cvt_f32_u32_e32 v3, s17
	;; [unrolled: 1-line block ×3, first 2 shown]
	v_rcp_iflag_f32_e32 v1, v1
	s_clause 0x1
	s_load_dwordx4 s[12:15], s[12:13], 0xa90
	s_load_dword s20, s[24:25], 0x400
	s_load_dword s0, s[2:3], 0x0
	v_rcp_iflag_f32_e32 v2, v2
	v_rcp_iflag_f32_e32 v3, v3
	;; [unrolled: 1-line block ×3, first 2 shown]
	s_waitcnt lgkmcnt(0)
	s_sub_i32 s15, 0, s11
	s_sub_i32 s19, 0, s16
	;; [unrolled: 1-line block ×4, first 2 shown]
	v_mul_f32_e32 v1, 0x4f7ffffe, v1
	v_mul_f32_e32 v2, 0x4f7ffffe, v2
	;; [unrolled: 1-line block ×4, first 2 shown]
	v_cvt_u32_f32_e32 v5, v1
	v_cvt_u32_f32_e32 v2, v2
	;; [unrolled: 1-line block ×4, first 2 shown]
	v_mul_lo_u32 v1, s15, v5
	s_mul_i32 s20, s20, s27
	v_mul_lo_u32 v4, s19, v2
	v_mul_lo_u32 v6, s2, v3
	v_mul_lo_u32 v8, s3, v7
	s_clause 0x1
	s_load_dwordx2 s[2:3], s[4:5], 0x0
	s_load_dwordx2 s[4:5], s[22:23], 0x0
	s_mul_i32 s21, s0, s21
	v_mul_hi_u32 v9, v5, v1
	v_mov_b32_e32 v1, 0
	v_mul_hi_u32 v10, v2, v4
	v_mul_hi_u32 v6, v3, v6
	;; [unrolled: 1-line block ×3, first 2 shown]
	v_add_nc_u32_e32 v4, v5, v9
	v_add_nc_u32_e32 v5, v2, v10
	;; [unrolled: 1-line block ×4, first 2 shown]
	s_branch .LBB34_3
.LBB34_2:                               ;   in Loop: Header=BB34_3 Depth=1
	v_lshlrev_b64 v[2:3], 1, v[2:3]
	v_mul_hi_u32 v11, v4, v0
	s_waitcnt lgkmcnt(0)
	v_add_co_u32 v2, vcc_lo, s4, v2
	v_add_co_ci_u32_e64 v3, null, s5, v3, vcc_lo
	v_not_b32_e32 v8, v11
	global_load_ushort v10, v[2:3], off
	v_mad_u64_u32 v[2:3], null, s15, v11, v[0:1]
	v_mad_u64_u32 v[8:9], null, s11, v8, v[0:1]
	v_add_nc_u32_e32 v3, 1, v11
	v_cmp_le_u32_e32 vcc_lo, s11, v2
	v_cndmask_b32_e32 v3, v11, v3, vcc_lo
	v_cndmask_b32_e32 v2, v2, v8, vcc_lo
	v_add_nc_u32_e32 v8, 1, v3
	v_cmp_le_u32_e32 vcc_lo, s11, v2
	v_cndmask_b32_e32 v8, v3, v8, vcc_lo
	v_mul_hi_u32 v2, v8, v6
	v_mul_lo_u32 v3, v2, s17
	v_add_nc_u32_e32 v9, 1, v2
	v_sub_nc_u32_e32 v3, v8, v3
	v_subrev_nc_u32_e32 v11, s17, v3
	v_cmp_le_u32_e32 vcc_lo, s17, v3
	v_cndmask_b32_e32 v2, v2, v9, vcc_lo
	v_cndmask_b32_e32 v3, v3, v11, vcc_lo
	v_add_nc_u32_e32 v9, 1, v2
	v_cmp_le_u32_e32 vcc_lo, s17, v3
	v_cndmask_b32_e32 v9, v2, v9, vcc_lo
	v_mad_u64_u32 v[2:3], null, s15, v8, v[0:1]
	v_add_nc_u32_e32 v0, s21, v0
	v_mul_lo_u32 v11, v9, s17
	v_mul_lo_u32 v3, v9, s8
	v_cmp_le_u32_e32 vcc_lo, s7, v0
	v_sub_nc_u32_e32 v8, v8, v11
	v_mad_u64_u32 v[2:3], null, v2, s10, v[3:4]
	v_mov_b32_e32 v3, v1
	s_or_b32 s1, vcc_lo, s1
	v_mul_lo_u32 v8, v8, s9
	v_add3_u32 v2, v2, v8, s20
	v_lshlrev_b64 v[2:3], 1, v[2:3]
	v_add_co_u32 v2, s0, s2, v2
	v_add_co_ci_u32_e64 v3, null, s3, v3, s0
	s_waitcnt vmcnt(0)
	global_store_short v[2:3], v10, off
	s_andn2_b32 exec_lo, exec_lo, s1
	s_cbranch_execz .LBB34_5
.LBB34_3:                               ; =>This Inner Loop Header: Depth=1
	v_mov_b32_e32 v3, v1
	v_mov_b32_e32 v2, v0
	s_andn2_b32 vcc_lo, exec_lo, s6
	s_cbranch_vccnz .LBB34_2
; %bb.4:                                ;   in Loop: Header=BB34_3 Depth=1
	v_mul_hi_u32 v10, v5, v0
	v_not_b32_e32 v8, v10
	v_mad_u64_u32 v[2:3], null, s19, v10, v[0:1]
	v_add_nc_u32_e32 v3, 1, v10
	v_mad_u64_u32 v[8:9], null, s16, v8, v[0:1]
	v_cmp_le_u32_e32 vcc_lo, s16, v2
	v_cndmask_b32_e32 v3, v10, v3, vcc_lo
	v_cndmask_b32_e32 v2, v2, v8, vcc_lo
	v_add_nc_u32_e32 v8, 1, v3
	v_cmp_le_u32_e32 vcc_lo, s16, v2
	v_cndmask_b32_e32 v8, v3, v8, vcc_lo
	v_mul_hi_u32 v2, v8, v7
	v_mul_lo_u32 v3, v2, s18
	v_add_nc_u32_e32 v9, 1, v2
	v_sub_nc_u32_e32 v3, v8, v3
	v_subrev_nc_u32_e32 v10, s18, v3
	v_cmp_le_u32_e32 vcc_lo, s18, v3
	v_cndmask_b32_e32 v2, v2, v9, vcc_lo
	v_cndmask_b32_e32 v3, v3, v10, vcc_lo
	v_add_nc_u32_e32 v9, 1, v2
	v_cmp_le_u32_e32 vcc_lo, s18, v3
	v_cndmask_b32_e32 v9, v2, v9, vcc_lo
	v_mad_u64_u32 v[2:3], null, s19, v8, v[0:1]
	v_mul_lo_u32 v10, v9, s18
	v_mul_lo_u32 v2, v2, s14
	v_sub_nc_u32_e32 v3, v8, v10
	v_mul_lo_u32 v8, v9, s12
	v_mul_lo_u32 v3, v3, s13
	v_add3_u32 v2, v2, v8, v3
	v_mov_b32_e32 v3, v1
	s_branch .LBB34_2
.LBB34_5:
	s_endpgm
	.section	.rodata,"a",@progbits
	.p2align	6, 0x0
	.amdhsa_kernel _ZN2at6native12_GLOBAL__N_119CatArrayBatchedCopyINS1_10OpaqueTypeILj2EEEjLi3ELi128ELi1EEEvPT_NS1_25CatArrInputTensorMetadataIS5_T0_XT2_EXT3_EEENS1_16TensorSizeStrideIS8_Lj4EEEiS8_
		.amdhsa_group_segment_fixed_size 0
		.amdhsa_private_segment_fixed_size 0
		.amdhsa_kernarg_size 3024
		.amdhsa_user_sgpr_count 6
		.amdhsa_user_sgpr_private_segment_buffer 1
		.amdhsa_user_sgpr_dispatch_ptr 0
		.amdhsa_user_sgpr_queue_ptr 0
		.amdhsa_user_sgpr_kernarg_segment_ptr 1
		.amdhsa_user_sgpr_dispatch_id 0
		.amdhsa_user_sgpr_flat_scratch_init 0
		.amdhsa_user_sgpr_private_segment_size 0
		.amdhsa_wavefront_size32 1
		.amdhsa_uses_dynamic_stack 0
		.amdhsa_system_sgpr_private_segment_wavefront_offset 0
		.amdhsa_system_sgpr_workgroup_id_x 1
		.amdhsa_system_sgpr_workgroup_id_y 1
		.amdhsa_system_sgpr_workgroup_id_z 0
		.amdhsa_system_sgpr_workgroup_info 0
		.amdhsa_system_vgpr_workitem_id 0
		.amdhsa_next_free_vgpr 12
		.amdhsa_next_free_sgpr 28
		.amdhsa_reserve_vcc 1
		.amdhsa_reserve_flat_scratch 0
		.amdhsa_float_round_mode_32 0
		.amdhsa_float_round_mode_16_64 0
		.amdhsa_float_denorm_mode_32 3
		.amdhsa_float_denorm_mode_16_64 3
		.amdhsa_dx10_clamp 1
		.amdhsa_ieee_mode 1
		.amdhsa_fp16_overflow 0
		.amdhsa_workgroup_processor_mode 1
		.amdhsa_memory_ordered 1
		.amdhsa_forward_progress 1
		.amdhsa_shared_vgpr_count 0
		.amdhsa_exception_fp_ieee_invalid_op 0
		.amdhsa_exception_fp_denorm_src 0
		.amdhsa_exception_fp_ieee_div_zero 0
		.amdhsa_exception_fp_ieee_overflow 0
		.amdhsa_exception_fp_ieee_underflow 0
		.amdhsa_exception_fp_ieee_inexact 0
		.amdhsa_exception_int_div_zero 0
	.end_amdhsa_kernel
	.section	.text._ZN2at6native12_GLOBAL__N_119CatArrayBatchedCopyINS1_10OpaqueTypeILj2EEEjLi3ELi128ELi1EEEvPT_NS1_25CatArrInputTensorMetadataIS5_T0_XT2_EXT3_EEENS1_16TensorSizeStrideIS8_Lj4EEEiS8_,"axG",@progbits,_ZN2at6native12_GLOBAL__N_119CatArrayBatchedCopyINS1_10OpaqueTypeILj2EEEjLi3ELi128ELi1EEEvPT_NS1_25CatArrInputTensorMetadataIS5_T0_XT2_EXT3_EEENS1_16TensorSizeStrideIS8_Lj4EEEiS8_,comdat
.Lfunc_end34:
	.size	_ZN2at6native12_GLOBAL__N_119CatArrayBatchedCopyINS1_10OpaqueTypeILj2EEEjLi3ELi128ELi1EEEvPT_NS1_25CatArrInputTensorMetadataIS5_T0_XT2_EXT3_EEENS1_16TensorSizeStrideIS8_Lj4EEEiS8_, .Lfunc_end34-_ZN2at6native12_GLOBAL__N_119CatArrayBatchedCopyINS1_10OpaqueTypeILj2EEEjLi3ELi128ELi1EEEvPT_NS1_25CatArrInputTensorMetadataIS5_T0_XT2_EXT3_EEENS1_16TensorSizeStrideIS8_Lj4EEEiS8_
                                        ; -- End function
	.set _ZN2at6native12_GLOBAL__N_119CatArrayBatchedCopyINS1_10OpaqueTypeILj2EEEjLi3ELi128ELi1EEEvPT_NS1_25CatArrInputTensorMetadataIS5_T0_XT2_EXT3_EEENS1_16TensorSizeStrideIS8_Lj4EEEiS8_.num_vgpr, 12
	.set _ZN2at6native12_GLOBAL__N_119CatArrayBatchedCopyINS1_10OpaqueTypeILj2EEEjLi3ELi128ELi1EEEvPT_NS1_25CatArrInputTensorMetadataIS5_T0_XT2_EXT3_EEENS1_16TensorSizeStrideIS8_Lj4EEEiS8_.num_agpr, 0
	.set _ZN2at6native12_GLOBAL__N_119CatArrayBatchedCopyINS1_10OpaqueTypeILj2EEEjLi3ELi128ELi1EEEvPT_NS1_25CatArrInputTensorMetadataIS5_T0_XT2_EXT3_EEENS1_16TensorSizeStrideIS8_Lj4EEEiS8_.numbered_sgpr, 28
	.set _ZN2at6native12_GLOBAL__N_119CatArrayBatchedCopyINS1_10OpaqueTypeILj2EEEjLi3ELi128ELi1EEEvPT_NS1_25CatArrInputTensorMetadataIS5_T0_XT2_EXT3_EEENS1_16TensorSizeStrideIS8_Lj4EEEiS8_.num_named_barrier, 0
	.set _ZN2at6native12_GLOBAL__N_119CatArrayBatchedCopyINS1_10OpaqueTypeILj2EEEjLi3ELi128ELi1EEEvPT_NS1_25CatArrInputTensorMetadataIS5_T0_XT2_EXT3_EEENS1_16TensorSizeStrideIS8_Lj4EEEiS8_.private_seg_size, 0
	.set _ZN2at6native12_GLOBAL__N_119CatArrayBatchedCopyINS1_10OpaqueTypeILj2EEEjLi3ELi128ELi1EEEvPT_NS1_25CatArrInputTensorMetadataIS5_T0_XT2_EXT3_EEENS1_16TensorSizeStrideIS8_Lj4EEEiS8_.uses_vcc, 1
	.set _ZN2at6native12_GLOBAL__N_119CatArrayBatchedCopyINS1_10OpaqueTypeILj2EEEjLi3ELi128ELi1EEEvPT_NS1_25CatArrInputTensorMetadataIS5_T0_XT2_EXT3_EEENS1_16TensorSizeStrideIS8_Lj4EEEiS8_.uses_flat_scratch, 0
	.set _ZN2at6native12_GLOBAL__N_119CatArrayBatchedCopyINS1_10OpaqueTypeILj2EEEjLi3ELi128ELi1EEEvPT_NS1_25CatArrInputTensorMetadataIS5_T0_XT2_EXT3_EEENS1_16TensorSizeStrideIS8_Lj4EEEiS8_.has_dyn_sized_stack, 0
	.set _ZN2at6native12_GLOBAL__N_119CatArrayBatchedCopyINS1_10OpaqueTypeILj2EEEjLi3ELi128ELi1EEEvPT_NS1_25CatArrInputTensorMetadataIS5_T0_XT2_EXT3_EEENS1_16TensorSizeStrideIS8_Lj4EEEiS8_.has_recursion, 0
	.set _ZN2at6native12_GLOBAL__N_119CatArrayBatchedCopyINS1_10OpaqueTypeILj2EEEjLi3ELi128ELi1EEEvPT_NS1_25CatArrInputTensorMetadataIS5_T0_XT2_EXT3_EEENS1_16TensorSizeStrideIS8_Lj4EEEiS8_.has_indirect_call, 0
	.section	.AMDGPU.csdata,"",@progbits
; Kernel info:
; codeLenInByte = 920
; TotalNumSgprs: 30
; NumVgprs: 12
; ScratchSize: 0
; MemoryBound: 0
; FloatMode: 240
; IeeeMode: 1
; LDSByteSize: 0 bytes/workgroup (compile time only)
; SGPRBlocks: 0
; VGPRBlocks: 1
; NumSGPRsForWavesPerEU: 30
; NumVGPRsForWavesPerEU: 12
; Occupancy: 16
; WaveLimiterHint : 1
; COMPUTE_PGM_RSRC2:SCRATCH_EN: 0
; COMPUTE_PGM_RSRC2:USER_SGPR: 6
; COMPUTE_PGM_RSRC2:TRAP_HANDLER: 0
; COMPUTE_PGM_RSRC2:TGID_X_EN: 1
; COMPUTE_PGM_RSRC2:TGID_Y_EN: 1
; COMPUTE_PGM_RSRC2:TGID_Z_EN: 0
; COMPUTE_PGM_RSRC2:TIDIG_COMP_CNT: 0
	.section	.text._ZN2at6native12_GLOBAL__N_130CatArrayBatchedCopy_vectorizedINS1_10OpaqueTypeILj2EEEjLi4ELi128ELi1ELi16ELi8EEEvPcNS1_25CatArrInputTensorMetadataIT_T0_XT2_EXT3_EEENS1_16TensorSizeStrideIS8_Lj4EEEiS8_,"axG",@progbits,_ZN2at6native12_GLOBAL__N_130CatArrayBatchedCopy_vectorizedINS1_10OpaqueTypeILj2EEEjLi4ELi128ELi1ELi16ELi8EEEvPcNS1_25CatArrInputTensorMetadataIT_T0_XT2_EXT3_EEENS1_16TensorSizeStrideIS8_Lj4EEEiS8_,comdat
	.globl	_ZN2at6native12_GLOBAL__N_130CatArrayBatchedCopy_vectorizedINS1_10OpaqueTypeILj2EEEjLi4ELi128ELi1ELi16ELi8EEEvPcNS1_25CatArrInputTensorMetadataIT_T0_XT2_EXT3_EEENS1_16TensorSizeStrideIS8_Lj4EEEiS8_ ; -- Begin function _ZN2at6native12_GLOBAL__N_130CatArrayBatchedCopy_vectorizedINS1_10OpaqueTypeILj2EEEjLi4ELi128ELi1ELi16ELi8EEEvPcNS1_25CatArrInputTensorMetadataIT_T0_XT2_EXT3_EEENS1_16TensorSizeStrideIS8_Lj4EEEiS8_
	.p2align	8
	.type	_ZN2at6native12_GLOBAL__N_130CatArrayBatchedCopy_vectorizedINS1_10OpaqueTypeILj2EEEjLi4ELi128ELi1ELi16ELi8EEEvPcNS1_25CatArrInputTensorMetadataIT_T0_XT2_EXT3_EEENS1_16TensorSizeStrideIS8_Lj4EEEiS8_,@function
_ZN2at6native12_GLOBAL__N_130CatArrayBatchedCopy_vectorizedINS1_10OpaqueTypeILj2EEEjLi4ELi128ELi1ELi16ELi8EEEvPcNS1_25CatArrInputTensorMetadataIT_T0_XT2_EXT3_EEENS1_16TensorSizeStrideIS8_Lj4EEEiS8_: ; @_ZN2at6native12_GLOBAL__N_130CatArrayBatchedCopy_vectorizedINS1_10OpaqueTypeILj2EEEjLi4ELi128ELi1ELi16ELi8EEEvPcNS1_25CatArrInputTensorMetadataIT_T0_XT2_EXT3_EEENS1_16TensorSizeStrideIS8_Lj4EEEiS8_
; %bb.0:
	s_mov_b32 s0, s7
	s_load_dword s7, s[4:5], 0xadc
	s_mov_b32 s1, 0
	s_add_u32 s2, s4, 0xad0
	s_addc_u32 s3, s5, 0
	s_lshl_b64 s[8:9], s[0:1], 2
	s_waitcnt lgkmcnt(0)
	s_and_b32 s15, s7, 0xffff
	s_add_u32 s10, s4, s8
	s_addc_u32 s11, s5, s9
	v_mad_u64_u32 v[0:1], null, s6, s15, v[0:1]
	s_load_dword s7, s[10:11], 0x808
	s_add_u32 s0, s10, 8
	s_addc_u32 s6, s11, 0
	s_waitcnt lgkmcnt(0)
	s_lshr_b32 s10, s7, 3
	s_mov_b32 s7, exec_lo
	v_cmpx_gt_u32_e64 s10, v0
	s_cbranch_execz .LBB35_3
; %bb.1:
	s_add_u32 s20, s0, s8
	s_addc_u32 s21, s6, s9
	s_sub_u32 s0, 0, s8
	s_subb_u32 s7, 0, s9
	s_add_u32 s6, s20, s0
	s_addc_u32 s7, s21, s7
	s_clause 0x3
	s_load_dwordx2 s[12:13], s[4:5], 0xac8
	s_load_dword s0, s[6:7], 0x400
	s_load_dword s6, s[6:7], 0x600
	s_load_dwordx4 s[16:19], s[4:5], 0xaac
	s_waitcnt lgkmcnt(0)
	s_mul_i32 s0, s0, s13
	s_mul_i32 s6, s6, s13
	s_lshr_b32 s0, s0, 3
	s_lshr_b32 s6, s6, 3
	s_lshl_b64 s[22:23], s[0:1], 4
	s_cmp_eq_u32 s12, 3
	s_load_dword s0, s[2:3], 0x0
	s_cselect_b32 s8, s6, s18
	s_cmp_eq_u32 s12, 2
	v_cvt_f32_u32_e32 v1, s8
	s_cselect_b32 s9, s6, s17
	s_cmp_eq_u32 s12, 1
	v_cvt_f32_u32_e32 v2, s9
	s_cselect_b32 s11, s6, s16
	s_load_dwordx2 s[18:19], s[4:5], 0x0
	v_cvt_f32_u32_e32 v3, s11
	v_rcp_iflag_f32_e32 v1, v1
	v_rcp_iflag_f32_e32 v2, v2
	s_load_dwordx4 s[4:7], s[4:5], 0xab8
	v_rcp_iflag_f32_e32 v3, v3
	v_mul_f32_e32 v1, 0x4f7ffffe, v1
	v_mul_f32_e32 v2, 0x4f7ffffe, v2
	s_waitcnt lgkmcnt(0)
	s_mul_i32 s15, s0, s15
	v_mul_f32_e32 v3, 0x4f7ffffe, v3
	v_cvt_u32_f32_e32 v1, v1
	v_cvt_u32_f32_e32 v4, v2
	s_add_u32 s12, s18, s22
	v_cvt_u32_f32_e32 v5, v3
	s_addc_u32 s13, s19, s23
	s_sub_i32 s14, 0, s8
	s_sub_i32 s2, 0, s9
	;; [unrolled: 1-line block ×3, first 2 shown]
	v_mul_lo_u32 v2, s14, v1
	v_mul_lo_u32 v3, s2, v4
	;; [unrolled: 1-line block ×3, first 2 shown]
	s_load_dwordx2 s[2:3], s[20:21], 0x0
	v_mul_hi_u32 v2, v1, v2
	v_mul_hi_u32 v3, v4, v3
	;; [unrolled: 1-line block ×3, first 2 shown]
	v_add_nc_u32_e32 v2, v1, v2
	v_mov_b32_e32 v1, 0
	v_add_nc_u32_e32 v3, v4, v3
	v_add_nc_u32_e32 v4, v5, v6
.LBB35_2:                               ; =>This Inner Loop Header: Depth=1
	v_lshlrev_b64 v[5:6], 4, v[0:1]
	v_mul_hi_u32 v11, v2, v0
	s_waitcnt lgkmcnt(0)
	v_add_co_u32 v5, vcc_lo, s2, v5
	v_add_co_ci_u32_e64 v6, null, s3, v6, vcc_lo
	v_mul_lo_u32 v12, s8, v11
	v_not_b32_e32 v9, v11
	v_add_nc_u32_e32 v13, 1, v11
	global_load_dwordx4 v[5:8], v[5:6], off
	v_mad_u64_u32 v[9:10], null, s8, v9, v[0:1]
	v_sub_nc_u32_e32 v10, v0, v12
	v_cmp_le_u32_e32 vcc_lo, s8, v10
	v_cndmask_b32_e32 v11, v11, v13, vcc_lo
	v_cndmask_b32_e32 v9, v10, v9, vcc_lo
	v_add_nc_u32_e32 v10, 1, v11
	v_cmp_le_u32_e32 vcc_lo, s8, v9
	v_cndmask_b32_e32 v11, v11, v10, vcc_lo
	v_mul_hi_u32 v12, v11, v3
	v_mad_u64_u32 v[9:10], null, s14, v11, v[0:1]
	v_add_nc_u32_e32 v0, s15, v0
	v_mul_lo_u32 v10, v12, s9
	v_add_nc_u32_e32 v13, 1, v12
	v_mul_lo_u32 v9, v9, s7
	v_sub_nc_u32_e32 v10, v11, v10
	v_subrev_nc_u32_e32 v14, s9, v10
	v_cmp_le_u32_e32 vcc_lo, s9, v10
	v_cndmask_b32_e32 v12, v12, v13, vcc_lo
	v_cndmask_b32_e32 v10, v10, v14, vcc_lo
	v_add_nc_u32_e32 v13, 1, v12
	v_cmp_le_u32_e32 vcc_lo, s9, v10
	v_cndmask_b32_e32 v10, v12, v13, vcc_lo
	v_mul_hi_u32 v12, v10, v4
	v_mul_lo_u32 v13, v12, s11
	v_add_nc_u32_e32 v14, 1, v12
	v_sub_nc_u32_e32 v13, v10, v13
	v_subrev_nc_u32_e32 v15, s11, v13
	v_cmp_le_u32_e32 vcc_lo, s11, v13
	v_cndmask_b32_e32 v12, v12, v14, vcc_lo
	v_cndmask_b32_e32 v13, v13, v15, vcc_lo
	v_add_nc_u32_e32 v14, 1, v12
	v_cmp_le_u32_e32 vcc_lo, s11, v13
	v_mul_lo_u32 v13, v10, s9
	v_cndmask_b32_e32 v12, v12, v14, vcc_lo
	v_cmp_le_u32_e32 vcc_lo, s10, v0
	v_sub_nc_u32_e32 v11, v11, v13
	v_mul_lo_u32 v14, v12, s11
	s_or_b32 s1, vcc_lo, s1
	v_mul_lo_u32 v11, v11, s6
	v_sub_nc_u32_e32 v13, v10, v14
	v_mad_u64_u32 v[9:10], null, v12, s4, v[9:10]
	v_mov_b32_e32 v10, v1
	v_mul_lo_u32 v12, v13, s5
	v_add3_u32 v9, v9, v11, v12
	v_lshlrev_b64 v[9:10], 4, v[9:10]
	v_add_co_u32 v9, s0, s12, v9
	v_add_co_ci_u32_e64 v10, null, s13, v10, s0
	s_waitcnt vmcnt(0)
	global_store_dwordx4 v[9:10], v[5:8], off
	s_andn2_b32 exec_lo, exec_lo, s1
	s_cbranch_execnz .LBB35_2
.LBB35_3:
	s_endpgm
	.section	.rodata,"a",@progbits
	.p2align	6, 0x0
	.amdhsa_kernel _ZN2at6native12_GLOBAL__N_130CatArrayBatchedCopy_vectorizedINS1_10OpaqueTypeILj2EEEjLi4ELi128ELi1ELi16ELi8EEEvPcNS1_25CatArrInputTensorMetadataIT_T0_XT2_EXT3_EEENS1_16TensorSizeStrideIS8_Lj4EEEiS8_
		.amdhsa_group_segment_fixed_size 0
		.amdhsa_private_segment_fixed_size 0
		.amdhsa_kernarg_size 3024
		.amdhsa_user_sgpr_count 6
		.amdhsa_user_sgpr_private_segment_buffer 1
		.amdhsa_user_sgpr_dispatch_ptr 0
		.amdhsa_user_sgpr_queue_ptr 0
		.amdhsa_user_sgpr_kernarg_segment_ptr 1
		.amdhsa_user_sgpr_dispatch_id 0
		.amdhsa_user_sgpr_flat_scratch_init 0
		.amdhsa_user_sgpr_private_segment_size 0
		.amdhsa_wavefront_size32 1
		.amdhsa_uses_dynamic_stack 0
		.amdhsa_system_sgpr_private_segment_wavefront_offset 0
		.amdhsa_system_sgpr_workgroup_id_x 1
		.amdhsa_system_sgpr_workgroup_id_y 1
		.amdhsa_system_sgpr_workgroup_id_z 0
		.amdhsa_system_sgpr_workgroup_info 0
		.amdhsa_system_vgpr_workitem_id 0
		.amdhsa_next_free_vgpr 16
		.amdhsa_next_free_sgpr 24
		.amdhsa_reserve_vcc 1
		.amdhsa_reserve_flat_scratch 0
		.amdhsa_float_round_mode_32 0
		.amdhsa_float_round_mode_16_64 0
		.amdhsa_float_denorm_mode_32 3
		.amdhsa_float_denorm_mode_16_64 3
		.amdhsa_dx10_clamp 1
		.amdhsa_ieee_mode 1
		.amdhsa_fp16_overflow 0
		.amdhsa_workgroup_processor_mode 1
		.amdhsa_memory_ordered 1
		.amdhsa_forward_progress 1
		.amdhsa_shared_vgpr_count 0
		.amdhsa_exception_fp_ieee_invalid_op 0
		.amdhsa_exception_fp_denorm_src 0
		.amdhsa_exception_fp_ieee_div_zero 0
		.amdhsa_exception_fp_ieee_overflow 0
		.amdhsa_exception_fp_ieee_underflow 0
		.amdhsa_exception_fp_ieee_inexact 0
		.amdhsa_exception_int_div_zero 0
	.end_amdhsa_kernel
	.section	.text._ZN2at6native12_GLOBAL__N_130CatArrayBatchedCopy_vectorizedINS1_10OpaqueTypeILj2EEEjLi4ELi128ELi1ELi16ELi8EEEvPcNS1_25CatArrInputTensorMetadataIT_T0_XT2_EXT3_EEENS1_16TensorSizeStrideIS8_Lj4EEEiS8_,"axG",@progbits,_ZN2at6native12_GLOBAL__N_130CatArrayBatchedCopy_vectorizedINS1_10OpaqueTypeILj2EEEjLi4ELi128ELi1ELi16ELi8EEEvPcNS1_25CatArrInputTensorMetadataIT_T0_XT2_EXT3_EEENS1_16TensorSizeStrideIS8_Lj4EEEiS8_,comdat
.Lfunc_end35:
	.size	_ZN2at6native12_GLOBAL__N_130CatArrayBatchedCopy_vectorizedINS1_10OpaqueTypeILj2EEEjLi4ELi128ELi1ELi16ELi8EEEvPcNS1_25CatArrInputTensorMetadataIT_T0_XT2_EXT3_EEENS1_16TensorSizeStrideIS8_Lj4EEEiS8_, .Lfunc_end35-_ZN2at6native12_GLOBAL__N_130CatArrayBatchedCopy_vectorizedINS1_10OpaqueTypeILj2EEEjLi4ELi128ELi1ELi16ELi8EEEvPcNS1_25CatArrInputTensorMetadataIT_T0_XT2_EXT3_EEENS1_16TensorSizeStrideIS8_Lj4EEEiS8_
                                        ; -- End function
	.set _ZN2at6native12_GLOBAL__N_130CatArrayBatchedCopy_vectorizedINS1_10OpaqueTypeILj2EEEjLi4ELi128ELi1ELi16ELi8EEEvPcNS1_25CatArrInputTensorMetadataIT_T0_XT2_EXT3_EEENS1_16TensorSizeStrideIS8_Lj4EEEiS8_.num_vgpr, 16
	.set _ZN2at6native12_GLOBAL__N_130CatArrayBatchedCopy_vectorizedINS1_10OpaqueTypeILj2EEEjLi4ELi128ELi1ELi16ELi8EEEvPcNS1_25CatArrInputTensorMetadataIT_T0_XT2_EXT3_EEENS1_16TensorSizeStrideIS8_Lj4EEEiS8_.num_agpr, 0
	.set _ZN2at6native12_GLOBAL__N_130CatArrayBatchedCopy_vectorizedINS1_10OpaqueTypeILj2EEEjLi4ELi128ELi1ELi16ELi8EEEvPcNS1_25CatArrInputTensorMetadataIT_T0_XT2_EXT3_EEENS1_16TensorSizeStrideIS8_Lj4EEEiS8_.numbered_sgpr, 24
	.set _ZN2at6native12_GLOBAL__N_130CatArrayBatchedCopy_vectorizedINS1_10OpaqueTypeILj2EEEjLi4ELi128ELi1ELi16ELi8EEEvPcNS1_25CatArrInputTensorMetadataIT_T0_XT2_EXT3_EEENS1_16TensorSizeStrideIS8_Lj4EEEiS8_.num_named_barrier, 0
	.set _ZN2at6native12_GLOBAL__N_130CatArrayBatchedCopy_vectorizedINS1_10OpaqueTypeILj2EEEjLi4ELi128ELi1ELi16ELi8EEEvPcNS1_25CatArrInputTensorMetadataIT_T0_XT2_EXT3_EEENS1_16TensorSizeStrideIS8_Lj4EEEiS8_.private_seg_size, 0
	.set _ZN2at6native12_GLOBAL__N_130CatArrayBatchedCopy_vectorizedINS1_10OpaqueTypeILj2EEEjLi4ELi128ELi1ELi16ELi8EEEvPcNS1_25CatArrInputTensorMetadataIT_T0_XT2_EXT3_EEENS1_16TensorSizeStrideIS8_Lj4EEEiS8_.uses_vcc, 1
	.set _ZN2at6native12_GLOBAL__N_130CatArrayBatchedCopy_vectorizedINS1_10OpaqueTypeILj2EEEjLi4ELi128ELi1ELi16ELi8EEEvPcNS1_25CatArrInputTensorMetadataIT_T0_XT2_EXT3_EEENS1_16TensorSizeStrideIS8_Lj4EEEiS8_.uses_flat_scratch, 0
	.set _ZN2at6native12_GLOBAL__N_130CatArrayBatchedCopy_vectorizedINS1_10OpaqueTypeILj2EEEjLi4ELi128ELi1ELi16ELi8EEEvPcNS1_25CatArrInputTensorMetadataIT_T0_XT2_EXT3_EEENS1_16TensorSizeStrideIS8_Lj4EEEiS8_.has_dyn_sized_stack, 0
	.set _ZN2at6native12_GLOBAL__N_130CatArrayBatchedCopy_vectorizedINS1_10OpaqueTypeILj2EEEjLi4ELi128ELi1ELi16ELi8EEEvPcNS1_25CatArrInputTensorMetadataIT_T0_XT2_EXT3_EEENS1_16TensorSizeStrideIS8_Lj4EEEiS8_.has_recursion, 0
	.set _ZN2at6native12_GLOBAL__N_130CatArrayBatchedCopy_vectorizedINS1_10OpaqueTypeILj2EEEjLi4ELi128ELi1ELi16ELi8EEEvPcNS1_25CatArrInputTensorMetadataIT_T0_XT2_EXT3_EEENS1_16TensorSizeStrideIS8_Lj4EEEiS8_.has_indirect_call, 0
	.section	.AMDGPU.csdata,"",@progbits
; Kernel info:
; codeLenInByte = 728
; TotalNumSgprs: 26
; NumVgprs: 16
; ScratchSize: 0
; MemoryBound: 0
; FloatMode: 240
; IeeeMode: 1
; LDSByteSize: 0 bytes/workgroup (compile time only)
; SGPRBlocks: 0
; VGPRBlocks: 1
; NumSGPRsForWavesPerEU: 26
; NumVGPRsForWavesPerEU: 16
; Occupancy: 16
; WaveLimiterHint : 1
; COMPUTE_PGM_RSRC2:SCRATCH_EN: 0
; COMPUTE_PGM_RSRC2:USER_SGPR: 6
; COMPUTE_PGM_RSRC2:TRAP_HANDLER: 0
; COMPUTE_PGM_RSRC2:TGID_X_EN: 1
; COMPUTE_PGM_RSRC2:TGID_Y_EN: 1
; COMPUTE_PGM_RSRC2:TGID_Z_EN: 0
; COMPUTE_PGM_RSRC2:TIDIG_COMP_CNT: 0
	.section	.text._ZN2at6native12_GLOBAL__N_135CatArrayBatchedCopy_alignedK_contigINS1_10OpaqueTypeILj2EEEjLi4ELi128ELi1ELi16EEEvPT_NS1_25CatArrInputTensorMetadataIS5_T0_XT2_EXT3_EEENS1_16TensorSizeStrideIS8_Lj4EEEiS8_,"axG",@progbits,_ZN2at6native12_GLOBAL__N_135CatArrayBatchedCopy_alignedK_contigINS1_10OpaqueTypeILj2EEEjLi4ELi128ELi1ELi16EEEvPT_NS1_25CatArrInputTensorMetadataIS5_T0_XT2_EXT3_EEENS1_16TensorSizeStrideIS8_Lj4EEEiS8_,comdat
	.globl	_ZN2at6native12_GLOBAL__N_135CatArrayBatchedCopy_alignedK_contigINS1_10OpaqueTypeILj2EEEjLi4ELi128ELi1ELi16EEEvPT_NS1_25CatArrInputTensorMetadataIS5_T0_XT2_EXT3_EEENS1_16TensorSizeStrideIS8_Lj4EEEiS8_ ; -- Begin function _ZN2at6native12_GLOBAL__N_135CatArrayBatchedCopy_alignedK_contigINS1_10OpaqueTypeILj2EEEjLi4ELi128ELi1ELi16EEEvPT_NS1_25CatArrInputTensorMetadataIS5_T0_XT2_EXT3_EEENS1_16TensorSizeStrideIS8_Lj4EEEiS8_
	.p2align	8
	.type	_ZN2at6native12_GLOBAL__N_135CatArrayBatchedCopy_alignedK_contigINS1_10OpaqueTypeILj2EEEjLi4ELi128ELi1ELi16EEEvPT_NS1_25CatArrInputTensorMetadataIS5_T0_XT2_EXT3_EEENS1_16TensorSizeStrideIS8_Lj4EEEiS8_,@function
_ZN2at6native12_GLOBAL__N_135CatArrayBatchedCopy_alignedK_contigINS1_10OpaqueTypeILj2EEEjLi4ELi128ELi1ELi16EEEvPT_NS1_25CatArrInputTensorMetadataIS5_T0_XT2_EXT3_EEENS1_16TensorSizeStrideIS8_Lj4EEEiS8_: ; @_ZN2at6native12_GLOBAL__N_135CatArrayBatchedCopy_alignedK_contigINS1_10OpaqueTypeILj2EEEjLi4ELi128ELi1ELi16EEEvPT_NS1_25CatArrInputTensorMetadataIS5_T0_XT2_EXT3_EEENS1_16TensorSizeStrideIS8_Lj4EEEiS8_
; %bb.0:
	s_mov_b32 s2, s7
	s_load_dword s7, s[4:5], 0xadc
	s_mov_b32 s3, 0
	s_add_u32 s0, s4, 0xad0
	s_addc_u32 s1, s5, 0
	s_lshl_b64 s[16:17], s[2:3], 2
	s_waitcnt lgkmcnt(0)
	s_and_b32 s7, s7, 0xffff
	s_add_u32 s2, s4, s16
	s_addc_u32 s3, s5, s17
	s_mul_i32 s6, s6, s7
	s_load_dword s18, s[2:3], 0x808
	v_add_lshl_u32 v10, s6, v0, 3
	s_add_u32 s6, s2, 8
	s_addc_u32 s19, s3, 0
	s_mov_b32 s2, exec_lo
	s_waitcnt lgkmcnt(0)
	v_cmpx_gt_u32_e64 s18, v10
	s_cbranch_execz .LBB36_10
; %bb.1:
	s_add_u32 s20, s6, s16
	s_addc_u32 s21, s19, s17
	s_sub_u32 s6, 0, s16
	s_subb_u32 s17, 0, s17
	s_add_u32 s16, s20, s6
	s_addc_u32 s17, s21, s17
	s_clause 0x5
	s_load_dwordx2 s[2:3], s[4:5], 0x0
	s_load_dwordx8 s[8:15], s[4:5], 0xaac
	s_load_dword s6, s[4:5], 0xacc
	s_load_dword s19, s[16:17], 0x400
	s_load_dwordx2 s[4:5], s[20:21], 0x0
	s_load_dword s17, s[16:17], 0x600
	v_add_nc_u32_e32 v0, 8, v10
	s_waitcnt lgkmcnt(0)
	s_mul_i32 s16, s19, s6
	s_mov_b32 s19, exec_lo
	v_cmpx_ge_u32_e64 s18, v0
	s_cbranch_execz .LBB36_7
; %bb.2:
	s_load_dword s0, s[0:1], 0x0
	v_add_nc_u32_e32 v11, 1, v10
	s_mov_b32 s24, 0
	s_waitcnt lgkmcnt(0)
	s_mul_i32 s0, s0, s7
	s_lshl_b32 s1, s0, 3
	s_cmp_eq_u32 s15, 3
	s_cselect_b32 s20, s17, s10
	s_cmp_eq_u32 s15, 2
	v_cvt_f32_u32_e32 v0, s20
	s_cselect_b32 s21, s17, s9
	s_cmp_eq_u32 s15, 1
	v_cvt_f32_u32_e32 v1, s21
	s_cselect_b32 s22, s17, s8
	v_rcp_iflag_f32_e32 v0, v0
	v_cvt_f32_u32_e32 v2, s22
	s_sub_i32 s23, 0, s20
	v_rcp_iflag_f32_e32 v1, v1
	s_sub_i32 s0, 0, s21
	s_sub_i32 s6, 0, s22
	v_rcp_iflag_f32_e32 v2, v2
	v_mul_f32_e32 v0, 0x4f7ffffe, v0
	v_mul_f32_e32 v3, 0x4f7ffffe, v1
	v_mov_b32_e32 v1, 0
	v_cvt_u32_f32_e32 v8, v0
	v_mul_f32_e32 v2, 0x4f7ffffe, v2
	v_cvt_u32_f32_e32 v9, v3
	v_mov_b32_e32 v7, v1
	v_mul_lo_u32 v4, s23, v8
	v_cvt_u32_f32_e32 v15, v2
	v_mov_b32_e32 v0, v1
	v_mul_lo_u32 v5, s0, v9
	v_mov_b32_e32 v2, v1
	v_mov_b32_e32 v3, v1
	v_mul_lo_u32 v6, s6, v15
	v_mov_b32_e32 v12, v1
	v_mul_hi_u32 v13, v8, v4
	v_mov_b32_e32 v4, v1
	v_mul_hi_u32 v14, v9, v5
	;; [unrolled: 2-line block ×3, first 2 shown]
	v_mov_b32_e32 v6, v1
	v_add_nc_u32_e32 v13, v8, v13
	v_add_nc_u32_e32 v14, v9, v14
	v_mov_b32_e32 v9, v7
	v_mov_b32_e32 v8, v6
	v_add_nc_u32_e32 v15, v15, v16
	v_mov_b32_e32 v7, v5
	v_mov_b32_e32 v6, v4
	;; [unrolled: 1-line block ×6, first 2 shown]
.LBB36_3:                               ; =>This Loop Header: Depth=1
                                        ;     Child Loop BB36_4 Depth 2
	v_mov_b32_e32 v0, v10
	v_mov_b32_e32 v16, v11
	s_mov_b64 s[6:7], 0
.LBB36_4:                               ;   Parent Loop BB36_3 Depth=1
                                        ; =>  This Inner Loop Header: Depth=2
	v_mul_hi_u32 v18, v13, v0
	v_mul_hi_u32 v20, v13, v16
	v_add_nc_u32_e32 v17, s6, v10
	s_mov_b32 m0, s6
	v_add_nc_u32_e32 v16, 2, v16
	v_add_nc_u32_e32 v0, 2, v0
	v_mul_hi_u32 v21, v17, v13
	v_not_b32_e32 v24, v18
	v_mad_u64_u32 v[18:19], null, s23, v18, v[17:18]
	v_mul_lo_u32 v23, s20, v20
	v_add_nc_u32_e32 v22, 1, v17
	v_not_b32_e32 v25, v20
	v_add_nc_u32_e32 v26, 1, v21
	v_mad_u64_u32 v[19:20], null, s20, v24, v[17:18]
	v_sub_nc_u32_e32 v23, v11, v23
	v_cmp_le_u32_e32 vcc_lo, s20, v18
	v_mul_hi_u32 v22, v22, v13
	v_mul_lo_u32 v20, s20, v25
	v_add_nc_u32_e32 v23, s6, v23
	v_cndmask_b32_e32 v21, v21, v26, vcc_lo
	v_cndmask_b32_e32 v18, v18, v19, vcc_lo
	v_add_nc_u32_e32 v24, 1, v22
	v_add3_u32 v19, v11, v20, s6
	v_add_nc_u32_e32 v20, 1, v21
	v_cmp_le_u32_e32 vcc_lo, s20, v23
	v_cmp_le_u32_e64 s0, s20, v18
	v_cndmask_b32_e32 v22, v22, v24, vcc_lo
	v_cndmask_b32_e64 v21, v21, v20, s0
	v_cndmask_b32_e32 v20, v23, v19, vcc_lo
	v_add_nc_u32_e32 v23, 1, v22
	v_mul_hi_u32 v24, v21, v14
	v_cmp_le_u32_e32 vcc_lo, s20, v20
	v_mad_u64_u32 v[18:19], null, s23, v21, v[17:18]
	v_cndmask_b32_e32 v22, v22, v23, vcc_lo
	v_mul_lo_u32 v23, v24, s21
	v_mul_hi_u32 v25, v22, v14
	v_mad_u64_u32 v[19:20], null, s23, v22, v[17:18]
	v_mul_lo_u32 v17, v18, s14
	v_add_nc_u32_e32 v20, 1, v24
	v_sub_nc_u32_e32 v18, v21, v23
	v_mul_lo_u32 v23, v25, s21
	v_add_nc_u32_e32 v26, 1, v25
	v_subrev_nc_u32_e32 v27, s21, v18
	v_cmp_le_u32_e32 vcc_lo, s21, v18
	v_mul_lo_u32 v19, s14, v19
	v_sub_nc_u32_e32 v23, v22, v23
	v_cndmask_b32_e32 v20, v24, v20, vcc_lo
	v_cndmask_b32_e32 v18, v18, v27, vcc_lo
	v_cmp_le_u32_e32 vcc_lo, s21, v23
	v_add_nc_u32_e32 v24, 1, v20
	v_cmp_le_u32_e64 s0, s21, v18
	v_cndmask_b32_e32 v25, v25, v26, vcc_lo
	v_subrev_nc_u32_e32 v26, s21, v23
	v_cndmask_b32_e64 v18, v20, v24, s0
	v_cndmask_b32_e32 v20, v23, v26, vcc_lo
	v_add_nc_u32_e32 v23, 1, v25
	v_mul_hi_u32 v24, v18, v15
	v_mul_lo_u32 v26, v18, s21
	v_cmp_le_u32_e32 vcc_lo, s21, v20
	v_cndmask_b32_e32 v20, v25, v23, vcc_lo
	v_mul_lo_u32 v23, v24, s22
	v_add_nc_u32_e32 v27, 1, v24
	v_sub_nc_u32_e32 v21, v21, v26
	v_mul_hi_u32 v25, v20, v15
	v_mul_lo_u32 v28, v20, s21
	v_mul_lo_u32 v21, v21, s13
	v_sub_nc_u32_e32 v23, v18, v23
	v_mul_lo_u32 v29, v25, s22
	v_subrev_nc_u32_e32 v31, s22, v23
	v_cmp_le_u32_e32 vcc_lo, s22, v23
	v_add_nc_u32_e32 v30, 1, v25
	v_sub_nc_u32_e32 v22, v22, v28
	v_cndmask_b32_e32 v24, v24, v27, vcc_lo
	v_sub_nc_u32_e32 v27, v20, v29
	v_cndmask_b32_e32 v23, v23, v31, vcc_lo
	v_mul_lo_u32 v22, v22, s13
	v_add_nc_u32_e32 v29, 1, v24
	v_subrev_nc_u32_e32 v31, s22, v27
	v_cmp_le_u32_e32 vcc_lo, s22, v27
	v_cmp_le_u32_e64 s0, s22, v23
	v_cndmask_b32_e32 v25, v25, v30, vcc_lo
	v_cndmask_b32_e64 v23, v24, v29, s0
	v_cndmask_b32_e32 v24, v27, v31, vcc_lo
	v_add_nc_u32_e32 v27, 1, v25
	v_mul_lo_u32 v29, v23, s22
	v_cmp_le_u32_e32 vcc_lo, s22, v24
	v_cndmask_b32_e32 v24, v25, v27, vcc_lo
	v_sub_nc_u32_e32 v26, v18, v29
	v_mad_u64_u32 v[17:18], null, v23, s11, v[17:18]
	v_mul_lo_u32 v25, v24, s22
	v_mul_lo_u32 v18, v24, s11
	v_mul_lo_u32 v23, v26, s12
	v_sub_nc_u32_e32 v20, v20, v25
	v_add3_u32 v18, v19, s14, v18
	v_add3_u32 v17, v17, v21, v23
	v_mul_lo_u32 v20, v20, s12
	v_movreld_b32_e32 v2, v17
	s_add_i32 m0, s6, 1
	s_add_u32 s6, s6, 2
	s_addc_u32 s7, s7, 0
	s_cmp_eq_u32 s6, 8
	v_add3_u32 v17, v18, v22, v20
	v_movreld_b32_e32 v2, v17
	s_cbranch_scc0 .LBB36_4
; %bb.5:                                ;   in Loop: Header=BB36_3 Depth=1
	v_mov_b32_e32 v0, v10
	v_add_nc_u32_e32 v11, s1, v11
	v_lshlrev_b64 v[16:17], 1, v[0:1]
	v_add_nc_u32_e32 v0, s16, v2
	v_lshlrev_b64 v[20:21], 1, v[0:1]
	v_add_co_u32 v16, vcc_lo, s4, v16
	v_add_co_ci_u32_e64 v17, null, s5, v17, vcc_lo
	v_add_co_u32 v10, vcc_lo, v10, s1
	v_add_nc_u32_e32 v0, s16, v3
	global_load_dwordx4 v[16:19], v[16:17], off
	v_add_co_ci_u32_e64 v12, null, 0, v12, vcc_lo
	v_add_nc_u32_e32 v22, 8, v10
	v_cmp_lt_u32_e32 vcc_lo, s18, v22
	v_lshlrev_b64 v[22:23], 1, v[0:1]
	v_add_nc_u32_e32 v0, s16, v4
	s_or_b32 s24, vcc_lo, s24
	v_add_co_u32 v20, vcc_lo, s2, v20
	v_lshlrev_b64 v[24:25], 1, v[0:1]
	v_add_nc_u32_e32 v0, s16, v5
	v_add_co_ci_u32_e64 v21, null, s3, v21, vcc_lo
	v_add_co_u32 v22, vcc_lo, s2, v22
	v_lshlrev_b64 v[26:27], 1, v[0:1]
	v_add_nc_u32_e32 v0, s16, v6
	v_add_co_ci_u32_e64 v23, null, s3, v23, vcc_lo
	v_add_co_u32 v24, vcc_lo, s2, v24
	v_lshlrev_b64 v[28:29], 1, v[0:1]
	v_add_nc_u32_e32 v0, s16, v7
	v_add_co_ci_u32_e64 v25, null, s3, v25, vcc_lo
	v_add_co_u32 v26, vcc_lo, s2, v26
	v_lshlrev_b64 v[30:31], 1, v[0:1]
	v_add_nc_u32_e32 v0, s16, v8
	v_add_co_ci_u32_e64 v27, null, s3, v27, vcc_lo
	v_add_co_u32 v28, vcc_lo, s2, v28
	v_lshlrev_b64 v[32:33], 1, v[0:1]
	v_add_nc_u32_e32 v0, s16, v9
	v_add_co_ci_u32_e64 v29, null, s3, v29, vcc_lo
	v_add_co_u32 v30, vcc_lo, s2, v30
	v_lshlrev_b64 v[34:35], 1, v[0:1]
	v_add_co_ci_u32_e64 v31, null, s3, v31, vcc_lo
	v_add_co_u32 v32, vcc_lo, s2, v32
	v_add_co_ci_u32_e64 v33, null, s3, v33, vcc_lo
	v_add_co_u32 v34, vcc_lo, s2, v34
	v_add_co_ci_u32_e64 v35, null, s3, v35, vcc_lo
	s_waitcnt vmcnt(0)
	global_store_short v[20:21], v16, off
	global_store_short_d16_hi v[22:23], v16, off
	global_store_short v[24:25], v17, off
	global_store_short_d16_hi v[26:27], v17, off
	;; [unrolled: 2-line block ×4, first 2 shown]
	s_andn2_b32 exec_lo, exec_lo, s24
	s_cbranch_execnz .LBB36_3
; %bb.6:
	s_or_b32 exec_lo, exec_lo, s24
.LBB36_7:
	s_or_b32 exec_lo, exec_lo, s19
	v_cmp_gt_u32_e32 vcc_lo, s18, v10
	s_and_b32 exec_lo, exec_lo, vcc_lo
	s_cbranch_execz .LBB36_10
; %bb.8:
	s_cmp_eq_u32 s15, 3
	s_cselect_b32 s6, s17, s10
	s_cmp_eq_u32 s15, 2
	v_cvt_f32_u32_e32 v0, s6
	s_cselect_b32 s7, s17, s9
	s_cmp_eq_u32 s15, 1
	v_cvt_f32_u32_e32 v1, s7
	s_cselect_b32 s8, s17, s8
	v_rcp_iflag_f32_e32 v0, v0
	v_cvt_f32_u32_e32 v2, s8
	s_sub_i32 s9, 0, s6
	v_rcp_iflag_f32_e32 v1, v1
	s_sub_i32 s0, 0, s7
	s_sub_i32 s1, 0, s8
	v_rcp_iflag_f32_e32 v2, v2
	v_mul_f32_e32 v0, 0x4f7ffffe, v0
	v_mul_f32_e32 v1, 0x4f7ffffe, v1
	v_cvt_u32_f32_e32 v0, v0
	v_mul_f32_e32 v2, 0x4f7ffffe, v2
	v_cvt_u32_f32_e32 v3, v1
	v_mov_b32_e32 v1, 0
	v_mul_lo_u32 v4, s9, v0
	v_cvt_u32_f32_e32 v2, v2
	v_mul_lo_u32 v5, s0, v3
	v_mov_b32_e32 v11, v1
	v_mul_lo_u32 v6, s1, v2
	v_mul_hi_u32 v4, v0, v4
	v_mul_hi_u32 v7, v3, v5
	;; [unrolled: 1-line block ×3, first 2 shown]
	v_add_nc_u32_e32 v6, v0, v4
	v_lshlrev_b64 v[4:5], 1, v[10:11]
	v_add_nc_u32_e32 v7, v3, v7
	v_add_nc_u32_e32 v8, v2, v8
	v_mad_u64_u32 v[2:3], null, v10, v6, 0
	v_add_co_u32 v4, vcc_lo, s4, v4
	v_add_co_ci_u32_e64 v5, null, s5, v5, vcc_lo
	s_mov_b32 s4, 0
.LBB36_9:                               ; =>This Inner Loop Header: Depth=1
	global_load_ushort v9, v[4:5], off
	v_mul_lo_u32 v0, s6, v3
	v_not_b32_e32 v11, v3
	v_add_nc_u32_e32 v13, 1, v3
	v_add_co_u32 v2, vcc_lo, v2, v6
	v_mad_u64_u32 v[11:12], null, s6, v11, v[10:11]
	v_sub_nc_u32_e32 v0, v10, v0
	v_cmp_le_u32_e64 s0, s6, v0
	v_cndmask_b32_e64 v12, v3, v13, s0
	v_cndmask_b32_e64 v0, v0, v11, s0
	v_add_co_ci_u32_e64 v3, null, 0, v3, vcc_lo
	v_add_nc_u32_e32 v11, 1, v12
	v_cmp_le_u32_e64 s0, s6, v0
	v_cndmask_b32_e64 v0, v12, v11, s0
	v_mul_hi_u32 v11, v0, v7
	v_mul_lo_u32 v12, v11, s7
	v_add_nc_u32_e32 v13, 1, v11
	v_sub_nc_u32_e32 v12, v0, v12
	v_subrev_nc_u32_e32 v14, s7, v12
	v_cmp_le_u32_e64 s0, s7, v12
	v_cndmask_b32_e64 v11, v11, v13, s0
	v_cndmask_b32_e64 v12, v12, v14, s0
	v_add_nc_u32_e32 v13, 1, v11
	v_cmp_le_u32_e64 s0, s7, v12
	v_cndmask_b32_e64 v13, v11, v13, s0
	v_mad_u64_u32 v[11:12], null, s9, v0, v[10:11]
	v_add_nc_u32_e32 v10, 1, v10
	v_mul_hi_u32 v14, v13, v8
	v_mul_lo_u32 v15, v13, s7
	v_mul_lo_u32 v11, v11, s14
	;; [unrolled: 1-line block ×3, first 2 shown]
	v_add_nc_u32_e32 v16, 1, v14
	v_sub_nc_u32_e32 v0, v0, v15
	v_mul_lo_u32 v0, v0, s13
	v_sub_nc_u32_e32 v12, v13, v12
	v_subrev_nc_u32_e32 v17, s8, v12
	v_cmp_le_u32_e64 s0, s8, v12
	v_cndmask_b32_e64 v14, v14, v16, s0
	v_cndmask_b32_e64 v12, v12, v17, s0
	v_add_nc_u32_e32 v16, 1, v14
	v_cmp_le_u32_e64 s0, s8, v12
	v_cndmask_b32_e64 v12, v14, v16, s0
	v_add_co_u32 v4, s0, v4, 2
	v_add_co_ci_u32_e64 v5, null, 0, v5, s0
	v_mul_lo_u32 v14, v12, s8
	v_mul_lo_u32 v12, v12, s11
	v_cmp_le_u32_e64 s0, s18, v10
	s_or_b32 s4, s0, s4
	v_sub_nc_u32_e32 v13, v13, v14
	v_add3_u32 v0, v12, v11, v0
	v_mul_lo_u32 v13, v13, s12
	v_add3_u32 v0, v0, v13, s16
	v_lshlrev_b64 v[11:12], 1, v[0:1]
	v_add_co_u32 v11, s1, s2, v11
	v_add_co_ci_u32_e64 v12, null, s3, v12, s1
	s_waitcnt vmcnt(0)
	global_store_short v[11:12], v9, off
	s_andn2_b32 exec_lo, exec_lo, s4
	s_cbranch_execnz .LBB36_9
.LBB36_10:
	s_endpgm
	.section	.rodata,"a",@progbits
	.p2align	6, 0x0
	.amdhsa_kernel _ZN2at6native12_GLOBAL__N_135CatArrayBatchedCopy_alignedK_contigINS1_10OpaqueTypeILj2EEEjLi4ELi128ELi1ELi16EEEvPT_NS1_25CatArrInputTensorMetadataIS5_T0_XT2_EXT3_EEENS1_16TensorSizeStrideIS8_Lj4EEEiS8_
		.amdhsa_group_segment_fixed_size 0
		.amdhsa_private_segment_fixed_size 0
		.amdhsa_kernarg_size 3024
		.amdhsa_user_sgpr_count 6
		.amdhsa_user_sgpr_private_segment_buffer 1
		.amdhsa_user_sgpr_dispatch_ptr 0
		.amdhsa_user_sgpr_queue_ptr 0
		.amdhsa_user_sgpr_kernarg_segment_ptr 1
		.amdhsa_user_sgpr_dispatch_id 0
		.amdhsa_user_sgpr_flat_scratch_init 0
		.amdhsa_user_sgpr_private_segment_size 0
		.amdhsa_wavefront_size32 1
		.amdhsa_uses_dynamic_stack 0
		.amdhsa_system_sgpr_private_segment_wavefront_offset 0
		.amdhsa_system_sgpr_workgroup_id_x 1
		.amdhsa_system_sgpr_workgroup_id_y 1
		.amdhsa_system_sgpr_workgroup_id_z 0
		.amdhsa_system_sgpr_workgroup_info 0
		.amdhsa_system_vgpr_workitem_id 0
		.amdhsa_next_free_vgpr 36
		.amdhsa_next_free_sgpr 25
		.amdhsa_reserve_vcc 1
		.amdhsa_reserve_flat_scratch 0
		.amdhsa_float_round_mode_32 0
		.amdhsa_float_round_mode_16_64 0
		.amdhsa_float_denorm_mode_32 3
		.amdhsa_float_denorm_mode_16_64 3
		.amdhsa_dx10_clamp 1
		.amdhsa_ieee_mode 1
		.amdhsa_fp16_overflow 0
		.amdhsa_workgroup_processor_mode 1
		.amdhsa_memory_ordered 1
		.amdhsa_forward_progress 1
		.amdhsa_shared_vgpr_count 0
		.amdhsa_exception_fp_ieee_invalid_op 0
		.amdhsa_exception_fp_denorm_src 0
		.amdhsa_exception_fp_ieee_div_zero 0
		.amdhsa_exception_fp_ieee_overflow 0
		.amdhsa_exception_fp_ieee_underflow 0
		.amdhsa_exception_fp_ieee_inexact 0
		.amdhsa_exception_int_div_zero 0
	.end_amdhsa_kernel
	.section	.text._ZN2at6native12_GLOBAL__N_135CatArrayBatchedCopy_alignedK_contigINS1_10OpaqueTypeILj2EEEjLi4ELi128ELi1ELi16EEEvPT_NS1_25CatArrInputTensorMetadataIS5_T0_XT2_EXT3_EEENS1_16TensorSizeStrideIS8_Lj4EEEiS8_,"axG",@progbits,_ZN2at6native12_GLOBAL__N_135CatArrayBatchedCopy_alignedK_contigINS1_10OpaqueTypeILj2EEEjLi4ELi128ELi1ELi16EEEvPT_NS1_25CatArrInputTensorMetadataIS5_T0_XT2_EXT3_EEENS1_16TensorSizeStrideIS8_Lj4EEEiS8_,comdat
.Lfunc_end36:
	.size	_ZN2at6native12_GLOBAL__N_135CatArrayBatchedCopy_alignedK_contigINS1_10OpaqueTypeILj2EEEjLi4ELi128ELi1ELi16EEEvPT_NS1_25CatArrInputTensorMetadataIS5_T0_XT2_EXT3_EEENS1_16TensorSizeStrideIS8_Lj4EEEiS8_, .Lfunc_end36-_ZN2at6native12_GLOBAL__N_135CatArrayBatchedCopy_alignedK_contigINS1_10OpaqueTypeILj2EEEjLi4ELi128ELi1ELi16EEEvPT_NS1_25CatArrInputTensorMetadataIS5_T0_XT2_EXT3_EEENS1_16TensorSizeStrideIS8_Lj4EEEiS8_
                                        ; -- End function
	.set _ZN2at6native12_GLOBAL__N_135CatArrayBatchedCopy_alignedK_contigINS1_10OpaqueTypeILj2EEEjLi4ELi128ELi1ELi16EEEvPT_NS1_25CatArrInputTensorMetadataIS5_T0_XT2_EXT3_EEENS1_16TensorSizeStrideIS8_Lj4EEEiS8_.num_vgpr, 36
	.set _ZN2at6native12_GLOBAL__N_135CatArrayBatchedCopy_alignedK_contigINS1_10OpaqueTypeILj2EEEjLi4ELi128ELi1ELi16EEEvPT_NS1_25CatArrInputTensorMetadataIS5_T0_XT2_EXT3_EEENS1_16TensorSizeStrideIS8_Lj4EEEiS8_.num_agpr, 0
	.set _ZN2at6native12_GLOBAL__N_135CatArrayBatchedCopy_alignedK_contigINS1_10OpaqueTypeILj2EEEjLi4ELi128ELi1ELi16EEEvPT_NS1_25CatArrInputTensorMetadataIS5_T0_XT2_EXT3_EEENS1_16TensorSizeStrideIS8_Lj4EEEiS8_.numbered_sgpr, 25
	.set _ZN2at6native12_GLOBAL__N_135CatArrayBatchedCopy_alignedK_contigINS1_10OpaqueTypeILj2EEEjLi4ELi128ELi1ELi16EEEvPT_NS1_25CatArrInputTensorMetadataIS5_T0_XT2_EXT3_EEENS1_16TensorSizeStrideIS8_Lj4EEEiS8_.num_named_barrier, 0
	.set _ZN2at6native12_GLOBAL__N_135CatArrayBatchedCopy_alignedK_contigINS1_10OpaqueTypeILj2EEEjLi4ELi128ELi1ELi16EEEvPT_NS1_25CatArrInputTensorMetadataIS5_T0_XT2_EXT3_EEENS1_16TensorSizeStrideIS8_Lj4EEEiS8_.private_seg_size, 0
	.set _ZN2at6native12_GLOBAL__N_135CatArrayBatchedCopy_alignedK_contigINS1_10OpaqueTypeILj2EEEjLi4ELi128ELi1ELi16EEEvPT_NS1_25CatArrInputTensorMetadataIS5_T0_XT2_EXT3_EEENS1_16TensorSizeStrideIS8_Lj4EEEiS8_.uses_vcc, 1
	.set _ZN2at6native12_GLOBAL__N_135CatArrayBatchedCopy_alignedK_contigINS1_10OpaqueTypeILj2EEEjLi4ELi128ELi1ELi16EEEvPT_NS1_25CatArrInputTensorMetadataIS5_T0_XT2_EXT3_EEENS1_16TensorSizeStrideIS8_Lj4EEEiS8_.uses_flat_scratch, 0
	.set _ZN2at6native12_GLOBAL__N_135CatArrayBatchedCopy_alignedK_contigINS1_10OpaqueTypeILj2EEEjLi4ELi128ELi1ELi16EEEvPT_NS1_25CatArrInputTensorMetadataIS5_T0_XT2_EXT3_EEENS1_16TensorSizeStrideIS8_Lj4EEEiS8_.has_dyn_sized_stack, 0
	.set _ZN2at6native12_GLOBAL__N_135CatArrayBatchedCopy_alignedK_contigINS1_10OpaqueTypeILj2EEEjLi4ELi128ELi1ELi16EEEvPT_NS1_25CatArrInputTensorMetadataIS5_T0_XT2_EXT3_EEENS1_16TensorSizeStrideIS8_Lj4EEEiS8_.has_recursion, 0
	.set _ZN2at6native12_GLOBAL__N_135CatArrayBatchedCopy_alignedK_contigINS1_10OpaqueTypeILj2EEEjLi4ELi128ELi1ELi16EEEvPT_NS1_25CatArrInputTensorMetadataIS5_T0_XT2_EXT3_EEENS1_16TensorSizeStrideIS8_Lj4EEEiS8_.has_indirect_call, 0
	.section	.AMDGPU.csdata,"",@progbits
; Kernel info:
; codeLenInByte = 2032
; TotalNumSgprs: 27
; NumVgprs: 36
; ScratchSize: 0
; MemoryBound: 0
; FloatMode: 240
; IeeeMode: 1
; LDSByteSize: 0 bytes/workgroup (compile time only)
; SGPRBlocks: 0
; VGPRBlocks: 4
; NumSGPRsForWavesPerEU: 27
; NumVGPRsForWavesPerEU: 36
; Occupancy: 16
; WaveLimiterHint : 1
; COMPUTE_PGM_RSRC2:SCRATCH_EN: 0
; COMPUTE_PGM_RSRC2:USER_SGPR: 6
; COMPUTE_PGM_RSRC2:TRAP_HANDLER: 0
; COMPUTE_PGM_RSRC2:TGID_X_EN: 1
; COMPUTE_PGM_RSRC2:TGID_Y_EN: 1
; COMPUTE_PGM_RSRC2:TGID_Z_EN: 0
; COMPUTE_PGM_RSRC2:TIDIG_COMP_CNT: 0
	.section	.text._ZN2at6native12_GLOBAL__N_135CatArrayBatchedCopy_alignedK_contigINS1_10OpaqueTypeILj2EEEjLi4ELi128ELi1ELi8EEEvPT_NS1_25CatArrInputTensorMetadataIS5_T0_XT2_EXT3_EEENS1_16TensorSizeStrideIS8_Lj4EEEiS8_,"axG",@progbits,_ZN2at6native12_GLOBAL__N_135CatArrayBatchedCopy_alignedK_contigINS1_10OpaqueTypeILj2EEEjLi4ELi128ELi1ELi8EEEvPT_NS1_25CatArrInputTensorMetadataIS5_T0_XT2_EXT3_EEENS1_16TensorSizeStrideIS8_Lj4EEEiS8_,comdat
	.globl	_ZN2at6native12_GLOBAL__N_135CatArrayBatchedCopy_alignedK_contigINS1_10OpaqueTypeILj2EEEjLi4ELi128ELi1ELi8EEEvPT_NS1_25CatArrInputTensorMetadataIS5_T0_XT2_EXT3_EEENS1_16TensorSizeStrideIS8_Lj4EEEiS8_ ; -- Begin function _ZN2at6native12_GLOBAL__N_135CatArrayBatchedCopy_alignedK_contigINS1_10OpaqueTypeILj2EEEjLi4ELi128ELi1ELi8EEEvPT_NS1_25CatArrInputTensorMetadataIS5_T0_XT2_EXT3_EEENS1_16TensorSizeStrideIS8_Lj4EEEiS8_
	.p2align	8
	.type	_ZN2at6native12_GLOBAL__N_135CatArrayBatchedCopy_alignedK_contigINS1_10OpaqueTypeILj2EEEjLi4ELi128ELi1ELi8EEEvPT_NS1_25CatArrInputTensorMetadataIS5_T0_XT2_EXT3_EEENS1_16TensorSizeStrideIS8_Lj4EEEiS8_,@function
_ZN2at6native12_GLOBAL__N_135CatArrayBatchedCopy_alignedK_contigINS1_10OpaqueTypeILj2EEEjLi4ELi128ELi1ELi8EEEvPT_NS1_25CatArrInputTensorMetadataIS5_T0_XT2_EXT3_EEENS1_16TensorSizeStrideIS8_Lj4EEEiS8_: ; @_ZN2at6native12_GLOBAL__N_135CatArrayBatchedCopy_alignedK_contigINS1_10OpaqueTypeILj2EEEjLi4ELi128ELi1ELi8EEEvPT_NS1_25CatArrInputTensorMetadataIS5_T0_XT2_EXT3_EEENS1_16TensorSizeStrideIS8_Lj4EEEiS8_
; %bb.0:
	s_mov_b32 s2, s7
	s_load_dword s7, s[4:5], 0xadc
	s_mov_b32 s3, 0
	s_add_u32 s0, s4, 0xad0
	s_addc_u32 s1, s5, 0
	s_lshl_b64 s[2:3], s[2:3], 2
	s_waitcnt lgkmcnt(0)
	s_and_b32 s20, s7, 0xffff
	s_add_u32 s8, s4, s2
	s_addc_u32 s9, s5, s3
	s_mul_i32 s6, s6, s20
	s_load_dword s16, s[8:9], 0x808
	v_add_lshl_u32 v0, s6, v0, 2
	s_add_u32 s17, s8, 8
	s_addc_u32 s18, s9, 0
	s_mov_b32 s6, exec_lo
	s_waitcnt lgkmcnt(0)
	v_cmpx_gt_u32_e64 s16, v0
	s_cbranch_execz .LBB37_8
; %bb.1:
	s_add_u32 s22, s17, s2
	s_addc_u32 s23, s18, s3
	s_sub_u32 s2, 0, s2
	s_subb_u32 s3, 0, s3
	s_add_u32 s2, s22, s2
	s_addc_u32 s3, s23, s3
	s_clause 0x5
	s_load_dwordx2 s[6:7], s[4:5], 0x0
	s_load_dwordx8 s[8:15], s[4:5], 0xaac
	s_load_dword s17, s[4:5], 0xacc
	s_load_dword s19, s[2:3], 0x400
	s_load_dwordx2 s[4:5], s[22:23], 0x0
	s_load_dword s18, s[2:3], 0x600
	v_add_nc_u32_e32 v1, 4, v0
	s_waitcnt lgkmcnt(0)
	s_mul_i32 s17, s19, s17
	s_mov_b32 s19, exec_lo
	v_cmpx_ge_u32_e64 s16, v1
	s_cbranch_execz .LBB37_5
; %bb.2:
	s_load_dword s0, s[0:1], 0x0
	s_mov_b32 s25, 0
	s_waitcnt lgkmcnt(0)
	s_mul_i32 s0, s0, s20
	s_lshl_b32 s20, s0, 2
	s_cmp_eq_u32 s15, 3
	s_cselect_b32 s21, s18, s10
	s_cmp_eq_u32 s15, 2
	v_cvt_f32_u32_e32 v1, s21
	s_cselect_b32 s22, s18, s9
	s_cmp_eq_u32 s15, 1
	v_cvt_f32_u32_e32 v2, s22
	s_cselect_b32 s23, s18, s8
	v_rcp_iflag_f32_e32 v1, v1
	v_cvt_f32_u32_e32 v3, s23
	s_sub_i32 s24, 0, s21
	v_rcp_iflag_f32_e32 v2, v2
	s_sub_i32 s0, 0, s22
	s_sub_i32 s1, 0, s23
	v_rcp_iflag_f32_e32 v3, v3
	v_mul_f32_e32 v1, 0x4f7ffffe, v1
	v_mul_f32_e32 v2, 0x4f7ffffe, v2
	v_cvt_u32_f32_e32 v4, v1
	v_mul_f32_e32 v3, 0x4f7ffffe, v3
	v_cvt_u32_f32_e32 v5, v2
	v_mul_lo_u32 v1, s24, v4
	v_cvt_u32_f32_e32 v6, v3
	v_mul_lo_u32 v2, s0, v5
	v_mul_lo_u32 v3, s1, v6
	v_mul_hi_u32 v7, v4, v1
	v_mov_b32_e32 v1, 0
	v_mul_hi_u32 v8, v5, v2
	v_add_nc_u32_e32 v2, 3, v0
	v_mul_hi_u32 v9, v6, v3
	v_add_nc_u32_e32 v3, 2, v0
	v_add_nc_u32_e32 v4, v4, v7
	;; [unrolled: 1-line block ×5, first 2 shown]
.LBB37_3:                               ; =>This Inner Loop Header: Depth=1
	v_lshlrev_b64 v[8:9], 1, v[0:1]
	v_mul_hi_u32 v14, v4, v0
	v_mul_hi_u32 v22, v4, v7
	;; [unrolled: 1-line block ×4, first 2 shown]
	v_add_nc_u32_e32 v10, 1, v0
	v_add_co_u32 v8, vcc_lo, s4, v8
	v_add_co_ci_u32_e64 v9, null, s5, v9, vcc_lo
	v_add_nc_u32_e32 v11, 2, v0
	v_add_nc_u32_e32 v12, 3, v0
	v_mov_b32_e32 v13, v1
	global_load_dwordx2 v[8:9], v[8:9], off
	v_not_b32_e32 v25, v14
	v_mad_u64_u32 v[20:21], null, s24, v14, v[0:1]
	v_not_b32_e32 v26, v22
	v_mad_u64_u32 v[21:22], null, s24, v22, v[10:11]
	v_mad_u64_u32 v[22:23], null, s24, v18, v[11:12]
	;; [unrolled: 1-line block ×3, first 2 shown]
	v_mul_hi_u32 v29, v10, v4
	v_mad_u64_u32 v[24:25], null, s21, v25, v[0:1]
	v_add_nc_u32_e32 v32, 1, v14
	v_cmp_le_u32_e32 vcc_lo, s21, v20
	v_mul_hi_u32 v30, v11, v4
	v_not_b32_e32 v27, v18
	v_mul_hi_u32 v31, v12, v4
	v_not_b32_e32 v28, v16
	v_mad_u64_u32 v[25:26], null, s21, v26, v[10:11]
	v_add_nc_u32_e32 v16, 1, v29
	v_cndmask_b32_e32 v14, v14, v32, vcc_lo
	v_cmp_le_u32_e64 s2, s21, v21
	v_cndmask_b32_e32 v20, v20, v24, vcc_lo
	v_mad_u64_u32 v[26:27], null, s21, v27, v[11:12]
	v_mad_u64_u32 v[27:28], null, s21, v28, v[12:13]
	v_add_nc_u32_e32 v10, 1, v30
	v_cmp_le_u32_e64 s0, s21, v22
	v_add_nc_u32_e32 v18, 1, v31
	v_cmp_le_u32_e64 s1, s21, v23
	v_cndmask_b32_e64 v16, v29, v16, s2
	v_add_nc_u32_e32 v24, 1, v14
	v_cndmask_b32_e64 v21, v21, v25, s2
	v_cmp_le_u32_e32 vcc_lo, s21, v20
	v_cndmask_b32_e64 v10, v30, v10, s0
	v_cndmask_b32_e64 v22, v22, v26, s0
	;; [unrolled: 1-line block ×4, first 2 shown]
	v_add_nc_u32_e32 v25, 1, v16
	v_cndmask_b32_e32 v14, v14, v24, vcc_lo
	v_cmp_le_u32_e64 s1, s21, v21
	v_add_nc_u32_e32 v26, 1, v10
	v_cmp_le_u32_e32 vcc_lo, s21, v22
	v_add_nc_u32_e32 v27, 1, v18
	v_cmp_le_u32_e64 s0, s21, v23
	v_cndmask_b32_e64 v16, v16, v25, s1
	v_mul_hi_u32 v24, v14, v5
	v_cndmask_b32_e32 v23, v10, v26, vcc_lo
	v_mad_u64_u32 v[20:21], null, s24, v14, v[0:1]
	v_cndmask_b32_e64 v18, v18, v27, s0
	v_mul_hi_u32 v25, v16, v5
	v_mad_u64_u32 v[21:22], null, s24, v16, v[0:1]
	v_add_nc_u32_e32 v0, s20, v0
	v_mul_lo_u32 v27, v24, s22
	v_mad_u64_u32 v[10:11], null, s24, v23, v[11:12]
	v_mul_hi_u32 v22, v23, v5
	v_mad_u64_u32 v[11:12], null, s24, v18, v[12:13]
	v_add_nc_u32_e32 v12, 4, v0
	v_mul_lo_u32 v30, v25, s22
	v_mul_lo_u32 v29, v20, s14
	v_mad_u64_u32 v[20:21], null, s14, v21, s[14:15]
	v_cmp_lt_u32_e32 vcc_lo, s16, v12
	v_sub_nc_u32_e32 v12, v14, v27
	v_mul_lo_u32 v21, v22, s22
	v_mul_hi_u32 v26, v18, v5
	v_add_nc_u32_e32 v28, 1, v24
	v_sub_nc_u32_e32 v27, v16, v30
	v_cmp_le_u32_e64 s0, s22, v12
	v_add_nc_u32_e32 v31, 1, v25
	v_add_nc_u32_e32 v32, 1, v22
	v_mul_lo_u32 v11, v11, s14
	v_sub_nc_u32_e32 v21, v23, v21
	v_cndmask_b32_e64 v24, v24, v28, s0
	v_subrev_nc_u32_e32 v28, s22, v12
	v_cmp_le_u32_e64 s1, s22, v27
	v_mul_lo_u32 v33, v26, s22
	v_cmp_le_u32_e64 s2, s22, v21
	v_add_nc_u32_e32 v34, 1, v26
	v_cndmask_b32_e64 v12, v12, v28, s0
	v_cndmask_b32_e64 v25, v25, v31, s1
	v_subrev_nc_u32_e32 v31, s22, v27
	v_cndmask_b32_e64 v22, v22, v32, s2
	v_subrev_nc_u32_e32 v32, s22, v21
	v_sub_nc_u32_e32 v30, v18, v33
	v_add_nc_u32_e32 v28, 1, v24
	v_cndmask_b32_e64 v27, v27, v31, s1
	v_cmp_le_u32_e64 s0, s22, v12
	v_add_nc_u32_e32 v31, 1, v25
	v_cmp_le_u32_e64 s3, s22, v30
	v_subrev_nc_u32_e32 v33, s22, v30
	v_cndmask_b32_e64 v21, v21, v32, s2
	v_cndmask_b32_e64 v12, v24, v28, s0
	v_cmp_le_u32_e64 s0, s22, v27
	v_cndmask_b32_e64 v26, v26, v34, s3
	v_add_nc_u32_e32 v32, 1, v22
	v_cndmask_b32_e64 v30, v30, v33, s3
	v_mul_lo_u32 v10, v10, s14
	v_cndmask_b32_e64 v24, v25, v31, s0
	v_cmp_le_u32_e64 s0, s22, v21
	v_add_nc_u32_e32 v33, 1, v26
	v_mul_lo_u32 v25, v12, s22
	v_mov_b32_e32 v15, v1
	v_mul_lo_u32 v27, v24, s22
	v_cndmask_b32_e64 v21, v22, v32, s0
	v_cmp_le_u32_e64 s0, s22, v30
	v_mul_hi_u32 v28, v24, v6
	v_mov_b32_e32 v17, v1
	v_mov_b32_e32 v19, v1
	v_sub_nc_u32_e32 v14, v14, v25
	v_cndmask_b32_e64 v22, v26, v33, s0
	v_mul_hi_u32 v26, v12, v6
	v_mul_lo_u32 v30, v21, s22
	v_mul_hi_u32 v31, v21, v6
	v_sub_nc_u32_e32 v16, v16, v27
	v_mul_lo_u32 v27, v28, s23
	v_mul_lo_u32 v32, v22, s22
	v_mul_hi_u32 v33, v22, v6
	v_add_nc_u32_e32 v35, 1, v28
	v_mul_lo_u32 v25, v26, s23
	v_sub_nc_u32_e32 v23, v23, v30
	v_mul_lo_u32 v30, v31, s23
	v_add_nc_u32_e32 v34, 1, v26
	v_sub_nc_u32_e32 v27, v24, v27
	v_sub_nc_u32_e32 v18, v18, v32
	v_mul_lo_u32 v32, v33, s23
	v_add_nc_u32_e32 v36, 1, v31
	v_sub_nc_u32_e32 v25, v12, v25
	v_cmp_le_u32_e64 s1, s23, v27
	v_sub_nc_u32_e32 v30, v21, v30
	v_add_nc_u32_e32 v37, 1, v33
	v_mul_lo_u32 v16, v16, s13
	v_cmp_le_u32_e64 s0, s23, v25
	v_sub_nc_u32_e32 v32, v22, v32
	v_cndmask_b32_e64 v28, v28, v35, s1
	v_subrev_nc_u32_e32 v35, s23, v27
	v_cmp_le_u32_e64 s2, s23, v30
	v_cndmask_b32_e64 v26, v26, v34, s0
	v_subrev_nc_u32_e32 v34, s23, v25
	v_cmp_le_u32_e64 s3, s23, v32
	v_cndmask_b32_e64 v27, v27, v35, s1
	v_cndmask_b32_e64 v31, v31, v36, s2
	v_subrev_nc_u32_e32 v36, s23, v30
	v_cndmask_b32_e64 v25, v25, v34, s0
	v_add_nc_u32_e32 v34, 1, v26
	v_cndmask_b32_e64 v33, v33, v37, s3
	v_subrev_nc_u32_e32 v37, s23, v32
	v_add_nc_u32_e32 v35, 1, v28
	v_cmp_le_u32_e64 s0, s23, v25
	v_cndmask_b32_e64 v30, v30, v36, s2
	v_add_nc_u32_e32 v36, 1, v31
	v_cndmask_b32_e64 v32, v32, v37, s3
	v_add_nc_u32_e32 v37, 1, v33
	v_cndmask_b32_e64 v25, v26, v34, s0
	v_cmp_le_u32_e64 s0, s23, v27
	v_mul_lo_u32 v18, v18, s13
	v_mul_lo_u32 v14, v14, s13
	;; [unrolled: 1-line block ×3, first 2 shown]
	v_add_nc_u32_e32 v2, s20, v2
	v_cndmask_b32_e64 v26, v28, v35, s0
	v_cmp_le_u32_e64 s0, s23, v30
	v_mul_lo_u32 v30, v25, s23
	v_mul_lo_u32 v25, v25, s11
	v_add_nc_u32_e32 v3, s20, v3
	v_add_nc_u32_e32 v7, s20, v7
	v_cndmask_b32_e64 v27, v31, v36, s0
	v_cmp_le_u32_e64 s0, s23, v32
	v_mul_lo_u32 v31, v26, s23
	v_mul_lo_u32 v26, v26, s11
	v_sub_nc_u32_e32 v12, v12, v30
	v_mul_lo_u32 v32, v27, s23
	v_cndmask_b32_e64 v28, v33, v37, s0
	v_mul_lo_u32 v27, v27, s11
	v_add3_u32 v14, v25, v29, v14
	v_mul_lo_u32 v12, v12, s12
	v_sub_nc_u32_e32 v24, v24, v31
	v_mul_lo_u32 v33, v28, s23
	v_mul_lo_u32 v28, v28, s11
	v_add3_u32 v16, v26, v20, v16
	v_sub_nc_u32_e32 v20, v21, v32
	v_add3_u32 v10, v27, v10, v23
	s_or_b32 s25, vcc_lo, s25
	v_add3_u32 v12, v14, v12, s17
	v_sub_nc_u32_e32 v21, v22, v33
	v_add3_u32 v11, v28, v11, v18
	v_mul_lo_u32 v18, v24, s12
	v_mul_lo_u32 v20, v20, s12
	;; [unrolled: 1-line block ×3, first 2 shown]
	v_add3_u32 v14, v16, v18, s17
	v_add3_u32 v16, v10, v20, s17
	v_add3_u32 v18, v11, v21, s17
	v_lshlrev_b64 v[10:11], 1, v[12:13]
	v_lshlrev_b64 v[12:13], 1, v[14:15]
	;; [unrolled: 1-line block ×4, first 2 shown]
	v_add_co_u32 v10, s0, s6, v10
	v_add_co_ci_u32_e64 v11, null, s7, v11, s0
	v_add_co_u32 v12, s0, s6, v12
	v_add_co_ci_u32_e64 v13, null, s7, v13, s0
	;; [unrolled: 2-line block ×4, first 2 shown]
	s_waitcnt vmcnt(0)
	global_store_short v[10:11], v8, off
	global_store_short_d16_hi v[12:13], v8, off
	global_store_short v[14:15], v9, off
	global_store_short_d16_hi v[16:17], v9, off
	s_andn2_b32 exec_lo, exec_lo, s25
	s_cbranch_execnz .LBB37_3
; %bb.4:
	s_or_b32 exec_lo, exec_lo, s25
.LBB37_5:
	s_or_b32 exec_lo, exec_lo, s19
	v_cmp_gt_u32_e32 vcc_lo, s16, v0
	s_and_b32 exec_lo, exec_lo, vcc_lo
	s_cbranch_execz .LBB37_8
; %bb.6:
	s_cmp_eq_u32 s15, 3
	s_cselect_b32 s2, s18, s10
	s_cmp_eq_u32 s15, 2
	v_cvt_f32_u32_e32 v1, s2
	s_cselect_b32 s3, s18, s9
	s_cmp_eq_u32 s15, 1
	v_cvt_f32_u32_e32 v2, s3
	s_cselect_b32 s8, s18, s8
	v_rcp_iflag_f32_e32 v1, v1
	v_cvt_f32_u32_e32 v3, s8
	s_sub_i32 s9, 0, s2
	v_rcp_iflag_f32_e32 v2, v2
	s_sub_i32 s0, 0, s3
	s_sub_i32 s1, 0, s8
	v_rcp_iflag_f32_e32 v3, v3
	v_mul_f32_e32 v1, 0x4f7ffffe, v1
	v_mul_f32_e32 v2, 0x4f7ffffe, v2
	v_cvt_u32_f32_e32 v4, v1
	v_mul_f32_e32 v3, 0x4f7ffffe, v3
	v_cvt_u32_f32_e32 v8, v2
	v_mov_b32_e32 v2, 0
	v_mul_lo_u32 v1, s9, v4
	v_cvt_u32_f32_e32 v3, v3
	v_mul_lo_u32 v5, s0, v8
	v_mul_lo_u32 v6, s1, v3
	v_mul_hi_u32 v7, v4, v1
	v_mov_b32_e32 v1, v2
	v_mul_hi_u32 v9, v8, v5
	v_mul_hi_u32 v10, v3, v6
	v_lshlrev_b64 v[5:6], 1, v[0:1]
	v_add_nc_u32_e32 v7, v4, v7
	v_add_nc_u32_e32 v8, v8, v9
	v_add_co_u32 v5, vcc_lo, s4, v5
	v_add_nc_u32_e32 v9, v3, v10
	v_mad_u64_u32 v[3:4], null, v0, v7, 0
	v_add_co_ci_u32_e64 v6, null, s5, v6, vcc_lo
	s_mov_b32 s4, 0
.LBB37_7:                               ; =>This Inner Loop Header: Depth=1
	global_load_ushort v12, v[5:6], off
	v_mul_lo_u32 v1, s2, v4
	v_not_b32_e32 v10, v4
	v_add_nc_u32_e32 v13, 1, v4
	v_add_co_u32 v3, vcc_lo, v3, v7
	v_mad_u64_u32 v[10:11], null, s2, v10, v[0:1]
	v_sub_nc_u32_e32 v1, v0, v1
	v_cmp_le_u32_e64 s0, s2, v1
	v_cndmask_b32_e64 v11, v4, v13, s0
	v_cndmask_b32_e64 v1, v1, v10, s0
	v_add_co_ci_u32_e64 v4, null, 0, v4, vcc_lo
	v_add_nc_u32_e32 v10, 1, v11
	v_cmp_le_u32_e64 s0, s2, v1
	v_cndmask_b32_e64 v1, v11, v10, s0
	v_mul_hi_u32 v10, v1, v8
	v_mul_lo_u32 v11, v10, s3
	v_add_nc_u32_e32 v13, 1, v10
	v_sub_nc_u32_e32 v11, v1, v11
	v_subrev_nc_u32_e32 v14, s3, v11
	v_cmp_le_u32_e64 s0, s3, v11
	v_cndmask_b32_e64 v10, v10, v13, s0
	v_cndmask_b32_e64 v11, v11, v14, s0
	v_add_nc_u32_e32 v13, 1, v10
	v_cmp_le_u32_e64 s0, s3, v11
	v_cndmask_b32_e64 v13, v10, v13, s0
	v_mad_u64_u32 v[10:11], null, s9, v1, v[0:1]
	v_add_nc_u32_e32 v0, 1, v0
	v_mul_hi_u32 v14, v13, v9
	v_mul_lo_u32 v15, v13, s3
	v_mul_lo_u32 v10, v10, s14
	;; [unrolled: 1-line block ×3, first 2 shown]
	v_add_nc_u32_e32 v16, 1, v14
	v_sub_nc_u32_e32 v1, v1, v15
	v_mul_lo_u32 v1, v1, s13
	v_sub_nc_u32_e32 v11, v13, v11
	v_subrev_nc_u32_e32 v17, s8, v11
	v_cmp_le_u32_e64 s0, s8, v11
	v_cndmask_b32_e64 v14, v14, v16, s0
	v_cndmask_b32_e64 v11, v11, v17, s0
	v_add_nc_u32_e32 v16, 1, v14
	v_cmp_le_u32_e64 s0, s8, v11
	v_cndmask_b32_e64 v11, v14, v16, s0
	v_add_co_u32 v5, s0, v5, 2
	v_add_co_ci_u32_e64 v6, null, 0, v6, s0
	v_mul_lo_u32 v14, v11, s8
	v_mul_lo_u32 v11, v11, s11
	v_cmp_le_u32_e64 s0, s16, v0
	s_or_b32 s4, s0, s4
	v_sub_nc_u32_e32 v13, v13, v14
	v_add3_u32 v1, v11, v10, v1
	v_mul_lo_u32 v13, v13, s12
	v_add3_u32 v1, v1, v13, s17
	v_lshlrev_b64 v[10:11], 1, v[1:2]
	v_add_co_u32 v10, s1, s6, v10
	v_add_co_ci_u32_e64 v11, null, s7, v11, s1
	s_waitcnt vmcnt(0)
	global_store_short v[10:11], v12, off
	s_andn2_b32 exec_lo, exec_lo, s4
	s_cbranch_execnz .LBB37_7
.LBB37_8:
	s_endpgm
	.section	.rodata,"a",@progbits
	.p2align	6, 0x0
	.amdhsa_kernel _ZN2at6native12_GLOBAL__N_135CatArrayBatchedCopy_alignedK_contigINS1_10OpaqueTypeILj2EEEjLi4ELi128ELi1ELi8EEEvPT_NS1_25CatArrInputTensorMetadataIS5_T0_XT2_EXT3_EEENS1_16TensorSizeStrideIS8_Lj4EEEiS8_
		.amdhsa_group_segment_fixed_size 0
		.amdhsa_private_segment_fixed_size 0
		.amdhsa_kernarg_size 3024
		.amdhsa_user_sgpr_count 6
		.amdhsa_user_sgpr_private_segment_buffer 1
		.amdhsa_user_sgpr_dispatch_ptr 0
		.amdhsa_user_sgpr_queue_ptr 0
		.amdhsa_user_sgpr_kernarg_segment_ptr 1
		.amdhsa_user_sgpr_dispatch_id 0
		.amdhsa_user_sgpr_flat_scratch_init 0
		.amdhsa_user_sgpr_private_segment_size 0
		.amdhsa_wavefront_size32 1
		.amdhsa_uses_dynamic_stack 0
		.amdhsa_system_sgpr_private_segment_wavefront_offset 0
		.amdhsa_system_sgpr_workgroup_id_x 1
		.amdhsa_system_sgpr_workgroup_id_y 1
		.amdhsa_system_sgpr_workgroup_id_z 0
		.amdhsa_system_sgpr_workgroup_info 0
		.amdhsa_system_vgpr_workitem_id 0
		.amdhsa_next_free_vgpr 38
		.amdhsa_next_free_sgpr 26
		.amdhsa_reserve_vcc 1
		.amdhsa_reserve_flat_scratch 0
		.amdhsa_float_round_mode_32 0
		.amdhsa_float_round_mode_16_64 0
		.amdhsa_float_denorm_mode_32 3
		.amdhsa_float_denorm_mode_16_64 3
		.amdhsa_dx10_clamp 1
		.amdhsa_ieee_mode 1
		.amdhsa_fp16_overflow 0
		.amdhsa_workgroup_processor_mode 1
		.amdhsa_memory_ordered 1
		.amdhsa_forward_progress 1
		.amdhsa_shared_vgpr_count 0
		.amdhsa_exception_fp_ieee_invalid_op 0
		.amdhsa_exception_fp_denorm_src 0
		.amdhsa_exception_fp_ieee_div_zero 0
		.amdhsa_exception_fp_ieee_overflow 0
		.amdhsa_exception_fp_ieee_underflow 0
		.amdhsa_exception_fp_ieee_inexact 0
		.amdhsa_exception_int_div_zero 0
	.end_amdhsa_kernel
	.section	.text._ZN2at6native12_GLOBAL__N_135CatArrayBatchedCopy_alignedK_contigINS1_10OpaqueTypeILj2EEEjLi4ELi128ELi1ELi8EEEvPT_NS1_25CatArrInputTensorMetadataIS5_T0_XT2_EXT3_EEENS1_16TensorSizeStrideIS8_Lj4EEEiS8_,"axG",@progbits,_ZN2at6native12_GLOBAL__N_135CatArrayBatchedCopy_alignedK_contigINS1_10OpaqueTypeILj2EEEjLi4ELi128ELi1ELi8EEEvPT_NS1_25CatArrInputTensorMetadataIS5_T0_XT2_EXT3_EEENS1_16TensorSizeStrideIS8_Lj4EEEiS8_,comdat
.Lfunc_end37:
	.size	_ZN2at6native12_GLOBAL__N_135CatArrayBatchedCopy_alignedK_contigINS1_10OpaqueTypeILj2EEEjLi4ELi128ELi1ELi8EEEvPT_NS1_25CatArrInputTensorMetadataIS5_T0_XT2_EXT3_EEENS1_16TensorSizeStrideIS8_Lj4EEEiS8_, .Lfunc_end37-_ZN2at6native12_GLOBAL__N_135CatArrayBatchedCopy_alignedK_contigINS1_10OpaqueTypeILj2EEEjLi4ELi128ELi1ELi8EEEvPT_NS1_25CatArrInputTensorMetadataIS5_T0_XT2_EXT3_EEENS1_16TensorSizeStrideIS8_Lj4EEEiS8_
                                        ; -- End function
	.set _ZN2at6native12_GLOBAL__N_135CatArrayBatchedCopy_alignedK_contigINS1_10OpaqueTypeILj2EEEjLi4ELi128ELi1ELi8EEEvPT_NS1_25CatArrInputTensorMetadataIS5_T0_XT2_EXT3_EEENS1_16TensorSizeStrideIS8_Lj4EEEiS8_.num_vgpr, 38
	.set _ZN2at6native12_GLOBAL__N_135CatArrayBatchedCopy_alignedK_contigINS1_10OpaqueTypeILj2EEEjLi4ELi128ELi1ELi8EEEvPT_NS1_25CatArrInputTensorMetadataIS5_T0_XT2_EXT3_EEENS1_16TensorSizeStrideIS8_Lj4EEEiS8_.num_agpr, 0
	.set _ZN2at6native12_GLOBAL__N_135CatArrayBatchedCopy_alignedK_contigINS1_10OpaqueTypeILj2EEEjLi4ELi128ELi1ELi8EEEvPT_NS1_25CatArrInputTensorMetadataIS5_T0_XT2_EXT3_EEENS1_16TensorSizeStrideIS8_Lj4EEEiS8_.numbered_sgpr, 26
	.set _ZN2at6native12_GLOBAL__N_135CatArrayBatchedCopy_alignedK_contigINS1_10OpaqueTypeILj2EEEjLi4ELi128ELi1ELi8EEEvPT_NS1_25CatArrInputTensorMetadataIS5_T0_XT2_EXT3_EEENS1_16TensorSizeStrideIS8_Lj4EEEiS8_.num_named_barrier, 0
	.set _ZN2at6native12_GLOBAL__N_135CatArrayBatchedCopy_alignedK_contigINS1_10OpaqueTypeILj2EEEjLi4ELi128ELi1ELi8EEEvPT_NS1_25CatArrInputTensorMetadataIS5_T0_XT2_EXT3_EEENS1_16TensorSizeStrideIS8_Lj4EEEiS8_.private_seg_size, 0
	.set _ZN2at6native12_GLOBAL__N_135CatArrayBatchedCopy_alignedK_contigINS1_10OpaqueTypeILj2EEEjLi4ELi128ELi1ELi8EEEvPT_NS1_25CatArrInputTensorMetadataIS5_T0_XT2_EXT3_EEENS1_16TensorSizeStrideIS8_Lj4EEEiS8_.uses_vcc, 1
	.set _ZN2at6native12_GLOBAL__N_135CatArrayBatchedCopy_alignedK_contigINS1_10OpaqueTypeILj2EEEjLi4ELi128ELi1ELi8EEEvPT_NS1_25CatArrInputTensorMetadataIS5_T0_XT2_EXT3_EEENS1_16TensorSizeStrideIS8_Lj4EEEiS8_.uses_flat_scratch, 0
	.set _ZN2at6native12_GLOBAL__N_135CatArrayBatchedCopy_alignedK_contigINS1_10OpaqueTypeILj2EEEjLi4ELi128ELi1ELi8EEEvPT_NS1_25CatArrInputTensorMetadataIS5_T0_XT2_EXT3_EEENS1_16TensorSizeStrideIS8_Lj4EEEiS8_.has_dyn_sized_stack, 0
	.set _ZN2at6native12_GLOBAL__N_135CatArrayBatchedCopy_alignedK_contigINS1_10OpaqueTypeILj2EEEjLi4ELi128ELi1ELi8EEEvPT_NS1_25CatArrInputTensorMetadataIS5_T0_XT2_EXT3_EEENS1_16TensorSizeStrideIS8_Lj4EEEiS8_.has_recursion, 0
	.set _ZN2at6native12_GLOBAL__N_135CatArrayBatchedCopy_alignedK_contigINS1_10OpaqueTypeILj2EEEjLi4ELi128ELi1ELi8EEEvPT_NS1_25CatArrInputTensorMetadataIS5_T0_XT2_EXT3_EEENS1_16TensorSizeStrideIS8_Lj4EEEiS8_.has_indirect_call, 0
	.section	.AMDGPU.csdata,"",@progbits
; Kernel info:
; codeLenInByte = 2444
; TotalNumSgprs: 28
; NumVgprs: 38
; ScratchSize: 0
; MemoryBound: 0
; FloatMode: 240
; IeeeMode: 1
; LDSByteSize: 0 bytes/workgroup (compile time only)
; SGPRBlocks: 0
; VGPRBlocks: 4
; NumSGPRsForWavesPerEU: 28
; NumVGPRsForWavesPerEU: 38
; Occupancy: 16
; WaveLimiterHint : 1
; COMPUTE_PGM_RSRC2:SCRATCH_EN: 0
; COMPUTE_PGM_RSRC2:USER_SGPR: 6
; COMPUTE_PGM_RSRC2:TRAP_HANDLER: 0
; COMPUTE_PGM_RSRC2:TGID_X_EN: 1
; COMPUTE_PGM_RSRC2:TGID_Y_EN: 1
; COMPUTE_PGM_RSRC2:TGID_Z_EN: 0
; COMPUTE_PGM_RSRC2:TIDIG_COMP_CNT: 0
	.section	.text._ZN2at6native12_GLOBAL__N_126CatArrayBatchedCopy_contigINS1_10OpaqueTypeILj2EEEjLi4ELi128ELi1EEEvPT_NS1_25CatArrInputTensorMetadataIS5_T0_XT2_EXT3_EEENS1_16TensorSizeStrideIS8_Lj4EEEiS8_,"axG",@progbits,_ZN2at6native12_GLOBAL__N_126CatArrayBatchedCopy_contigINS1_10OpaqueTypeILj2EEEjLi4ELi128ELi1EEEvPT_NS1_25CatArrInputTensorMetadataIS5_T0_XT2_EXT3_EEENS1_16TensorSizeStrideIS8_Lj4EEEiS8_,comdat
	.globl	_ZN2at6native12_GLOBAL__N_126CatArrayBatchedCopy_contigINS1_10OpaqueTypeILj2EEEjLi4ELi128ELi1EEEvPT_NS1_25CatArrInputTensorMetadataIS5_T0_XT2_EXT3_EEENS1_16TensorSizeStrideIS8_Lj4EEEiS8_ ; -- Begin function _ZN2at6native12_GLOBAL__N_126CatArrayBatchedCopy_contigINS1_10OpaqueTypeILj2EEEjLi4ELi128ELi1EEEvPT_NS1_25CatArrInputTensorMetadataIS5_T0_XT2_EXT3_EEENS1_16TensorSizeStrideIS8_Lj4EEEiS8_
	.p2align	8
	.type	_ZN2at6native12_GLOBAL__N_126CatArrayBatchedCopy_contigINS1_10OpaqueTypeILj2EEEjLi4ELi128ELi1EEEvPT_NS1_25CatArrInputTensorMetadataIS5_T0_XT2_EXT3_EEENS1_16TensorSizeStrideIS8_Lj4EEEiS8_,@function
_ZN2at6native12_GLOBAL__N_126CatArrayBatchedCopy_contigINS1_10OpaqueTypeILj2EEEjLi4ELi128ELi1EEEvPT_NS1_25CatArrInputTensorMetadataIS5_T0_XT2_EXT3_EEENS1_16TensorSizeStrideIS8_Lj4EEEiS8_: ; @_ZN2at6native12_GLOBAL__N_126CatArrayBatchedCopy_contigINS1_10OpaqueTypeILj2EEEjLi4ELi128ELi1EEEvPT_NS1_25CatArrInputTensorMetadataIS5_T0_XT2_EXT3_EEENS1_16TensorSizeStrideIS8_Lj4EEEiS8_
; %bb.0:
	s_mov_b32 s0, s7
	s_load_dword s7, s[4:5], 0xadc
	s_mov_b32 s1, 0
	s_add_u32 s8, s4, 0xad0
	s_addc_u32 s9, s5, 0
	s_lshl_b64 s[2:3], s[0:1], 2
	s_mov_b32 s11, exec_lo
	s_waitcnt lgkmcnt(0)
	s_and_b32 s0, s7, 0xffff
	s_add_u32 s12, s4, s2
	s_addc_u32 s13, s5, s3
	v_mad_u64_u32 v[0:1], null, s6, s0, v[0:1]
	s_load_dword s10, s[12:13], 0x808
	s_add_u32 s6, s12, 8
	s_addc_u32 s7, s13, 0
	s_waitcnt lgkmcnt(0)
	v_cmpx_gt_u32_e64 s10, v0
	s_cbranch_execz .LBB38_3
; %bb.1:
	s_add_u32 s20, s6, s2
	s_addc_u32 s21, s7, s3
	s_sub_u32 s2, 0, s2
	s_subb_u32 s3, 0, s3
	s_load_dwordx2 s[14:15], s[4:5], 0xac8
	s_add_u32 s22, s20, s2
	s_addc_u32 s23, s21, s3
	s_clause 0x1
	s_load_dwordx4 s[16:19], s[4:5], 0xaac
	s_load_dword s2, s[22:23], 0x600
	s_waitcnt lgkmcnt(0)
	s_cmp_eq_u32 s14, 3
	s_cselect_b32 s11, s2, s18
	s_cmp_eq_u32 s14, 2
	v_cvt_f32_u32_e32 v1, s11
	s_cselect_b32 s12, s2, s17
	s_cmp_eq_u32 s14, 1
	v_cvt_f32_u32_e32 v2, s12
	s_cselect_b32 s13, s2, s16
	v_rcp_iflag_f32_e32 v1, v1
	v_cvt_f32_u32_e32 v3, s13
	s_load_dwordx2 s[2:3], s[4:5], 0x0
	v_rcp_iflag_f32_e32 v2, v2
	s_clause 0x1
	s_load_dwordx4 s[4:7], s[4:5], 0xab8
	s_load_dword s16, s[22:23], 0x400
	s_load_dword s17, s[8:9], 0x0
	v_rcp_iflag_f32_e32 v3, v3
	s_sub_i32 s14, 0, s11
	s_sub_i32 s8, 0, s12
	;; [unrolled: 1-line block ×3, first 2 shown]
	v_mul_f32_e32 v1, 0x4f7ffffe, v1
	v_mul_f32_e32 v2, 0x4f7ffffe, v2
	v_cvt_u32_f32_e32 v1, v1
	v_mul_f32_e32 v3, 0x4f7ffffe, v3
	v_cvt_u32_f32_e32 v4, v2
	v_mul_lo_u32 v2, s14, v1
	v_cvt_u32_f32_e32 v5, v3
	v_mul_lo_u32 v3, s8, v4
	s_waitcnt lgkmcnt(0)
	s_mul_i32 s15, s16, s15
	s_mul_i32 s16, s17, s0
	v_mul_lo_u32 v6, s9, v5
	s_load_dwordx2 s[8:9], s[20:21], 0x0
	v_mul_hi_u32 v2, v1, v2
	v_mul_hi_u32 v3, v4, v3
	;; [unrolled: 1-line block ×3, first 2 shown]
	v_add_nc_u32_e32 v2, v1, v2
	v_mov_b32_e32 v1, 0
	v_add_nc_u32_e32 v3, v4, v3
	v_add_nc_u32_e32 v4, v5, v6
.LBB38_2:                               ; =>This Inner Loop Header: Depth=1
	v_lshlrev_b64 v[5:6], 1, v[0:1]
	v_mul_hi_u32 v8, v2, v0
	s_waitcnt lgkmcnt(0)
	v_add_co_u32 v5, vcc_lo, s8, v5
	v_add_co_ci_u32_e64 v6, null, s9, v6, vcc_lo
	v_mul_lo_u32 v9, s11, v8
	v_add_nc_u32_e32 v10, 1, v8
	global_load_ushort v7, v[5:6], off
	v_not_b32_e32 v5, v8
	v_mad_u64_u32 v[5:6], null, s11, v5, v[0:1]
	v_sub_nc_u32_e32 v6, v0, v9
	v_cmp_le_u32_e32 vcc_lo, s11, v6
	v_cndmask_b32_e32 v8, v8, v10, vcc_lo
	v_cndmask_b32_e32 v5, v6, v5, vcc_lo
	v_add_nc_u32_e32 v6, 1, v8
	v_cmp_le_u32_e32 vcc_lo, s11, v5
	v_cndmask_b32_e32 v8, v8, v6, vcc_lo
	v_mul_hi_u32 v5, v8, v3
	v_mul_lo_u32 v6, v5, s12
	v_add_nc_u32_e32 v9, 1, v5
	v_sub_nc_u32_e32 v6, v8, v6
	v_subrev_nc_u32_e32 v10, s12, v6
	v_cmp_le_u32_e32 vcc_lo, s12, v6
	v_cndmask_b32_e32 v5, v5, v9, vcc_lo
	v_cndmask_b32_e32 v6, v6, v10, vcc_lo
	v_add_nc_u32_e32 v9, 1, v5
	v_cmp_le_u32_e32 vcc_lo, s12, v6
	v_cndmask_b32_e32 v9, v5, v9, vcc_lo
	v_mul_hi_u32 v5, v9, v4
	v_mul_lo_u32 v6, v5, s13
	v_add_nc_u32_e32 v10, 1, v5
	v_sub_nc_u32_e32 v6, v9, v6
	v_subrev_nc_u32_e32 v11, s13, v6
	v_cmp_le_u32_e32 vcc_lo, s13, v6
	v_cndmask_b32_e32 v10, v5, v10, vcc_lo
	v_cndmask_b32_e32 v11, v6, v11, vcc_lo
	v_mad_u64_u32 v[5:6], null, s14, v8, v[0:1]
	v_add_nc_u32_e32 v0, s16, v0
	v_add_nc_u32_e32 v12, 1, v10
	v_cmp_le_u32_e32 vcc_lo, s13, v11
	v_mul_lo_u32 v5, v5, s7
	v_cndmask_b32_e32 v6, v10, v12, vcc_lo
	v_mul_lo_u32 v10, v9, s12
	v_cmp_le_u32_e32 vcc_lo, s10, v0
	v_mul_lo_u32 v11, v6, s13
	v_mul_lo_u32 v6, v6, s4
	s_or_b32 s1, vcc_lo, s1
	v_sub_nc_u32_e32 v8, v8, v10
	v_sub_nc_u32_e32 v9, v9, v11
	v_mul_lo_u32 v8, v8, s6
	v_add3_u32 v5, v5, s15, v6
	v_mov_b32_e32 v6, v1
	v_mul_lo_u32 v9, v9, s5
	v_add3_u32 v5, v5, v8, v9
	v_lshlrev_b64 v[5:6], 1, v[5:6]
	v_add_co_u32 v5, s0, s2, v5
	v_add_co_ci_u32_e64 v6, null, s3, v6, s0
	s_waitcnt vmcnt(0)
	global_store_short v[5:6], v7, off
	s_andn2_b32 exec_lo, exec_lo, s1
	s_cbranch_execnz .LBB38_2
.LBB38_3:
	s_endpgm
	.section	.rodata,"a",@progbits
	.p2align	6, 0x0
	.amdhsa_kernel _ZN2at6native12_GLOBAL__N_126CatArrayBatchedCopy_contigINS1_10OpaqueTypeILj2EEEjLi4ELi128ELi1EEEvPT_NS1_25CatArrInputTensorMetadataIS5_T0_XT2_EXT3_EEENS1_16TensorSizeStrideIS8_Lj4EEEiS8_
		.amdhsa_group_segment_fixed_size 0
		.amdhsa_private_segment_fixed_size 0
		.amdhsa_kernarg_size 3024
		.amdhsa_user_sgpr_count 6
		.amdhsa_user_sgpr_private_segment_buffer 1
		.amdhsa_user_sgpr_dispatch_ptr 0
		.amdhsa_user_sgpr_queue_ptr 0
		.amdhsa_user_sgpr_kernarg_segment_ptr 1
		.amdhsa_user_sgpr_dispatch_id 0
		.amdhsa_user_sgpr_flat_scratch_init 0
		.amdhsa_user_sgpr_private_segment_size 0
		.amdhsa_wavefront_size32 1
		.amdhsa_uses_dynamic_stack 0
		.amdhsa_system_sgpr_private_segment_wavefront_offset 0
		.amdhsa_system_sgpr_workgroup_id_x 1
		.amdhsa_system_sgpr_workgroup_id_y 1
		.amdhsa_system_sgpr_workgroup_id_z 0
		.amdhsa_system_sgpr_workgroup_info 0
		.amdhsa_system_vgpr_workitem_id 0
		.amdhsa_next_free_vgpr 13
		.amdhsa_next_free_sgpr 24
		.amdhsa_reserve_vcc 1
		.amdhsa_reserve_flat_scratch 0
		.amdhsa_float_round_mode_32 0
		.amdhsa_float_round_mode_16_64 0
		.amdhsa_float_denorm_mode_32 3
		.amdhsa_float_denorm_mode_16_64 3
		.amdhsa_dx10_clamp 1
		.amdhsa_ieee_mode 1
		.amdhsa_fp16_overflow 0
		.amdhsa_workgroup_processor_mode 1
		.amdhsa_memory_ordered 1
		.amdhsa_forward_progress 1
		.amdhsa_shared_vgpr_count 0
		.amdhsa_exception_fp_ieee_invalid_op 0
		.amdhsa_exception_fp_denorm_src 0
		.amdhsa_exception_fp_ieee_div_zero 0
		.amdhsa_exception_fp_ieee_overflow 0
		.amdhsa_exception_fp_ieee_underflow 0
		.amdhsa_exception_fp_ieee_inexact 0
		.amdhsa_exception_int_div_zero 0
	.end_amdhsa_kernel
	.section	.text._ZN2at6native12_GLOBAL__N_126CatArrayBatchedCopy_contigINS1_10OpaqueTypeILj2EEEjLi4ELi128ELi1EEEvPT_NS1_25CatArrInputTensorMetadataIS5_T0_XT2_EXT3_EEENS1_16TensorSizeStrideIS8_Lj4EEEiS8_,"axG",@progbits,_ZN2at6native12_GLOBAL__N_126CatArrayBatchedCopy_contigINS1_10OpaqueTypeILj2EEEjLi4ELi128ELi1EEEvPT_NS1_25CatArrInputTensorMetadataIS5_T0_XT2_EXT3_EEENS1_16TensorSizeStrideIS8_Lj4EEEiS8_,comdat
.Lfunc_end38:
	.size	_ZN2at6native12_GLOBAL__N_126CatArrayBatchedCopy_contigINS1_10OpaqueTypeILj2EEEjLi4ELi128ELi1EEEvPT_NS1_25CatArrInputTensorMetadataIS5_T0_XT2_EXT3_EEENS1_16TensorSizeStrideIS8_Lj4EEEiS8_, .Lfunc_end38-_ZN2at6native12_GLOBAL__N_126CatArrayBatchedCopy_contigINS1_10OpaqueTypeILj2EEEjLi4ELi128ELi1EEEvPT_NS1_25CatArrInputTensorMetadataIS5_T0_XT2_EXT3_EEENS1_16TensorSizeStrideIS8_Lj4EEEiS8_
                                        ; -- End function
	.set _ZN2at6native12_GLOBAL__N_126CatArrayBatchedCopy_contigINS1_10OpaqueTypeILj2EEEjLi4ELi128ELi1EEEvPT_NS1_25CatArrInputTensorMetadataIS5_T0_XT2_EXT3_EEENS1_16TensorSizeStrideIS8_Lj4EEEiS8_.num_vgpr, 13
	.set _ZN2at6native12_GLOBAL__N_126CatArrayBatchedCopy_contigINS1_10OpaqueTypeILj2EEEjLi4ELi128ELi1EEEvPT_NS1_25CatArrInputTensorMetadataIS5_T0_XT2_EXT3_EEENS1_16TensorSizeStrideIS8_Lj4EEEiS8_.num_agpr, 0
	.set _ZN2at6native12_GLOBAL__N_126CatArrayBatchedCopy_contigINS1_10OpaqueTypeILj2EEEjLi4ELi128ELi1EEEvPT_NS1_25CatArrInputTensorMetadataIS5_T0_XT2_EXT3_EEENS1_16TensorSizeStrideIS8_Lj4EEEiS8_.numbered_sgpr, 24
	.set _ZN2at6native12_GLOBAL__N_126CatArrayBatchedCopy_contigINS1_10OpaqueTypeILj2EEEjLi4ELi128ELi1EEEvPT_NS1_25CatArrInputTensorMetadataIS5_T0_XT2_EXT3_EEENS1_16TensorSizeStrideIS8_Lj4EEEiS8_.num_named_barrier, 0
	.set _ZN2at6native12_GLOBAL__N_126CatArrayBatchedCopy_contigINS1_10OpaqueTypeILj2EEEjLi4ELi128ELi1EEEvPT_NS1_25CatArrInputTensorMetadataIS5_T0_XT2_EXT3_EEENS1_16TensorSizeStrideIS8_Lj4EEEiS8_.private_seg_size, 0
	.set _ZN2at6native12_GLOBAL__N_126CatArrayBatchedCopy_contigINS1_10OpaqueTypeILj2EEEjLi4ELi128ELi1EEEvPT_NS1_25CatArrInputTensorMetadataIS5_T0_XT2_EXT3_EEENS1_16TensorSizeStrideIS8_Lj4EEEiS8_.uses_vcc, 1
	.set _ZN2at6native12_GLOBAL__N_126CatArrayBatchedCopy_contigINS1_10OpaqueTypeILj2EEEjLi4ELi128ELi1EEEvPT_NS1_25CatArrInputTensorMetadataIS5_T0_XT2_EXT3_EEENS1_16TensorSizeStrideIS8_Lj4EEEiS8_.uses_flat_scratch, 0
	.set _ZN2at6native12_GLOBAL__N_126CatArrayBatchedCopy_contigINS1_10OpaqueTypeILj2EEEjLi4ELi128ELi1EEEvPT_NS1_25CatArrInputTensorMetadataIS5_T0_XT2_EXT3_EEENS1_16TensorSizeStrideIS8_Lj4EEEiS8_.has_dyn_sized_stack, 0
	.set _ZN2at6native12_GLOBAL__N_126CatArrayBatchedCopy_contigINS1_10OpaqueTypeILj2EEEjLi4ELi128ELi1EEEvPT_NS1_25CatArrInputTensorMetadataIS5_T0_XT2_EXT3_EEENS1_16TensorSizeStrideIS8_Lj4EEEiS8_.has_recursion, 0
	.set _ZN2at6native12_GLOBAL__N_126CatArrayBatchedCopy_contigINS1_10OpaqueTypeILj2EEEjLi4ELi128ELi1EEEvPT_NS1_25CatArrInputTensorMetadataIS5_T0_XT2_EXT3_EEENS1_16TensorSizeStrideIS8_Lj4EEEiS8_.has_indirect_call, 0
	.section	.AMDGPU.csdata,"",@progbits
; Kernel info:
; codeLenInByte = 712
; TotalNumSgprs: 26
; NumVgprs: 13
; ScratchSize: 0
; MemoryBound: 0
; FloatMode: 240
; IeeeMode: 1
; LDSByteSize: 0 bytes/workgroup (compile time only)
; SGPRBlocks: 0
; VGPRBlocks: 1
; NumSGPRsForWavesPerEU: 26
; NumVGPRsForWavesPerEU: 13
; Occupancy: 16
; WaveLimiterHint : 1
; COMPUTE_PGM_RSRC2:SCRATCH_EN: 0
; COMPUTE_PGM_RSRC2:USER_SGPR: 6
; COMPUTE_PGM_RSRC2:TRAP_HANDLER: 0
; COMPUTE_PGM_RSRC2:TGID_X_EN: 1
; COMPUTE_PGM_RSRC2:TGID_Y_EN: 1
; COMPUTE_PGM_RSRC2:TGID_Z_EN: 0
; COMPUTE_PGM_RSRC2:TIDIG_COMP_CNT: 0
	.section	.text._ZN2at6native12_GLOBAL__N_119CatArrayBatchedCopyINS1_10OpaqueTypeILj2EEEjLi4ELi128ELi1EEEvPT_NS1_25CatArrInputTensorMetadataIS5_T0_XT2_EXT3_EEENS1_16TensorSizeStrideIS8_Lj4EEEiS8_,"axG",@progbits,_ZN2at6native12_GLOBAL__N_119CatArrayBatchedCopyINS1_10OpaqueTypeILj2EEEjLi4ELi128ELi1EEEvPT_NS1_25CatArrInputTensorMetadataIS5_T0_XT2_EXT3_EEENS1_16TensorSizeStrideIS8_Lj4EEEiS8_,comdat
	.globl	_ZN2at6native12_GLOBAL__N_119CatArrayBatchedCopyINS1_10OpaqueTypeILj2EEEjLi4ELi128ELi1EEEvPT_NS1_25CatArrInputTensorMetadataIS5_T0_XT2_EXT3_EEENS1_16TensorSizeStrideIS8_Lj4EEEiS8_ ; -- Begin function _ZN2at6native12_GLOBAL__N_119CatArrayBatchedCopyINS1_10OpaqueTypeILj2EEEjLi4ELi128ELi1EEEvPT_NS1_25CatArrInputTensorMetadataIS5_T0_XT2_EXT3_EEENS1_16TensorSizeStrideIS8_Lj4EEEiS8_
	.p2align	8
	.type	_ZN2at6native12_GLOBAL__N_119CatArrayBatchedCopyINS1_10OpaqueTypeILj2EEEjLi4ELi128ELi1EEEvPT_NS1_25CatArrInputTensorMetadataIS5_T0_XT2_EXT3_EEENS1_16TensorSizeStrideIS8_Lj4EEEiS8_,@function
_ZN2at6native12_GLOBAL__N_119CatArrayBatchedCopyINS1_10OpaqueTypeILj2EEEjLi4ELi128ELi1EEEvPT_NS1_25CatArrInputTensorMetadataIS5_T0_XT2_EXT3_EEENS1_16TensorSizeStrideIS8_Lj4EEEiS8_: ; @_ZN2at6native12_GLOBAL__N_119CatArrayBatchedCopyINS1_10OpaqueTypeILj2EEEjLi4ELi128ELi1EEEvPT_NS1_25CatArrInputTensorMetadataIS5_T0_XT2_EXT3_EEENS1_16TensorSizeStrideIS8_Lj4EEEiS8_
; %bb.0:
	s_mov_b32 s0, s7
	s_load_dword s7, s[4:5], 0xadc
	s_or_b32 s8, s4, 8
	s_mov_b32 s1, 0
	s_add_u32 s16, s4, 0xad0
	s_addc_u32 s17, s5, 0
	s_lshl_b64 s[2:3], s[0:1], 2
	s_waitcnt lgkmcnt(0)
	s_and_b32 s25, s7, 0xffff
	s_add_u32 s10, s8, s2
	s_addc_u32 s11, s5, s3
	v_mad_u64_u32 v[0:1], null, s6, s25, v[0:1]
	s_load_dword s18, s[10:11], 0x800
	s_mov_b32 s6, exec_lo
	s_waitcnt lgkmcnt(0)
	v_cmpx_gt_u32_e64 s18, v0
	s_cbranch_execz .LBB39_5
; %bb.1:
	v_mov_b32_e32 v1, 0x800
	s_add_u32 s6, s8, s0
	s_addc_u32 s7, s5, 0
	s_mov_b32 s9, s5
	s_load_dwordx2 s[14:15], s[4:5], 0xac8
	global_load_ubyte v1, v1, s[6:7] offset:512
	s_waitcnt vmcnt(0)
	v_and_b32_e32 v1, 1, v1
	v_cmp_eq_u32_e32 vcc_lo, 1, v1
	s_xor_b32 s19, vcc_lo, -1
	s_add_u32 s12, s10, s2
	s_addc_u32 s13, s11, s3
	s_sub_u32 s0, 0, s2
	s_subb_u32 s2, 0, s3
	s_add_u32 s6, s12, s0
	s_addc_u32 s7, s13, s2
	s_clause 0x4
	s_load_dwordx4 s[28:31], s[4:5], 0xaac
	s_load_dword s0, s[6:7], 0x600
	s_load_dwordx4 s[36:39], s[4:5], 0xa8c
	s_load_dwordx2 s[2:3], s[4:5], 0x0
	s_load_dwordx4 s[8:11], s[8:9], 0xa90
	s_waitcnt lgkmcnt(0)
	s_cmp_eq_u32 s14, 3
	s_load_dword s27, s[16:17], 0x0
	s_load_dword s26, s[6:7], 0x400
	s_cselect_b32 s20, s0, s30
	s_cselect_b32 s21, s0, s38
	s_cmp_eq_u32 s14, 2
	v_cvt_f32_u32_e32 v1, s20
	s_cselect_b32 s16, s0, s29
	s_cselect_b32 s17, s0, s37
	s_cmp_eq_u32 s14, 1
	v_cvt_f32_u32_e32 v2, s21
	s_cselect_b32 s14, s0, s28
	s_cselect_b32 s22, s0, s36
	v_cvt_f32_u32_e32 v3, s16
	v_cvt_f32_u32_e32 v4, s17
	v_cvt_f32_u32_e32 v5, s14
	v_cvt_f32_u32_e32 v6, s22
	v_rcp_iflag_f32_e32 v1, v1
	v_rcp_iflag_f32_e32 v2, v2
	;; [unrolled: 1-line block ×6, first 2 shown]
	s_sub_i32 s23, 0, s20
	s_sub_i32 s0, 0, s16
	;; [unrolled: 1-line block ×4, first 2 shown]
	v_mul_f32_e32 v1, 0x4f7ffffe, v1
	v_mul_f32_e32 v2, 0x4f7ffffe, v2
	;; [unrolled: 1-line block ×6, first 2 shown]
	v_cvt_u32_f32_e32 v7, v1
	v_cvt_u32_f32_e32 v2, v2
	;; [unrolled: 1-line block ×6, first 2 shown]
	s_sub_i32 s7, 0, s14
	s_sub_i32 s28, 0, s22
	v_mul_lo_u32 v1, s23, v7
	v_mul_lo_u32 v4, s24, v2
	;; [unrolled: 1-line block ×6, first 2 shown]
	s_clause 0x1
	s_load_dwordx4 s[4:7], s[4:5], 0xab8
	s_load_dwordx2 s[12:13], s[12:13], 0x0
	s_waitcnt lgkmcnt(0)
	s_mul_i32 s15, s26, s15
	v_mul_hi_u32 v13, v7, v1
	v_mul_hi_u32 v14, v2, v4
	;; [unrolled: 1-line block ×6, first 2 shown]
	v_mov_b32_e32 v1, 0
	s_mul_i32 s25, s27, s25
	v_add_nc_u32_e32 v4, v7, v13
	v_add_nc_u32_e32 v5, v2, v14
	;; [unrolled: 1-line block ×6, first 2 shown]
	s_branch .LBB39_3
.LBB39_2:                               ;   in Loop: Header=BB39_3 Depth=1
	v_lshlrev_b64 v[2:3], 1, v[2:3]
	v_mul_hi_u32 v13, v4, v0
	v_add_co_u32 v2, vcc_lo, s12, v2
	v_add_co_ci_u32_e64 v3, null, s13, v3, vcc_lo
	v_not_b32_e32 v10, v13
	global_load_ushort v12, v[2:3], off
	v_mad_u64_u32 v[2:3], null, s23, v13, v[0:1]
	v_mad_u64_u32 v[10:11], null, s20, v10, v[0:1]
	v_add_nc_u32_e32 v3, 1, v13
	v_cmp_le_u32_e32 vcc_lo, s20, v2
	v_cndmask_b32_e32 v3, v13, v3, vcc_lo
	v_cndmask_b32_e32 v2, v2, v10, vcc_lo
	v_add_nc_u32_e32 v10, 1, v3
	v_cmp_le_u32_e32 vcc_lo, s20, v2
	v_cndmask_b32_e32 v10, v3, v10, vcc_lo
	v_mul_hi_u32 v2, v10, v6
	v_mul_lo_u32 v3, v2, s16
	v_add_nc_u32_e32 v11, 1, v2
	v_sub_nc_u32_e32 v3, v10, v3
	v_subrev_nc_u32_e32 v13, s16, v3
	v_cmp_le_u32_e32 vcc_lo, s16, v3
	v_cndmask_b32_e32 v2, v2, v11, vcc_lo
	v_cndmask_b32_e32 v3, v3, v13, vcc_lo
	v_add_nc_u32_e32 v11, 1, v2
	v_cmp_le_u32_e32 vcc_lo, s16, v3
	v_cndmask_b32_e32 v11, v2, v11, vcc_lo
	v_mul_hi_u32 v2, v11, v8
	v_mul_lo_u32 v3, v2, s14
	v_add_nc_u32_e32 v13, 1, v2
	v_sub_nc_u32_e32 v3, v11, v3
	v_subrev_nc_u32_e32 v14, s14, v3
	v_cmp_le_u32_e32 vcc_lo, s14, v3
	v_cndmask_b32_e32 v2, v2, v13, vcc_lo
	v_cndmask_b32_e32 v3, v3, v14, vcc_lo
	v_mul_lo_u32 v14, v11, s16
	v_add_nc_u32_e32 v13, 1, v2
	v_cmp_le_u32_e32 vcc_lo, s14, v3
	v_cndmask_b32_e32 v13, v2, v13, vcc_lo
	v_mad_u64_u32 v[2:3], null, s23, v10, v[0:1]
	v_sub_nc_u32_e32 v10, v10, v14
	v_add_nc_u32_e32 v0, s25, v0
	v_mul_lo_u32 v3, v13, s14
	v_mul_lo_u32 v10, v10, s6
	;; [unrolled: 1-line block ×3, first 2 shown]
	v_cmp_le_u32_e32 vcc_lo, s18, v0
	v_sub_nc_u32_e32 v3, v11, v3
	v_mul_lo_u32 v11, v13, s4
	s_or_b32 s1, vcc_lo, s1
	v_mul_lo_u32 v3, v3, s5
	v_add3_u32 v2, v11, v2, v10
	v_add3_u32 v2, v2, v3, s15
	v_mov_b32_e32 v3, v1
	v_lshlrev_b64 v[2:3], 1, v[2:3]
	v_add_co_u32 v2, s0, s2, v2
	v_add_co_ci_u32_e64 v3, null, s3, v3, s0
	s_waitcnt vmcnt(0)
	global_store_short v[2:3], v12, off
	s_andn2_b32 exec_lo, exec_lo, s1
	s_cbranch_execz .LBB39_5
.LBB39_3:                               ; =>This Inner Loop Header: Depth=1
	v_mov_b32_e32 v3, v1
	v_mov_b32_e32 v2, v0
	s_andn2_b32 vcc_lo, exec_lo, s19
	s_cbranch_vccnz .LBB39_2
; %bb.4:                                ;   in Loop: Header=BB39_3 Depth=1
	v_mul_hi_u32 v12, v5, v0
	v_not_b32_e32 v10, v12
	v_mad_u64_u32 v[2:3], null, s24, v12, v[0:1]
	v_add_nc_u32_e32 v3, 1, v12
	v_mad_u64_u32 v[10:11], null, s21, v10, v[0:1]
	v_cmp_le_u32_e32 vcc_lo, s21, v2
	v_cndmask_b32_e32 v3, v12, v3, vcc_lo
	v_cndmask_b32_e32 v2, v2, v10, vcc_lo
	v_add_nc_u32_e32 v10, 1, v3
	v_cmp_le_u32_e32 vcc_lo, s21, v2
	v_cndmask_b32_e32 v10, v3, v10, vcc_lo
	v_mul_hi_u32 v2, v10, v7
	v_mul_lo_u32 v3, v2, s17
	v_add_nc_u32_e32 v11, 1, v2
	v_sub_nc_u32_e32 v3, v10, v3
	v_subrev_nc_u32_e32 v12, s17, v3
	v_cmp_le_u32_e32 vcc_lo, s17, v3
	v_cndmask_b32_e32 v2, v2, v11, vcc_lo
	v_cndmask_b32_e32 v3, v3, v12, vcc_lo
	v_add_nc_u32_e32 v11, 1, v2
	v_cmp_le_u32_e32 vcc_lo, s17, v3
	v_cndmask_b32_e32 v11, v2, v11, vcc_lo
	v_mul_hi_u32 v2, v11, v9
	v_mul_lo_u32 v3, v2, s22
	v_add_nc_u32_e32 v12, 1, v2
	v_sub_nc_u32_e32 v3, v11, v3
	v_subrev_nc_u32_e32 v13, s22, v3
	v_cmp_le_u32_e32 vcc_lo, s22, v3
	v_cndmask_b32_e32 v2, v2, v12, vcc_lo
	v_cndmask_b32_e32 v3, v3, v13, vcc_lo
	v_add_nc_u32_e32 v12, 1, v2
	v_cmp_le_u32_e32 vcc_lo, s22, v3
	v_cndmask_b32_e32 v12, v2, v12, vcc_lo
	v_mad_u64_u32 v[2:3], null, s24, v10, v[0:1]
	v_mul_lo_u32 v3, v11, s17
	v_mul_lo_u32 v13, v12, s22
	;; [unrolled: 1-line block ×3, first 2 shown]
	v_sub_nc_u32_e32 v3, v10, v3
	v_sub_nc_u32_e32 v10, v11, v13
	v_mul_lo_u32 v11, v3, s10
	v_mad_u64_u32 v[2:3], null, v12, s8, v[2:3]
	v_mul_lo_u32 v3, v10, s9
	v_add3_u32 v2, v2, v11, v3
	v_mov_b32_e32 v3, v1
	s_branch .LBB39_2
.LBB39_5:
	s_endpgm
	.section	.rodata,"a",@progbits
	.p2align	6, 0x0
	.amdhsa_kernel _ZN2at6native12_GLOBAL__N_119CatArrayBatchedCopyINS1_10OpaqueTypeILj2EEEjLi4ELi128ELi1EEEvPT_NS1_25CatArrInputTensorMetadataIS5_T0_XT2_EXT3_EEENS1_16TensorSizeStrideIS8_Lj4EEEiS8_
		.amdhsa_group_segment_fixed_size 0
		.amdhsa_private_segment_fixed_size 0
		.amdhsa_kernarg_size 3024
		.amdhsa_user_sgpr_count 6
		.amdhsa_user_sgpr_private_segment_buffer 1
		.amdhsa_user_sgpr_dispatch_ptr 0
		.amdhsa_user_sgpr_queue_ptr 0
		.amdhsa_user_sgpr_kernarg_segment_ptr 1
		.amdhsa_user_sgpr_dispatch_id 0
		.amdhsa_user_sgpr_flat_scratch_init 0
		.amdhsa_user_sgpr_private_segment_size 0
		.amdhsa_wavefront_size32 1
		.amdhsa_uses_dynamic_stack 0
		.amdhsa_system_sgpr_private_segment_wavefront_offset 0
		.amdhsa_system_sgpr_workgroup_id_x 1
		.amdhsa_system_sgpr_workgroup_id_y 1
		.amdhsa_system_sgpr_workgroup_id_z 0
		.amdhsa_system_sgpr_workgroup_info 0
		.amdhsa_system_vgpr_workitem_id 0
		.amdhsa_next_free_vgpr 17
		.amdhsa_next_free_sgpr 40
		.amdhsa_reserve_vcc 1
		.amdhsa_reserve_flat_scratch 0
		.amdhsa_float_round_mode_32 0
		.amdhsa_float_round_mode_16_64 0
		.amdhsa_float_denorm_mode_32 3
		.amdhsa_float_denorm_mode_16_64 3
		.amdhsa_dx10_clamp 1
		.amdhsa_ieee_mode 1
		.amdhsa_fp16_overflow 0
		.amdhsa_workgroup_processor_mode 1
		.amdhsa_memory_ordered 1
		.amdhsa_forward_progress 1
		.amdhsa_shared_vgpr_count 0
		.amdhsa_exception_fp_ieee_invalid_op 0
		.amdhsa_exception_fp_denorm_src 0
		.amdhsa_exception_fp_ieee_div_zero 0
		.amdhsa_exception_fp_ieee_overflow 0
		.amdhsa_exception_fp_ieee_underflow 0
		.amdhsa_exception_fp_ieee_inexact 0
		.amdhsa_exception_int_div_zero 0
	.end_amdhsa_kernel
	.section	.text._ZN2at6native12_GLOBAL__N_119CatArrayBatchedCopyINS1_10OpaqueTypeILj2EEEjLi4ELi128ELi1EEEvPT_NS1_25CatArrInputTensorMetadataIS5_T0_XT2_EXT3_EEENS1_16TensorSizeStrideIS8_Lj4EEEiS8_,"axG",@progbits,_ZN2at6native12_GLOBAL__N_119CatArrayBatchedCopyINS1_10OpaqueTypeILj2EEEjLi4ELi128ELi1EEEvPT_NS1_25CatArrInputTensorMetadataIS5_T0_XT2_EXT3_EEENS1_16TensorSizeStrideIS8_Lj4EEEiS8_,comdat
.Lfunc_end39:
	.size	_ZN2at6native12_GLOBAL__N_119CatArrayBatchedCopyINS1_10OpaqueTypeILj2EEEjLi4ELi128ELi1EEEvPT_NS1_25CatArrInputTensorMetadataIS5_T0_XT2_EXT3_EEENS1_16TensorSizeStrideIS8_Lj4EEEiS8_, .Lfunc_end39-_ZN2at6native12_GLOBAL__N_119CatArrayBatchedCopyINS1_10OpaqueTypeILj2EEEjLi4ELi128ELi1EEEvPT_NS1_25CatArrInputTensorMetadataIS5_T0_XT2_EXT3_EEENS1_16TensorSizeStrideIS8_Lj4EEEiS8_
                                        ; -- End function
	.set _ZN2at6native12_GLOBAL__N_119CatArrayBatchedCopyINS1_10OpaqueTypeILj2EEEjLi4ELi128ELi1EEEvPT_NS1_25CatArrInputTensorMetadataIS5_T0_XT2_EXT3_EEENS1_16TensorSizeStrideIS8_Lj4EEEiS8_.num_vgpr, 17
	.set _ZN2at6native12_GLOBAL__N_119CatArrayBatchedCopyINS1_10OpaqueTypeILj2EEEjLi4ELi128ELi1EEEvPT_NS1_25CatArrInputTensorMetadataIS5_T0_XT2_EXT3_EEENS1_16TensorSizeStrideIS8_Lj4EEEiS8_.num_agpr, 0
	.set _ZN2at6native12_GLOBAL__N_119CatArrayBatchedCopyINS1_10OpaqueTypeILj2EEEjLi4ELi128ELi1EEEvPT_NS1_25CatArrInputTensorMetadataIS5_T0_XT2_EXT3_EEENS1_16TensorSizeStrideIS8_Lj4EEEiS8_.numbered_sgpr, 40
	.set _ZN2at6native12_GLOBAL__N_119CatArrayBatchedCopyINS1_10OpaqueTypeILj2EEEjLi4ELi128ELi1EEEvPT_NS1_25CatArrInputTensorMetadataIS5_T0_XT2_EXT3_EEENS1_16TensorSizeStrideIS8_Lj4EEEiS8_.num_named_barrier, 0
	.set _ZN2at6native12_GLOBAL__N_119CatArrayBatchedCopyINS1_10OpaqueTypeILj2EEEjLi4ELi128ELi1EEEvPT_NS1_25CatArrInputTensorMetadataIS5_T0_XT2_EXT3_EEENS1_16TensorSizeStrideIS8_Lj4EEEiS8_.private_seg_size, 0
	.set _ZN2at6native12_GLOBAL__N_119CatArrayBatchedCopyINS1_10OpaqueTypeILj2EEEjLi4ELi128ELi1EEEvPT_NS1_25CatArrInputTensorMetadataIS5_T0_XT2_EXT3_EEENS1_16TensorSizeStrideIS8_Lj4EEEiS8_.uses_vcc, 1
	.set _ZN2at6native12_GLOBAL__N_119CatArrayBatchedCopyINS1_10OpaqueTypeILj2EEEjLi4ELi128ELi1EEEvPT_NS1_25CatArrInputTensorMetadataIS5_T0_XT2_EXT3_EEENS1_16TensorSizeStrideIS8_Lj4EEEiS8_.uses_flat_scratch, 0
	.set _ZN2at6native12_GLOBAL__N_119CatArrayBatchedCopyINS1_10OpaqueTypeILj2EEEjLi4ELi128ELi1EEEvPT_NS1_25CatArrInputTensorMetadataIS5_T0_XT2_EXT3_EEENS1_16TensorSizeStrideIS8_Lj4EEEiS8_.has_dyn_sized_stack, 0
	.set _ZN2at6native12_GLOBAL__N_119CatArrayBatchedCopyINS1_10OpaqueTypeILj2EEEjLi4ELi128ELi1EEEvPT_NS1_25CatArrInputTensorMetadataIS5_T0_XT2_EXT3_EEENS1_16TensorSizeStrideIS8_Lj4EEEiS8_.has_recursion, 0
	.set _ZN2at6native12_GLOBAL__N_119CatArrayBatchedCopyINS1_10OpaqueTypeILj2EEEjLi4ELi128ELi1EEEvPT_NS1_25CatArrInputTensorMetadataIS5_T0_XT2_EXT3_EEENS1_16TensorSizeStrideIS8_Lj4EEEiS8_.has_indirect_call, 0
	.section	.AMDGPU.csdata,"",@progbits
; Kernel info:
; codeLenInByte = 1164
; TotalNumSgprs: 42
; NumVgprs: 17
; ScratchSize: 0
; MemoryBound: 0
; FloatMode: 240
; IeeeMode: 1
; LDSByteSize: 0 bytes/workgroup (compile time only)
; SGPRBlocks: 0
; VGPRBlocks: 2
; NumSGPRsForWavesPerEU: 42
; NumVGPRsForWavesPerEU: 17
; Occupancy: 16
; WaveLimiterHint : 1
; COMPUTE_PGM_RSRC2:SCRATCH_EN: 0
; COMPUTE_PGM_RSRC2:USER_SGPR: 6
; COMPUTE_PGM_RSRC2:TRAP_HANDLER: 0
; COMPUTE_PGM_RSRC2:TGID_X_EN: 1
; COMPUTE_PGM_RSRC2:TGID_Y_EN: 1
; COMPUTE_PGM_RSRC2:TGID_Z_EN: 0
; COMPUTE_PGM_RSRC2:TIDIG_COMP_CNT: 0
	.section	.text._ZN2at6native12_GLOBAL__N_130CatArrayBatchedCopy_vectorizedINS1_10OpaqueTypeILj4EEEjLi1ELi128ELi1ELi16ELi4EEEvPcNS1_25CatArrInputTensorMetadataIT_T0_XT2_EXT3_EEENS1_16TensorSizeStrideIS8_Lj4EEEiS8_,"axG",@progbits,_ZN2at6native12_GLOBAL__N_130CatArrayBatchedCopy_vectorizedINS1_10OpaqueTypeILj4EEEjLi1ELi128ELi1ELi16ELi4EEEvPcNS1_25CatArrInputTensorMetadataIT_T0_XT2_EXT3_EEENS1_16TensorSizeStrideIS8_Lj4EEEiS8_,comdat
	.globl	_ZN2at6native12_GLOBAL__N_130CatArrayBatchedCopy_vectorizedINS1_10OpaqueTypeILj4EEEjLi1ELi128ELi1ELi16ELi4EEEvPcNS1_25CatArrInputTensorMetadataIT_T0_XT2_EXT3_EEENS1_16TensorSizeStrideIS8_Lj4EEEiS8_ ; -- Begin function _ZN2at6native12_GLOBAL__N_130CatArrayBatchedCopy_vectorizedINS1_10OpaqueTypeILj4EEEjLi1ELi128ELi1ELi16ELi4EEEvPcNS1_25CatArrInputTensorMetadataIT_T0_XT2_EXT3_EEENS1_16TensorSizeStrideIS8_Lj4EEEiS8_
	.p2align	8
	.type	_ZN2at6native12_GLOBAL__N_130CatArrayBatchedCopy_vectorizedINS1_10OpaqueTypeILj4EEEjLi1ELi128ELi1ELi16ELi4EEEvPcNS1_25CatArrInputTensorMetadataIT_T0_XT2_EXT3_EEENS1_16TensorSizeStrideIS8_Lj4EEEiS8_,@function
_ZN2at6native12_GLOBAL__N_130CatArrayBatchedCopy_vectorizedINS1_10OpaqueTypeILj4EEEjLi1ELi128ELi1ELi16ELi4EEEvPcNS1_25CatArrInputTensorMetadataIT_T0_XT2_EXT3_EEENS1_16TensorSizeStrideIS8_Lj4EEEiS8_: ; @_ZN2at6native12_GLOBAL__N_130CatArrayBatchedCopy_vectorizedINS1_10OpaqueTypeILj4EEEjLi1ELi128ELi1ELi16ELi4EEEvPcNS1_25CatArrInputTensorMetadataIT_T0_XT2_EXT3_EEENS1_16TensorSizeStrideIS8_Lj4EEEiS8_
; %bb.0:
	s_mov_b32 s0, s7
	s_load_dword s7, s[4:5], 0xadc
	s_mov_b32 s1, 0
	s_add_u32 s8, s4, 0xad0
	s_addc_u32 s9, s5, 0
	s_lshl_b64 s[2:3], s[0:1], 2
	s_waitcnt lgkmcnt(0)
	s_and_b32 s7, s7, 0xffff
	s_add_u32 s10, s4, s2
	s_addc_u32 s11, s5, s3
	v_mad_u64_u32 v[0:1], null, s6, s7, v[0:1]
	s_load_dword s12, s[10:11], 0x808
	s_add_u32 s0, s10, 8
	s_addc_u32 s10, s11, 0
	s_mov_b32 s11, exec_lo
	s_waitcnt lgkmcnt(0)
	s_lshr_b32 s6, s12, 2
	v_cmpx_gt_u32_e64 s6, v0
	s_cbranch_execz .LBB40_3
; %bb.1:
	s_add_u32 s12, s0, s2
	s_addc_u32 s13, s10, s3
	s_sub_u32 s0, 0, s2
	s_subb_u32 s3, 0, s3
	s_add_u32 s2, s12, s0
	s_addc_u32 s3, s13, s3
	v_mov_b32_e32 v3, 0
	s_clause 0x3
	s_load_dword s0, s[2:3], 0x400
	s_load_dword s10, s[4:5], 0xacc
	s_load_dwordx2 s[2:3], s[12:13], 0x0
	s_load_dword s12, s[4:5], 0xab8
	s_load_dword s13, s[8:9], 0x0
	s_load_dwordx2 s[8:9], s[4:5], 0x0
	s_waitcnt lgkmcnt(0)
	s_mul_i32 s0, s0, s10
	v_mul_lo_u32 v2, s12, v0
	s_lshr_b32 s0, s0, 2
	s_mul_i32 s4, s13, s7
	s_lshl_b64 s[10:11], s[0:1], 4
	s_add_u32 s5, s8, s10
	s_addc_u32 s7, s9, s11
	s_mul_i32 s8, s4, s12
	.p2align	6
.LBB40_2:                               ; =>This Inner Loop Header: Depth=1
	v_mov_b32_e32 v1, v3
	v_lshlrev_b64 v[8:9], 4, v[2:3]
	v_add_nc_u32_e32 v2, s8, v2
	v_lshlrev_b64 v[4:5], 4, v[0:1]
	v_add_nc_u32_e32 v0, s4, v0
	v_cmp_le_u32_e64 s0, s6, v0
	v_add_co_u32 v4, vcc_lo, s2, v4
	v_add_co_ci_u32_e64 v5, null, s3, v5, vcc_lo
	v_add_co_u32 v8, vcc_lo, s5, v8
	v_add_co_ci_u32_e64 v9, null, s7, v9, vcc_lo
	global_load_dwordx4 v[4:7], v[4:5], off
	s_or_b32 s1, s0, s1
	s_waitcnt vmcnt(0)
	global_store_dwordx4 v[8:9], v[4:7], off
	s_andn2_b32 exec_lo, exec_lo, s1
	s_cbranch_execnz .LBB40_2
.LBB40_3:
	s_endpgm
	.section	.rodata,"a",@progbits
	.p2align	6, 0x0
	.amdhsa_kernel _ZN2at6native12_GLOBAL__N_130CatArrayBatchedCopy_vectorizedINS1_10OpaqueTypeILj4EEEjLi1ELi128ELi1ELi16ELi4EEEvPcNS1_25CatArrInputTensorMetadataIT_T0_XT2_EXT3_EEENS1_16TensorSizeStrideIS8_Lj4EEEiS8_
		.amdhsa_group_segment_fixed_size 0
		.amdhsa_private_segment_fixed_size 0
		.amdhsa_kernarg_size 3024
		.amdhsa_user_sgpr_count 6
		.amdhsa_user_sgpr_private_segment_buffer 1
		.amdhsa_user_sgpr_dispatch_ptr 0
		.amdhsa_user_sgpr_queue_ptr 0
		.amdhsa_user_sgpr_kernarg_segment_ptr 1
		.amdhsa_user_sgpr_dispatch_id 0
		.amdhsa_user_sgpr_flat_scratch_init 0
		.amdhsa_user_sgpr_private_segment_size 0
		.amdhsa_wavefront_size32 1
		.amdhsa_uses_dynamic_stack 0
		.amdhsa_system_sgpr_private_segment_wavefront_offset 0
		.amdhsa_system_sgpr_workgroup_id_x 1
		.amdhsa_system_sgpr_workgroup_id_y 1
		.amdhsa_system_sgpr_workgroup_id_z 0
		.amdhsa_system_sgpr_workgroup_info 0
		.amdhsa_system_vgpr_workitem_id 0
		.amdhsa_next_free_vgpr 10
		.amdhsa_next_free_sgpr 14
		.amdhsa_reserve_vcc 1
		.amdhsa_reserve_flat_scratch 0
		.amdhsa_float_round_mode_32 0
		.amdhsa_float_round_mode_16_64 0
		.amdhsa_float_denorm_mode_32 3
		.amdhsa_float_denorm_mode_16_64 3
		.amdhsa_dx10_clamp 1
		.amdhsa_ieee_mode 1
		.amdhsa_fp16_overflow 0
		.amdhsa_workgroup_processor_mode 1
		.amdhsa_memory_ordered 1
		.amdhsa_forward_progress 1
		.amdhsa_shared_vgpr_count 0
		.amdhsa_exception_fp_ieee_invalid_op 0
		.amdhsa_exception_fp_denorm_src 0
		.amdhsa_exception_fp_ieee_div_zero 0
		.amdhsa_exception_fp_ieee_overflow 0
		.amdhsa_exception_fp_ieee_underflow 0
		.amdhsa_exception_fp_ieee_inexact 0
		.amdhsa_exception_int_div_zero 0
	.end_amdhsa_kernel
	.section	.text._ZN2at6native12_GLOBAL__N_130CatArrayBatchedCopy_vectorizedINS1_10OpaqueTypeILj4EEEjLi1ELi128ELi1ELi16ELi4EEEvPcNS1_25CatArrInputTensorMetadataIT_T0_XT2_EXT3_EEENS1_16TensorSizeStrideIS8_Lj4EEEiS8_,"axG",@progbits,_ZN2at6native12_GLOBAL__N_130CatArrayBatchedCopy_vectorizedINS1_10OpaqueTypeILj4EEEjLi1ELi128ELi1ELi16ELi4EEEvPcNS1_25CatArrInputTensorMetadataIT_T0_XT2_EXT3_EEENS1_16TensorSizeStrideIS8_Lj4EEEiS8_,comdat
.Lfunc_end40:
	.size	_ZN2at6native12_GLOBAL__N_130CatArrayBatchedCopy_vectorizedINS1_10OpaqueTypeILj4EEEjLi1ELi128ELi1ELi16ELi4EEEvPcNS1_25CatArrInputTensorMetadataIT_T0_XT2_EXT3_EEENS1_16TensorSizeStrideIS8_Lj4EEEiS8_, .Lfunc_end40-_ZN2at6native12_GLOBAL__N_130CatArrayBatchedCopy_vectorizedINS1_10OpaqueTypeILj4EEEjLi1ELi128ELi1ELi16ELi4EEEvPcNS1_25CatArrInputTensorMetadataIT_T0_XT2_EXT3_EEENS1_16TensorSizeStrideIS8_Lj4EEEiS8_
                                        ; -- End function
	.set _ZN2at6native12_GLOBAL__N_130CatArrayBatchedCopy_vectorizedINS1_10OpaqueTypeILj4EEEjLi1ELi128ELi1ELi16ELi4EEEvPcNS1_25CatArrInputTensorMetadataIT_T0_XT2_EXT3_EEENS1_16TensorSizeStrideIS8_Lj4EEEiS8_.num_vgpr, 10
	.set _ZN2at6native12_GLOBAL__N_130CatArrayBatchedCopy_vectorizedINS1_10OpaqueTypeILj4EEEjLi1ELi128ELi1ELi16ELi4EEEvPcNS1_25CatArrInputTensorMetadataIT_T0_XT2_EXT3_EEENS1_16TensorSizeStrideIS8_Lj4EEEiS8_.num_agpr, 0
	.set _ZN2at6native12_GLOBAL__N_130CatArrayBatchedCopy_vectorizedINS1_10OpaqueTypeILj4EEEjLi1ELi128ELi1ELi16ELi4EEEvPcNS1_25CatArrInputTensorMetadataIT_T0_XT2_EXT3_EEENS1_16TensorSizeStrideIS8_Lj4EEEiS8_.numbered_sgpr, 14
	.set _ZN2at6native12_GLOBAL__N_130CatArrayBatchedCopy_vectorizedINS1_10OpaqueTypeILj4EEEjLi1ELi128ELi1ELi16ELi4EEEvPcNS1_25CatArrInputTensorMetadataIT_T0_XT2_EXT3_EEENS1_16TensorSizeStrideIS8_Lj4EEEiS8_.num_named_barrier, 0
	.set _ZN2at6native12_GLOBAL__N_130CatArrayBatchedCopy_vectorizedINS1_10OpaqueTypeILj4EEEjLi1ELi128ELi1ELi16ELi4EEEvPcNS1_25CatArrInputTensorMetadataIT_T0_XT2_EXT3_EEENS1_16TensorSizeStrideIS8_Lj4EEEiS8_.private_seg_size, 0
	.set _ZN2at6native12_GLOBAL__N_130CatArrayBatchedCopy_vectorizedINS1_10OpaqueTypeILj4EEEjLi1ELi128ELi1ELi16ELi4EEEvPcNS1_25CatArrInputTensorMetadataIT_T0_XT2_EXT3_EEENS1_16TensorSizeStrideIS8_Lj4EEEiS8_.uses_vcc, 1
	.set _ZN2at6native12_GLOBAL__N_130CatArrayBatchedCopy_vectorizedINS1_10OpaqueTypeILj4EEEjLi1ELi128ELi1ELi16ELi4EEEvPcNS1_25CatArrInputTensorMetadataIT_T0_XT2_EXT3_EEENS1_16TensorSizeStrideIS8_Lj4EEEiS8_.uses_flat_scratch, 0
	.set _ZN2at6native12_GLOBAL__N_130CatArrayBatchedCopy_vectorizedINS1_10OpaqueTypeILj4EEEjLi1ELi128ELi1ELi16ELi4EEEvPcNS1_25CatArrInputTensorMetadataIT_T0_XT2_EXT3_EEENS1_16TensorSizeStrideIS8_Lj4EEEiS8_.has_dyn_sized_stack, 0
	.set _ZN2at6native12_GLOBAL__N_130CatArrayBatchedCopy_vectorizedINS1_10OpaqueTypeILj4EEEjLi1ELi128ELi1ELi16ELi4EEEvPcNS1_25CatArrInputTensorMetadataIT_T0_XT2_EXT3_EEENS1_16TensorSizeStrideIS8_Lj4EEEiS8_.has_recursion, 0
	.set _ZN2at6native12_GLOBAL__N_130CatArrayBatchedCopy_vectorizedINS1_10OpaqueTypeILj4EEEjLi1ELi128ELi1ELi16ELi4EEEvPcNS1_25CatArrInputTensorMetadataIT_T0_XT2_EXT3_EEENS1_16TensorSizeStrideIS8_Lj4EEEiS8_.has_indirect_call, 0
	.section	.AMDGPU.csdata,"",@progbits
; Kernel info:
; codeLenInByte = 360
; TotalNumSgprs: 16
; NumVgprs: 10
; ScratchSize: 0
; MemoryBound: 0
; FloatMode: 240
; IeeeMode: 1
; LDSByteSize: 0 bytes/workgroup (compile time only)
; SGPRBlocks: 0
; VGPRBlocks: 1
; NumSGPRsForWavesPerEU: 16
; NumVGPRsForWavesPerEU: 10
; Occupancy: 16
; WaveLimiterHint : 1
; COMPUTE_PGM_RSRC2:SCRATCH_EN: 0
; COMPUTE_PGM_RSRC2:USER_SGPR: 6
; COMPUTE_PGM_RSRC2:TRAP_HANDLER: 0
; COMPUTE_PGM_RSRC2:TGID_X_EN: 1
; COMPUTE_PGM_RSRC2:TGID_Y_EN: 1
; COMPUTE_PGM_RSRC2:TGID_Z_EN: 0
; COMPUTE_PGM_RSRC2:TIDIG_COMP_CNT: 0
	.section	.text._ZN2at6native12_GLOBAL__N_135CatArrayBatchedCopy_alignedK_contigINS1_10OpaqueTypeILj4EEEjLi1ELi128ELi1ELi16EEEvPT_NS1_25CatArrInputTensorMetadataIS5_T0_XT2_EXT3_EEENS1_16TensorSizeStrideIS8_Lj4EEEiS8_,"axG",@progbits,_ZN2at6native12_GLOBAL__N_135CatArrayBatchedCopy_alignedK_contigINS1_10OpaqueTypeILj4EEEjLi1ELi128ELi1ELi16EEEvPT_NS1_25CatArrInputTensorMetadataIS5_T0_XT2_EXT3_EEENS1_16TensorSizeStrideIS8_Lj4EEEiS8_,comdat
	.globl	_ZN2at6native12_GLOBAL__N_135CatArrayBatchedCopy_alignedK_contigINS1_10OpaqueTypeILj4EEEjLi1ELi128ELi1ELi16EEEvPT_NS1_25CatArrInputTensorMetadataIS5_T0_XT2_EXT3_EEENS1_16TensorSizeStrideIS8_Lj4EEEiS8_ ; -- Begin function _ZN2at6native12_GLOBAL__N_135CatArrayBatchedCopy_alignedK_contigINS1_10OpaqueTypeILj4EEEjLi1ELi128ELi1ELi16EEEvPT_NS1_25CatArrInputTensorMetadataIS5_T0_XT2_EXT3_EEENS1_16TensorSizeStrideIS8_Lj4EEEiS8_
	.p2align	8
	.type	_ZN2at6native12_GLOBAL__N_135CatArrayBatchedCopy_alignedK_contigINS1_10OpaqueTypeILj4EEEjLi1ELi128ELi1ELi16EEEvPT_NS1_25CatArrInputTensorMetadataIS5_T0_XT2_EXT3_EEENS1_16TensorSizeStrideIS8_Lj4EEEiS8_,@function
_ZN2at6native12_GLOBAL__N_135CatArrayBatchedCopy_alignedK_contigINS1_10OpaqueTypeILj4EEEjLi1ELi128ELi1ELi16EEEvPT_NS1_25CatArrInputTensorMetadataIS5_T0_XT2_EXT3_EEENS1_16TensorSizeStrideIS8_Lj4EEEiS8_: ; @_ZN2at6native12_GLOBAL__N_135CatArrayBatchedCopy_alignedK_contigINS1_10OpaqueTypeILj4EEEjLi1ELi128ELi1ELi16EEEvPT_NS1_25CatArrInputTensorMetadataIS5_T0_XT2_EXT3_EEENS1_16TensorSizeStrideIS8_Lj4EEEiS8_
; %bb.0:
	s_mov_b32 s2, s7
	s_load_dword s7, s[4:5], 0xadc
	s_mov_b32 s3, 0
	s_add_u32 s0, s4, 0xad0
	s_addc_u32 s1, s5, 0
	s_lshl_b64 s[2:3], s[2:3], 2
	s_mov_b32 s8, exec_lo
	s_waitcnt lgkmcnt(0)
	s_and_b32 s10, s7, 0xffff
	s_add_u32 s12, s4, s2
	s_addc_u32 s13, s5, s3
	v_mad_u64_u32 v[1:2], null, s6, s10, v[0:1]
	s_load_dword s9, s[12:13], 0x808
	s_add_u32 s6, s12, 8
	s_addc_u32 s7, s13, 0
	v_lshlrev_b32_e32 v0, 2, v1
	s_waitcnt lgkmcnt(0)
	v_cmpx_gt_u32_e64 s9, v0
	s_cbranch_execz .LBB41_8
; %bb.1:
	s_add_u32 s6, s6, s2
	s_addc_u32 s7, s7, s3
	s_sub_u32 s2, 0, s2
	s_subb_u32 s3, 0, s3
	s_add_u32 s2, s6, s2
	s_addc_u32 s3, s7, s3
	v_add_nc_u32_e32 v2, 4, v0
	s_clause 0x4
	s_load_dword s8, s[2:3], 0x400
	s_load_dwordx2 s[2:3], s[4:5], 0x0
	s_load_dword s11, s[4:5], 0xacc
	s_load_dwordx2 s[6:7], s[6:7], 0x0
	s_load_dword s4, s[4:5], 0xab8
	s_mov_b32 s5, exec_lo
	s_waitcnt lgkmcnt(0)
	s_mul_i32 s8, s8, s11
	v_cmpx_ge_u32_e64 s9, v2
	s_cbranch_execz .LBB41_5
; %bb.2:
	s_load_dword s0, s[0:1], 0x0
	v_add_nc_u32_e32 v4, 2, v0
	v_add_nc_u32_e32 v5, 3, v0
	v_mul_lo_u32 v6, s4, v1
	v_mad_u64_u32 v[2:3], null, s4, v0, s[4:5]
	v_mul_lo_u32 v3, s4, v4
	v_mul_lo_u32 v4, s4, v5
	v_mov_b32_e32 v1, 0
	s_mov_b32 s1, 0
	s_mov_b32 s12, s8
	v_lshlrev_b32_e32 v5, 2, v6
	s_waitcnt lgkmcnt(0)
	s_mul_i32 s0, s0, s10
	s_mul_i32 s11, s0, s4
	s_lshl_b32 s10, s0, 2
	s_lshl_b32 s11, s11, 2
.LBB41_3:                               ; =>This Inner Loop Header: Depth=1
	v_lshlrev_b64 v[6:7], 2, v[0:1]
	v_add_nc_u32_e32 v10, s12, v5
	v_mov_b32_e32 v11, v1
	v_add_nc_u32_e32 v12, s12, v2
	v_mov_b32_e32 v13, v1
	v_add_nc_u32_e32 v14, s12, v3
	v_add_co_u32 v6, vcc_lo, s6, v6
	v_add_co_ci_u32_e64 v7, null, s7, v7, vcc_lo
	v_add_nc_u32_e32 v0, s10, v0
	v_mov_b32_e32 v15, v1
	v_lshlrev_b64 v[10:11], 2, v[10:11]
	global_load_dwordx4 v[6:9], v[6:7], off
	v_add_nc_u32_e32 v16, s12, v4
	v_mov_b32_e32 v17, v1
	v_lshlrev_b64 v[12:13], 2, v[12:13]
	v_add_nc_u32_e32 v18, 4, v0
	v_lshlrev_b64 v[14:15], 2, v[14:15]
	v_add_co_u32 v10, s0, s2, v10
	v_lshlrev_b64 v[16:17], 2, v[16:17]
	v_add_co_ci_u32_e64 v11, null, s3, v11, s0
	v_add_co_u32 v12, s0, s2, v12
	v_cmp_lt_u32_e32 vcc_lo, s9, v18
	v_add_co_ci_u32_e64 v13, null, s3, v13, s0
	v_add_co_u32 v14, s0, s2, v14
	v_add_co_ci_u32_e64 v15, null, s3, v15, s0
	v_add_co_u32 v16, s0, s2, v16
	s_add_i32 s12, s12, s11
	v_add_co_ci_u32_e64 v17, null, s3, v17, s0
	s_or_b32 s1, vcc_lo, s1
	s_waitcnt vmcnt(0)
	global_store_dword v[10:11], v6, off
	global_store_dword v[12:13], v7, off
	;; [unrolled: 1-line block ×4, first 2 shown]
	s_andn2_b32 exec_lo, exec_lo, s1
	s_cbranch_execnz .LBB41_3
; %bb.4:
	s_or_b32 exec_lo, exec_lo, s1
.LBB41_5:
	s_or_b32 exec_lo, exec_lo, s5
	v_cmp_gt_u32_e32 vcc_lo, s9, v0
	s_and_b32 exec_lo, exec_lo, vcc_lo
	s_cbranch_execz .LBB41_8
; %bb.6:
	v_mov_b32_e32 v2, 0
	v_mad_u64_u32 v[5:6], null, v0, s4, s[8:9]
	s_mov_b32 s1, 0
	v_mov_b32_e32 v1, v2
	v_lshlrev_b64 v[3:4], 2, v[0:1]
	v_mov_b32_e32 v1, v5
	v_add_co_u32 v3, vcc_lo, s6, v3
	v_add_co_ci_u32_e64 v4, null, s7, v4, vcc_lo
	.p2align	6
.LBB41_7:                               ; =>This Inner Loop Header: Depth=1
	global_load_dword v7, v[3:4], off
	v_lshlrev_b64 v[5:6], 2, v[1:2]
	v_add_nc_u32_e32 v0, 1, v0
	v_add_co_u32 v3, vcc_lo, v3, 4
	v_add_co_ci_u32_e64 v4, null, 0, v4, vcc_lo
	v_cmp_le_u32_e32 vcc_lo, s9, v0
	v_add_co_u32 v5, s0, s2, v5
	v_add_co_ci_u32_e64 v6, null, s3, v6, s0
	v_add_nc_u32_e32 v1, s4, v1
	s_or_b32 s1, vcc_lo, s1
	s_waitcnt vmcnt(0)
	global_store_dword v[5:6], v7, off
	s_andn2_b32 exec_lo, exec_lo, s1
	s_cbranch_execnz .LBB41_7
.LBB41_8:
	s_endpgm
	.section	.rodata,"a",@progbits
	.p2align	6, 0x0
	.amdhsa_kernel _ZN2at6native12_GLOBAL__N_135CatArrayBatchedCopy_alignedK_contigINS1_10OpaqueTypeILj4EEEjLi1ELi128ELi1ELi16EEEvPT_NS1_25CatArrInputTensorMetadataIS5_T0_XT2_EXT3_EEENS1_16TensorSizeStrideIS8_Lj4EEEiS8_
		.amdhsa_group_segment_fixed_size 0
		.amdhsa_private_segment_fixed_size 0
		.amdhsa_kernarg_size 3024
		.amdhsa_user_sgpr_count 6
		.amdhsa_user_sgpr_private_segment_buffer 1
		.amdhsa_user_sgpr_dispatch_ptr 0
		.amdhsa_user_sgpr_queue_ptr 0
		.amdhsa_user_sgpr_kernarg_segment_ptr 1
		.amdhsa_user_sgpr_dispatch_id 0
		.amdhsa_user_sgpr_flat_scratch_init 0
		.amdhsa_user_sgpr_private_segment_size 0
		.amdhsa_wavefront_size32 1
		.amdhsa_uses_dynamic_stack 0
		.amdhsa_system_sgpr_private_segment_wavefront_offset 0
		.amdhsa_system_sgpr_workgroup_id_x 1
		.amdhsa_system_sgpr_workgroup_id_y 1
		.amdhsa_system_sgpr_workgroup_id_z 0
		.amdhsa_system_sgpr_workgroup_info 0
		.amdhsa_system_vgpr_workitem_id 0
		.amdhsa_next_free_vgpr 19
		.amdhsa_next_free_sgpr 14
		.amdhsa_reserve_vcc 1
		.amdhsa_reserve_flat_scratch 0
		.amdhsa_float_round_mode_32 0
		.amdhsa_float_round_mode_16_64 0
		.amdhsa_float_denorm_mode_32 3
		.amdhsa_float_denorm_mode_16_64 3
		.amdhsa_dx10_clamp 1
		.amdhsa_ieee_mode 1
		.amdhsa_fp16_overflow 0
		.amdhsa_workgroup_processor_mode 1
		.amdhsa_memory_ordered 1
		.amdhsa_forward_progress 1
		.amdhsa_shared_vgpr_count 0
		.amdhsa_exception_fp_ieee_invalid_op 0
		.amdhsa_exception_fp_denorm_src 0
		.amdhsa_exception_fp_ieee_div_zero 0
		.amdhsa_exception_fp_ieee_overflow 0
		.amdhsa_exception_fp_ieee_underflow 0
		.amdhsa_exception_fp_ieee_inexact 0
		.amdhsa_exception_int_div_zero 0
	.end_amdhsa_kernel
	.section	.text._ZN2at6native12_GLOBAL__N_135CatArrayBatchedCopy_alignedK_contigINS1_10OpaqueTypeILj4EEEjLi1ELi128ELi1ELi16EEEvPT_NS1_25CatArrInputTensorMetadataIS5_T0_XT2_EXT3_EEENS1_16TensorSizeStrideIS8_Lj4EEEiS8_,"axG",@progbits,_ZN2at6native12_GLOBAL__N_135CatArrayBatchedCopy_alignedK_contigINS1_10OpaqueTypeILj4EEEjLi1ELi128ELi1ELi16EEEvPT_NS1_25CatArrInputTensorMetadataIS5_T0_XT2_EXT3_EEENS1_16TensorSizeStrideIS8_Lj4EEEiS8_,comdat
.Lfunc_end41:
	.size	_ZN2at6native12_GLOBAL__N_135CatArrayBatchedCopy_alignedK_contigINS1_10OpaqueTypeILj4EEEjLi1ELi128ELi1ELi16EEEvPT_NS1_25CatArrInputTensorMetadataIS5_T0_XT2_EXT3_EEENS1_16TensorSizeStrideIS8_Lj4EEEiS8_, .Lfunc_end41-_ZN2at6native12_GLOBAL__N_135CatArrayBatchedCopy_alignedK_contigINS1_10OpaqueTypeILj4EEEjLi1ELi128ELi1ELi16EEEvPT_NS1_25CatArrInputTensorMetadataIS5_T0_XT2_EXT3_EEENS1_16TensorSizeStrideIS8_Lj4EEEiS8_
                                        ; -- End function
	.set _ZN2at6native12_GLOBAL__N_135CatArrayBatchedCopy_alignedK_contigINS1_10OpaqueTypeILj4EEEjLi1ELi128ELi1ELi16EEEvPT_NS1_25CatArrInputTensorMetadataIS5_T0_XT2_EXT3_EEENS1_16TensorSizeStrideIS8_Lj4EEEiS8_.num_vgpr, 19
	.set _ZN2at6native12_GLOBAL__N_135CatArrayBatchedCopy_alignedK_contigINS1_10OpaqueTypeILj4EEEjLi1ELi128ELi1ELi16EEEvPT_NS1_25CatArrInputTensorMetadataIS5_T0_XT2_EXT3_EEENS1_16TensorSizeStrideIS8_Lj4EEEiS8_.num_agpr, 0
	.set _ZN2at6native12_GLOBAL__N_135CatArrayBatchedCopy_alignedK_contigINS1_10OpaqueTypeILj4EEEjLi1ELi128ELi1ELi16EEEvPT_NS1_25CatArrInputTensorMetadataIS5_T0_XT2_EXT3_EEENS1_16TensorSizeStrideIS8_Lj4EEEiS8_.numbered_sgpr, 14
	.set _ZN2at6native12_GLOBAL__N_135CatArrayBatchedCopy_alignedK_contigINS1_10OpaqueTypeILj4EEEjLi1ELi128ELi1ELi16EEEvPT_NS1_25CatArrInputTensorMetadataIS5_T0_XT2_EXT3_EEENS1_16TensorSizeStrideIS8_Lj4EEEiS8_.num_named_barrier, 0
	.set _ZN2at6native12_GLOBAL__N_135CatArrayBatchedCopy_alignedK_contigINS1_10OpaqueTypeILj4EEEjLi1ELi128ELi1ELi16EEEvPT_NS1_25CatArrInputTensorMetadataIS5_T0_XT2_EXT3_EEENS1_16TensorSizeStrideIS8_Lj4EEEiS8_.private_seg_size, 0
	.set _ZN2at6native12_GLOBAL__N_135CatArrayBatchedCopy_alignedK_contigINS1_10OpaqueTypeILj4EEEjLi1ELi128ELi1ELi16EEEvPT_NS1_25CatArrInputTensorMetadataIS5_T0_XT2_EXT3_EEENS1_16TensorSizeStrideIS8_Lj4EEEiS8_.uses_vcc, 1
	.set _ZN2at6native12_GLOBAL__N_135CatArrayBatchedCopy_alignedK_contigINS1_10OpaqueTypeILj4EEEjLi1ELi128ELi1ELi16EEEvPT_NS1_25CatArrInputTensorMetadataIS5_T0_XT2_EXT3_EEENS1_16TensorSizeStrideIS8_Lj4EEEiS8_.uses_flat_scratch, 0
	.set _ZN2at6native12_GLOBAL__N_135CatArrayBatchedCopy_alignedK_contigINS1_10OpaqueTypeILj4EEEjLi1ELi128ELi1ELi16EEEvPT_NS1_25CatArrInputTensorMetadataIS5_T0_XT2_EXT3_EEENS1_16TensorSizeStrideIS8_Lj4EEEiS8_.has_dyn_sized_stack, 0
	.set _ZN2at6native12_GLOBAL__N_135CatArrayBatchedCopy_alignedK_contigINS1_10OpaqueTypeILj4EEEjLi1ELi128ELi1ELi16EEEvPT_NS1_25CatArrInputTensorMetadataIS5_T0_XT2_EXT3_EEENS1_16TensorSizeStrideIS8_Lj4EEEiS8_.has_recursion, 0
	.set _ZN2at6native12_GLOBAL__N_135CatArrayBatchedCopy_alignedK_contigINS1_10OpaqueTypeILj4EEEjLi1ELi128ELi1ELi16EEEvPT_NS1_25CatArrInputTensorMetadataIS5_T0_XT2_EXT3_EEENS1_16TensorSizeStrideIS8_Lj4EEEiS8_.has_indirect_call, 0
	.section	.AMDGPU.csdata,"",@progbits
; Kernel info:
; codeLenInByte = 664
; TotalNumSgprs: 16
; NumVgprs: 19
; ScratchSize: 0
; MemoryBound: 0
; FloatMode: 240
; IeeeMode: 1
; LDSByteSize: 0 bytes/workgroup (compile time only)
; SGPRBlocks: 0
; VGPRBlocks: 2
; NumSGPRsForWavesPerEU: 16
; NumVGPRsForWavesPerEU: 19
; Occupancy: 16
; WaveLimiterHint : 1
; COMPUTE_PGM_RSRC2:SCRATCH_EN: 0
; COMPUTE_PGM_RSRC2:USER_SGPR: 6
; COMPUTE_PGM_RSRC2:TRAP_HANDLER: 0
; COMPUTE_PGM_RSRC2:TGID_X_EN: 1
; COMPUTE_PGM_RSRC2:TGID_Y_EN: 1
; COMPUTE_PGM_RSRC2:TGID_Z_EN: 0
; COMPUTE_PGM_RSRC2:TIDIG_COMP_CNT: 0
	.section	.text._ZN2at6native12_GLOBAL__N_135CatArrayBatchedCopy_alignedK_contigINS1_10OpaqueTypeILj4EEEjLi1ELi128ELi1ELi8EEEvPT_NS1_25CatArrInputTensorMetadataIS5_T0_XT2_EXT3_EEENS1_16TensorSizeStrideIS8_Lj4EEEiS8_,"axG",@progbits,_ZN2at6native12_GLOBAL__N_135CatArrayBatchedCopy_alignedK_contigINS1_10OpaqueTypeILj4EEEjLi1ELi128ELi1ELi8EEEvPT_NS1_25CatArrInputTensorMetadataIS5_T0_XT2_EXT3_EEENS1_16TensorSizeStrideIS8_Lj4EEEiS8_,comdat
	.globl	_ZN2at6native12_GLOBAL__N_135CatArrayBatchedCopy_alignedK_contigINS1_10OpaqueTypeILj4EEEjLi1ELi128ELi1ELi8EEEvPT_NS1_25CatArrInputTensorMetadataIS5_T0_XT2_EXT3_EEENS1_16TensorSizeStrideIS8_Lj4EEEiS8_ ; -- Begin function _ZN2at6native12_GLOBAL__N_135CatArrayBatchedCopy_alignedK_contigINS1_10OpaqueTypeILj4EEEjLi1ELi128ELi1ELi8EEEvPT_NS1_25CatArrInputTensorMetadataIS5_T0_XT2_EXT3_EEENS1_16TensorSizeStrideIS8_Lj4EEEiS8_
	.p2align	8
	.type	_ZN2at6native12_GLOBAL__N_135CatArrayBatchedCopy_alignedK_contigINS1_10OpaqueTypeILj4EEEjLi1ELi128ELi1ELi8EEEvPT_NS1_25CatArrInputTensorMetadataIS5_T0_XT2_EXT3_EEENS1_16TensorSizeStrideIS8_Lj4EEEiS8_,@function
_ZN2at6native12_GLOBAL__N_135CatArrayBatchedCopy_alignedK_contigINS1_10OpaqueTypeILj4EEEjLi1ELi128ELi1ELi8EEEvPT_NS1_25CatArrInputTensorMetadataIS5_T0_XT2_EXT3_EEENS1_16TensorSizeStrideIS8_Lj4EEEiS8_: ; @_ZN2at6native12_GLOBAL__N_135CatArrayBatchedCopy_alignedK_contigINS1_10OpaqueTypeILj4EEEjLi1ELi128ELi1ELi8EEEvPT_NS1_25CatArrInputTensorMetadataIS5_T0_XT2_EXT3_EEENS1_16TensorSizeStrideIS8_Lj4EEEiS8_
; %bb.0:
	s_mov_b32 s2, s7
	s_load_dword s7, s[4:5], 0xadc
	s_mov_b32 s3, 0
	s_add_u32 s0, s4, 0xad0
	s_addc_u32 s1, s5, 0
	s_lshl_b64 s[2:3], s[2:3], 2
	s_mov_b32 s8, exec_lo
	s_waitcnt lgkmcnt(0)
	s_and_b32 s10, s7, 0xffff
	s_add_u32 s12, s4, s2
	s_addc_u32 s13, s5, s3
	v_mad_u64_u32 v[1:2], null, s6, s10, v[0:1]
	s_load_dword s9, s[12:13], 0x808
	s_add_u32 s6, s12, 8
	s_addc_u32 s7, s13, 0
	v_lshlrev_b32_e32 v0, 1, v1
	s_waitcnt lgkmcnt(0)
	v_cmpx_gt_u32_e64 s9, v0
	s_cbranch_execz .LBB42_8
; %bb.1:
	s_add_u32 s6, s6, s2
	s_addc_u32 s7, s7, s3
	s_sub_u32 s2, 0, s2
	s_subb_u32 s3, 0, s3
	s_add_u32 s2, s6, s2
	s_addc_u32 s3, s7, s3
	v_add_nc_u32_e32 v2, 2, v0
	s_clause 0x4
	s_load_dword s8, s[2:3], 0x400
	s_load_dwordx2 s[2:3], s[4:5], 0x0
	s_load_dword s11, s[4:5], 0xacc
	s_load_dwordx2 s[6:7], s[6:7], 0x0
	s_load_dword s4, s[4:5], 0xab8
	s_mov_b32 s5, exec_lo
	s_waitcnt lgkmcnt(0)
	s_mul_i32 s8, s8, s11
	v_cmpx_ge_u32_e64 s9, v2
	s_cbranch_execz .LBB42_5
; %bb.2:
	s_load_dword s0, s[0:1], 0x0
	v_mul_lo_u32 v4, s4, v1
	v_mad_u64_u32 v[2:3], null, s4, v0, s[4:5]
	v_mov_b32_e32 v1, 0
	s_mov_b32 s1, 0
	s_mov_b32 s12, s8
	v_lshlrev_b32_e32 v3, 1, v4
	s_waitcnt lgkmcnt(0)
	s_mul_i32 s0, s0, s10
	s_mul_i32 s11, s0, s4
	s_lshl_b32 s10, s0, 1
	s_lshl_b32 s11, s11, 1
	s_inst_prefetch 0x1
	.p2align	6
.LBB42_3:                               ; =>This Inner Loop Header: Depth=1
	v_lshlrev_b64 v[4:5], 2, v[0:1]
	v_add_nc_u32_e32 v6, s12, v3
	v_mov_b32_e32 v7, v1
	v_add_nc_u32_e32 v0, s10, v0
	v_add_nc_u32_e32 v8, s12, v2
	v_mov_b32_e32 v9, v1
	v_add_co_u32 v4, vcc_lo, s6, v4
	v_add_co_ci_u32_e64 v5, null, s7, v5, vcc_lo
	v_lshlrev_b64 v[6:7], 2, v[6:7]
	v_add_nc_u32_e32 v10, 2, v0
	v_lshlrev_b64 v[8:9], 2, v[8:9]
	global_load_dwordx2 v[4:5], v[4:5], off
	s_add_i32 s12, s12, s11
	v_add_co_u32 v6, s0, s2, v6
	v_cmp_lt_u32_e32 vcc_lo, s9, v10
	v_add_co_ci_u32_e64 v7, null, s3, v7, s0
	v_add_co_u32 v8, s0, s2, v8
	v_add_co_ci_u32_e64 v9, null, s3, v9, s0
	s_or_b32 s1, vcc_lo, s1
	s_waitcnt vmcnt(0)
	global_store_dword v[6:7], v4, off
	global_store_dword v[8:9], v5, off
	s_andn2_b32 exec_lo, exec_lo, s1
	s_cbranch_execnz .LBB42_3
; %bb.4:
	s_inst_prefetch 0x2
	s_or_b32 exec_lo, exec_lo, s1
.LBB42_5:
	s_or_b32 exec_lo, exec_lo, s5
	v_cmp_gt_u32_e32 vcc_lo, s9, v0
	s_and_b32 exec_lo, exec_lo, vcc_lo
	s_cbranch_execz .LBB42_8
; %bb.6:
	v_mov_b32_e32 v2, 0
	v_mad_u64_u32 v[5:6], null, v0, s4, s[8:9]
	s_mov_b32 s1, 0
	v_mov_b32_e32 v1, v2
	v_lshlrev_b64 v[3:4], 2, v[0:1]
	v_mov_b32_e32 v1, v5
	v_add_co_u32 v3, vcc_lo, s6, v3
	v_add_co_ci_u32_e64 v4, null, s7, v4, vcc_lo
	.p2align	6
.LBB42_7:                               ; =>This Inner Loop Header: Depth=1
	global_load_dword v7, v[3:4], off
	v_lshlrev_b64 v[5:6], 2, v[1:2]
	v_add_nc_u32_e32 v0, 1, v0
	v_add_co_u32 v3, vcc_lo, v3, 4
	v_add_co_ci_u32_e64 v4, null, 0, v4, vcc_lo
	v_cmp_le_u32_e32 vcc_lo, s9, v0
	v_add_co_u32 v5, s0, s2, v5
	v_add_co_ci_u32_e64 v6, null, s3, v6, s0
	v_add_nc_u32_e32 v1, s4, v1
	s_or_b32 s1, vcc_lo, s1
	s_waitcnt vmcnt(0)
	global_store_dword v[5:6], v7, off
	s_andn2_b32 exec_lo, exec_lo, s1
	s_cbranch_execnz .LBB42_7
.LBB42_8:
	s_endpgm
	.section	.rodata,"a",@progbits
	.p2align	6, 0x0
	.amdhsa_kernel _ZN2at6native12_GLOBAL__N_135CatArrayBatchedCopy_alignedK_contigINS1_10OpaqueTypeILj4EEEjLi1ELi128ELi1ELi8EEEvPT_NS1_25CatArrInputTensorMetadataIS5_T0_XT2_EXT3_EEENS1_16TensorSizeStrideIS8_Lj4EEEiS8_
		.amdhsa_group_segment_fixed_size 0
		.amdhsa_private_segment_fixed_size 0
		.amdhsa_kernarg_size 3024
		.amdhsa_user_sgpr_count 6
		.amdhsa_user_sgpr_private_segment_buffer 1
		.amdhsa_user_sgpr_dispatch_ptr 0
		.amdhsa_user_sgpr_queue_ptr 0
		.amdhsa_user_sgpr_kernarg_segment_ptr 1
		.amdhsa_user_sgpr_dispatch_id 0
		.amdhsa_user_sgpr_flat_scratch_init 0
		.amdhsa_user_sgpr_private_segment_size 0
		.amdhsa_wavefront_size32 1
		.amdhsa_uses_dynamic_stack 0
		.amdhsa_system_sgpr_private_segment_wavefront_offset 0
		.amdhsa_system_sgpr_workgroup_id_x 1
		.amdhsa_system_sgpr_workgroup_id_y 1
		.amdhsa_system_sgpr_workgroup_id_z 0
		.amdhsa_system_sgpr_workgroup_info 0
		.amdhsa_system_vgpr_workitem_id 0
		.amdhsa_next_free_vgpr 11
		.amdhsa_next_free_sgpr 14
		.amdhsa_reserve_vcc 1
		.amdhsa_reserve_flat_scratch 0
		.amdhsa_float_round_mode_32 0
		.amdhsa_float_round_mode_16_64 0
		.amdhsa_float_denorm_mode_32 3
		.amdhsa_float_denorm_mode_16_64 3
		.amdhsa_dx10_clamp 1
		.amdhsa_ieee_mode 1
		.amdhsa_fp16_overflow 0
		.amdhsa_workgroup_processor_mode 1
		.amdhsa_memory_ordered 1
		.amdhsa_forward_progress 1
		.amdhsa_shared_vgpr_count 0
		.amdhsa_exception_fp_ieee_invalid_op 0
		.amdhsa_exception_fp_denorm_src 0
		.amdhsa_exception_fp_ieee_div_zero 0
		.amdhsa_exception_fp_ieee_overflow 0
		.amdhsa_exception_fp_ieee_underflow 0
		.amdhsa_exception_fp_ieee_inexact 0
		.amdhsa_exception_int_div_zero 0
	.end_amdhsa_kernel
	.section	.text._ZN2at6native12_GLOBAL__N_135CatArrayBatchedCopy_alignedK_contigINS1_10OpaqueTypeILj4EEEjLi1ELi128ELi1ELi8EEEvPT_NS1_25CatArrInputTensorMetadataIS5_T0_XT2_EXT3_EEENS1_16TensorSizeStrideIS8_Lj4EEEiS8_,"axG",@progbits,_ZN2at6native12_GLOBAL__N_135CatArrayBatchedCopy_alignedK_contigINS1_10OpaqueTypeILj4EEEjLi1ELi128ELi1ELi8EEEvPT_NS1_25CatArrInputTensorMetadataIS5_T0_XT2_EXT3_EEENS1_16TensorSizeStrideIS8_Lj4EEEiS8_,comdat
.Lfunc_end42:
	.size	_ZN2at6native12_GLOBAL__N_135CatArrayBatchedCopy_alignedK_contigINS1_10OpaqueTypeILj4EEEjLi1ELi128ELi1ELi8EEEvPT_NS1_25CatArrInputTensorMetadataIS5_T0_XT2_EXT3_EEENS1_16TensorSizeStrideIS8_Lj4EEEiS8_, .Lfunc_end42-_ZN2at6native12_GLOBAL__N_135CatArrayBatchedCopy_alignedK_contigINS1_10OpaqueTypeILj4EEEjLi1ELi128ELi1ELi8EEEvPT_NS1_25CatArrInputTensorMetadataIS5_T0_XT2_EXT3_EEENS1_16TensorSizeStrideIS8_Lj4EEEiS8_
                                        ; -- End function
	.set _ZN2at6native12_GLOBAL__N_135CatArrayBatchedCopy_alignedK_contigINS1_10OpaqueTypeILj4EEEjLi1ELi128ELi1ELi8EEEvPT_NS1_25CatArrInputTensorMetadataIS5_T0_XT2_EXT3_EEENS1_16TensorSizeStrideIS8_Lj4EEEiS8_.num_vgpr, 11
	.set _ZN2at6native12_GLOBAL__N_135CatArrayBatchedCopy_alignedK_contigINS1_10OpaqueTypeILj4EEEjLi1ELi128ELi1ELi8EEEvPT_NS1_25CatArrInputTensorMetadataIS5_T0_XT2_EXT3_EEENS1_16TensorSizeStrideIS8_Lj4EEEiS8_.num_agpr, 0
	.set _ZN2at6native12_GLOBAL__N_135CatArrayBatchedCopy_alignedK_contigINS1_10OpaqueTypeILj4EEEjLi1ELi128ELi1ELi8EEEvPT_NS1_25CatArrInputTensorMetadataIS5_T0_XT2_EXT3_EEENS1_16TensorSizeStrideIS8_Lj4EEEiS8_.numbered_sgpr, 14
	.set _ZN2at6native12_GLOBAL__N_135CatArrayBatchedCopy_alignedK_contigINS1_10OpaqueTypeILj4EEEjLi1ELi128ELi1ELi8EEEvPT_NS1_25CatArrInputTensorMetadataIS5_T0_XT2_EXT3_EEENS1_16TensorSizeStrideIS8_Lj4EEEiS8_.num_named_barrier, 0
	.set _ZN2at6native12_GLOBAL__N_135CatArrayBatchedCopy_alignedK_contigINS1_10OpaqueTypeILj4EEEjLi1ELi128ELi1ELi8EEEvPT_NS1_25CatArrInputTensorMetadataIS5_T0_XT2_EXT3_EEENS1_16TensorSizeStrideIS8_Lj4EEEiS8_.private_seg_size, 0
	.set _ZN2at6native12_GLOBAL__N_135CatArrayBatchedCopy_alignedK_contigINS1_10OpaqueTypeILj4EEEjLi1ELi128ELi1ELi8EEEvPT_NS1_25CatArrInputTensorMetadataIS5_T0_XT2_EXT3_EEENS1_16TensorSizeStrideIS8_Lj4EEEiS8_.uses_vcc, 1
	.set _ZN2at6native12_GLOBAL__N_135CatArrayBatchedCopy_alignedK_contigINS1_10OpaqueTypeILj4EEEjLi1ELi128ELi1ELi8EEEvPT_NS1_25CatArrInputTensorMetadataIS5_T0_XT2_EXT3_EEENS1_16TensorSizeStrideIS8_Lj4EEEiS8_.uses_flat_scratch, 0
	.set _ZN2at6native12_GLOBAL__N_135CatArrayBatchedCopy_alignedK_contigINS1_10OpaqueTypeILj4EEEjLi1ELi128ELi1ELi8EEEvPT_NS1_25CatArrInputTensorMetadataIS5_T0_XT2_EXT3_EEENS1_16TensorSizeStrideIS8_Lj4EEEiS8_.has_dyn_sized_stack, 0
	.set _ZN2at6native12_GLOBAL__N_135CatArrayBatchedCopy_alignedK_contigINS1_10OpaqueTypeILj4EEEjLi1ELi128ELi1ELi8EEEvPT_NS1_25CatArrInputTensorMetadataIS5_T0_XT2_EXT3_EEENS1_16TensorSizeStrideIS8_Lj4EEEiS8_.has_recursion, 0
	.set _ZN2at6native12_GLOBAL__N_135CatArrayBatchedCopy_alignedK_contigINS1_10OpaqueTypeILj4EEEjLi1ELi128ELi1ELi8EEEvPT_NS1_25CatArrInputTensorMetadataIS5_T0_XT2_EXT3_EEENS1_16TensorSizeStrideIS8_Lj4EEEiS8_.has_indirect_call, 0
	.section	.AMDGPU.csdata,"",@progbits
; Kernel info:
; codeLenInByte = 664
; TotalNumSgprs: 16
; NumVgprs: 11
; ScratchSize: 0
; MemoryBound: 0
; FloatMode: 240
; IeeeMode: 1
; LDSByteSize: 0 bytes/workgroup (compile time only)
; SGPRBlocks: 0
; VGPRBlocks: 1
; NumSGPRsForWavesPerEU: 16
; NumVGPRsForWavesPerEU: 11
; Occupancy: 16
; WaveLimiterHint : 1
; COMPUTE_PGM_RSRC2:SCRATCH_EN: 0
; COMPUTE_PGM_RSRC2:USER_SGPR: 6
; COMPUTE_PGM_RSRC2:TRAP_HANDLER: 0
; COMPUTE_PGM_RSRC2:TGID_X_EN: 1
; COMPUTE_PGM_RSRC2:TGID_Y_EN: 1
; COMPUTE_PGM_RSRC2:TGID_Z_EN: 0
; COMPUTE_PGM_RSRC2:TIDIG_COMP_CNT: 0
	.section	.text._ZN2at6native12_GLOBAL__N_126CatArrayBatchedCopy_contigINS1_10OpaqueTypeILj4EEEjLi1ELi128ELi1EEEvPT_NS1_25CatArrInputTensorMetadataIS5_T0_XT2_EXT3_EEENS1_16TensorSizeStrideIS8_Lj4EEEiS8_,"axG",@progbits,_ZN2at6native12_GLOBAL__N_126CatArrayBatchedCopy_contigINS1_10OpaqueTypeILj4EEEjLi1ELi128ELi1EEEvPT_NS1_25CatArrInputTensorMetadataIS5_T0_XT2_EXT3_EEENS1_16TensorSizeStrideIS8_Lj4EEEiS8_,comdat
	.globl	_ZN2at6native12_GLOBAL__N_126CatArrayBatchedCopy_contigINS1_10OpaqueTypeILj4EEEjLi1ELi128ELi1EEEvPT_NS1_25CatArrInputTensorMetadataIS5_T0_XT2_EXT3_EEENS1_16TensorSizeStrideIS8_Lj4EEEiS8_ ; -- Begin function _ZN2at6native12_GLOBAL__N_126CatArrayBatchedCopy_contigINS1_10OpaqueTypeILj4EEEjLi1ELi128ELi1EEEvPT_NS1_25CatArrInputTensorMetadataIS5_T0_XT2_EXT3_EEENS1_16TensorSizeStrideIS8_Lj4EEEiS8_
	.p2align	8
	.type	_ZN2at6native12_GLOBAL__N_126CatArrayBatchedCopy_contigINS1_10OpaqueTypeILj4EEEjLi1ELi128ELi1EEEvPT_NS1_25CatArrInputTensorMetadataIS5_T0_XT2_EXT3_EEENS1_16TensorSizeStrideIS8_Lj4EEEiS8_,@function
_ZN2at6native12_GLOBAL__N_126CatArrayBatchedCopy_contigINS1_10OpaqueTypeILj4EEEjLi1ELi128ELi1EEEvPT_NS1_25CatArrInputTensorMetadataIS5_T0_XT2_EXT3_EEENS1_16TensorSizeStrideIS8_Lj4EEEiS8_: ; @_ZN2at6native12_GLOBAL__N_126CatArrayBatchedCopy_contigINS1_10OpaqueTypeILj4EEEjLi1ELi128ELi1EEEvPT_NS1_25CatArrInputTensorMetadataIS5_T0_XT2_EXT3_EEENS1_16TensorSizeStrideIS8_Lj4EEEiS8_
; %bb.0:
	s_load_dword s2, s[4:5], 0xadc
	s_mov_b32 s0, s7
	s_mov_b32 s1, 0
	s_add_u32 s8, s4, 0xad0
	s_addc_u32 s9, s5, 0
	s_lshl_b64 s[10:11], s[0:1], 2
	s_waitcnt lgkmcnt(0)
	s_and_b32 s0, s2, 0xffff
	s_add_u32 s2, s4, s10
	s_addc_u32 s3, s5, s11
	v_mad_u64_u32 v[0:1], null, s6, s0, v[0:1]
	s_load_dword s7, s[2:3], 0x808
	s_add_u32 s2, s2, 8
	s_addc_u32 s3, s3, 0
	s_mov_b32 s6, exec_lo
	s_waitcnt lgkmcnt(0)
	v_cmpx_gt_u32_e64 s7, v0
	s_cbranch_execz .LBB43_3
; %bb.1:
	s_add_u32 s12, s2, s10
	s_addc_u32 s13, s3, s11
	s_sub_u32 s6, 0, s10
	s_clause 0x1
	s_load_dwordx2 s[2:3], s[12:13], 0x0
	s_load_dword s14, s[4:5], 0xab8
	s_subb_u32 s11, 0, s11
	s_add_u32 s10, s12, s6
	s_addc_u32 s11, s13, s11
	s_clause 0x1
	s_load_dword s6, s[4:5], 0xacc
	s_load_dword s10, s[10:11], 0x400
	;; [unrolled: 1-line block ×3, first 2 shown]
	s_load_dwordx2 s[4:5], s[4:5], 0x0
	s_waitcnt lgkmcnt(0)
	v_mul_lo_u32 v1, s14, v0
	v_mad_u64_u32 v[2:3], null, s10, s6, v[1:2]
	v_mov_b32_e32 v1, 0
	s_mul_i32 s6, s8, s0
	s_mul_i32 s8, s6, s14
	.p2align	6
.LBB43_2:                               ; =>This Inner Loop Header: Depth=1
	v_lshlrev_b64 v[3:4], 2, v[0:1]
	v_add_nc_u32_e32 v0, s6, v0
	v_add_co_u32 v3, vcc_lo, s2, v3
	v_add_co_ci_u32_e64 v4, null, s3, v4, vcc_lo
	v_cmp_le_u32_e32 vcc_lo, s7, v0
	global_load_dword v5, v[3:4], off
	v_mov_b32_e32 v3, v1
	s_or_b32 s1, vcc_lo, s1
	v_lshlrev_b64 v[3:4], 2, v[2:3]
	v_add_nc_u32_e32 v2, s8, v2
	v_add_co_u32 v3, s0, s4, v3
	v_add_co_ci_u32_e64 v4, null, s5, v4, s0
	s_waitcnt vmcnt(0)
	global_store_dword v[3:4], v5, off
	s_andn2_b32 exec_lo, exec_lo, s1
	s_cbranch_execnz .LBB43_2
.LBB43_3:
	s_endpgm
	.section	.rodata,"a",@progbits
	.p2align	6, 0x0
	.amdhsa_kernel _ZN2at6native12_GLOBAL__N_126CatArrayBatchedCopy_contigINS1_10OpaqueTypeILj4EEEjLi1ELi128ELi1EEEvPT_NS1_25CatArrInputTensorMetadataIS5_T0_XT2_EXT3_EEENS1_16TensorSizeStrideIS8_Lj4EEEiS8_
		.amdhsa_group_segment_fixed_size 0
		.amdhsa_private_segment_fixed_size 0
		.amdhsa_kernarg_size 3024
		.amdhsa_user_sgpr_count 6
		.amdhsa_user_sgpr_private_segment_buffer 1
		.amdhsa_user_sgpr_dispatch_ptr 0
		.amdhsa_user_sgpr_queue_ptr 0
		.amdhsa_user_sgpr_kernarg_segment_ptr 1
		.amdhsa_user_sgpr_dispatch_id 0
		.amdhsa_user_sgpr_flat_scratch_init 0
		.amdhsa_user_sgpr_private_segment_size 0
		.amdhsa_wavefront_size32 1
		.amdhsa_uses_dynamic_stack 0
		.amdhsa_system_sgpr_private_segment_wavefront_offset 0
		.amdhsa_system_sgpr_workgroup_id_x 1
		.amdhsa_system_sgpr_workgroup_id_y 1
		.amdhsa_system_sgpr_workgroup_id_z 0
		.amdhsa_system_sgpr_workgroup_info 0
		.amdhsa_system_vgpr_workitem_id 0
		.amdhsa_next_free_vgpr 6
		.amdhsa_next_free_sgpr 15
		.amdhsa_reserve_vcc 1
		.amdhsa_reserve_flat_scratch 0
		.amdhsa_float_round_mode_32 0
		.amdhsa_float_round_mode_16_64 0
		.amdhsa_float_denorm_mode_32 3
		.amdhsa_float_denorm_mode_16_64 3
		.amdhsa_dx10_clamp 1
		.amdhsa_ieee_mode 1
		.amdhsa_fp16_overflow 0
		.amdhsa_workgroup_processor_mode 1
		.amdhsa_memory_ordered 1
		.amdhsa_forward_progress 1
		.amdhsa_shared_vgpr_count 0
		.amdhsa_exception_fp_ieee_invalid_op 0
		.amdhsa_exception_fp_denorm_src 0
		.amdhsa_exception_fp_ieee_div_zero 0
		.amdhsa_exception_fp_ieee_overflow 0
		.amdhsa_exception_fp_ieee_underflow 0
		.amdhsa_exception_fp_ieee_inexact 0
		.amdhsa_exception_int_div_zero 0
	.end_amdhsa_kernel
	.section	.text._ZN2at6native12_GLOBAL__N_126CatArrayBatchedCopy_contigINS1_10OpaqueTypeILj4EEEjLi1ELi128ELi1EEEvPT_NS1_25CatArrInputTensorMetadataIS5_T0_XT2_EXT3_EEENS1_16TensorSizeStrideIS8_Lj4EEEiS8_,"axG",@progbits,_ZN2at6native12_GLOBAL__N_126CatArrayBatchedCopy_contigINS1_10OpaqueTypeILj4EEEjLi1ELi128ELi1EEEvPT_NS1_25CatArrInputTensorMetadataIS5_T0_XT2_EXT3_EEENS1_16TensorSizeStrideIS8_Lj4EEEiS8_,comdat
.Lfunc_end43:
	.size	_ZN2at6native12_GLOBAL__N_126CatArrayBatchedCopy_contigINS1_10OpaqueTypeILj4EEEjLi1ELi128ELi1EEEvPT_NS1_25CatArrInputTensorMetadataIS5_T0_XT2_EXT3_EEENS1_16TensorSizeStrideIS8_Lj4EEEiS8_, .Lfunc_end43-_ZN2at6native12_GLOBAL__N_126CatArrayBatchedCopy_contigINS1_10OpaqueTypeILj4EEEjLi1ELi128ELi1EEEvPT_NS1_25CatArrInputTensorMetadataIS5_T0_XT2_EXT3_EEENS1_16TensorSizeStrideIS8_Lj4EEEiS8_
                                        ; -- End function
	.set _ZN2at6native12_GLOBAL__N_126CatArrayBatchedCopy_contigINS1_10OpaqueTypeILj4EEEjLi1ELi128ELi1EEEvPT_NS1_25CatArrInputTensorMetadataIS5_T0_XT2_EXT3_EEENS1_16TensorSizeStrideIS8_Lj4EEEiS8_.num_vgpr, 6
	.set _ZN2at6native12_GLOBAL__N_126CatArrayBatchedCopy_contigINS1_10OpaqueTypeILj4EEEjLi1ELi128ELi1EEEvPT_NS1_25CatArrInputTensorMetadataIS5_T0_XT2_EXT3_EEENS1_16TensorSizeStrideIS8_Lj4EEEiS8_.num_agpr, 0
	.set _ZN2at6native12_GLOBAL__N_126CatArrayBatchedCopy_contigINS1_10OpaqueTypeILj4EEEjLi1ELi128ELi1EEEvPT_NS1_25CatArrInputTensorMetadataIS5_T0_XT2_EXT3_EEENS1_16TensorSizeStrideIS8_Lj4EEEiS8_.numbered_sgpr, 15
	.set _ZN2at6native12_GLOBAL__N_126CatArrayBatchedCopy_contigINS1_10OpaqueTypeILj4EEEjLi1ELi128ELi1EEEvPT_NS1_25CatArrInputTensorMetadataIS5_T0_XT2_EXT3_EEENS1_16TensorSizeStrideIS8_Lj4EEEiS8_.num_named_barrier, 0
	.set _ZN2at6native12_GLOBAL__N_126CatArrayBatchedCopy_contigINS1_10OpaqueTypeILj4EEEjLi1ELi128ELi1EEEvPT_NS1_25CatArrInputTensorMetadataIS5_T0_XT2_EXT3_EEENS1_16TensorSizeStrideIS8_Lj4EEEiS8_.private_seg_size, 0
	.set _ZN2at6native12_GLOBAL__N_126CatArrayBatchedCopy_contigINS1_10OpaqueTypeILj4EEEjLi1ELi128ELi1EEEvPT_NS1_25CatArrInputTensorMetadataIS5_T0_XT2_EXT3_EEENS1_16TensorSizeStrideIS8_Lj4EEEiS8_.uses_vcc, 1
	.set _ZN2at6native12_GLOBAL__N_126CatArrayBatchedCopy_contigINS1_10OpaqueTypeILj4EEEjLi1ELi128ELi1EEEvPT_NS1_25CatArrInputTensorMetadataIS5_T0_XT2_EXT3_EEENS1_16TensorSizeStrideIS8_Lj4EEEiS8_.uses_flat_scratch, 0
	.set _ZN2at6native12_GLOBAL__N_126CatArrayBatchedCopy_contigINS1_10OpaqueTypeILj4EEEjLi1ELi128ELi1EEEvPT_NS1_25CatArrInputTensorMetadataIS5_T0_XT2_EXT3_EEENS1_16TensorSizeStrideIS8_Lj4EEEiS8_.has_dyn_sized_stack, 0
	.set _ZN2at6native12_GLOBAL__N_126CatArrayBatchedCopy_contigINS1_10OpaqueTypeILj4EEEjLi1ELi128ELi1EEEvPT_NS1_25CatArrInputTensorMetadataIS5_T0_XT2_EXT3_EEENS1_16TensorSizeStrideIS8_Lj4EEEiS8_.has_recursion, 0
	.set _ZN2at6native12_GLOBAL__N_126CatArrayBatchedCopy_contigINS1_10OpaqueTypeILj4EEEjLi1ELi128ELi1EEEvPT_NS1_25CatArrInputTensorMetadataIS5_T0_XT2_EXT3_EEENS1_16TensorSizeStrideIS8_Lj4EEEiS8_.has_indirect_call, 0
	.section	.AMDGPU.csdata,"",@progbits
; Kernel info:
; codeLenInByte = 356
; TotalNumSgprs: 17
; NumVgprs: 6
; ScratchSize: 0
; MemoryBound: 0
; FloatMode: 240
; IeeeMode: 1
; LDSByteSize: 0 bytes/workgroup (compile time only)
; SGPRBlocks: 0
; VGPRBlocks: 0
; NumSGPRsForWavesPerEU: 17
; NumVGPRsForWavesPerEU: 6
; Occupancy: 16
; WaveLimiterHint : 1
; COMPUTE_PGM_RSRC2:SCRATCH_EN: 0
; COMPUTE_PGM_RSRC2:USER_SGPR: 6
; COMPUTE_PGM_RSRC2:TRAP_HANDLER: 0
; COMPUTE_PGM_RSRC2:TGID_X_EN: 1
; COMPUTE_PGM_RSRC2:TGID_Y_EN: 1
; COMPUTE_PGM_RSRC2:TGID_Z_EN: 0
; COMPUTE_PGM_RSRC2:TIDIG_COMP_CNT: 0
	.section	.text._ZN2at6native12_GLOBAL__N_119CatArrayBatchedCopyINS1_10OpaqueTypeILj4EEEjLi1ELi128ELi1EEEvPT_NS1_25CatArrInputTensorMetadataIS5_T0_XT2_EXT3_EEENS1_16TensorSizeStrideIS8_Lj4EEEiS8_,"axG",@progbits,_ZN2at6native12_GLOBAL__N_119CatArrayBatchedCopyINS1_10OpaqueTypeILj4EEEjLi1ELi128ELi1EEEvPT_NS1_25CatArrInputTensorMetadataIS5_T0_XT2_EXT3_EEENS1_16TensorSizeStrideIS8_Lj4EEEiS8_,comdat
	.globl	_ZN2at6native12_GLOBAL__N_119CatArrayBatchedCopyINS1_10OpaqueTypeILj4EEEjLi1ELi128ELi1EEEvPT_NS1_25CatArrInputTensorMetadataIS5_T0_XT2_EXT3_EEENS1_16TensorSizeStrideIS8_Lj4EEEiS8_ ; -- Begin function _ZN2at6native12_GLOBAL__N_119CatArrayBatchedCopyINS1_10OpaqueTypeILj4EEEjLi1ELi128ELi1EEEvPT_NS1_25CatArrInputTensorMetadataIS5_T0_XT2_EXT3_EEENS1_16TensorSizeStrideIS8_Lj4EEEiS8_
	.p2align	8
	.type	_ZN2at6native12_GLOBAL__N_119CatArrayBatchedCopyINS1_10OpaqueTypeILj4EEEjLi1ELi128ELi1EEEvPT_NS1_25CatArrInputTensorMetadataIS5_T0_XT2_EXT3_EEENS1_16TensorSizeStrideIS8_Lj4EEEiS8_,@function
_ZN2at6native12_GLOBAL__N_119CatArrayBatchedCopyINS1_10OpaqueTypeILj4EEEjLi1ELi128ELi1EEEvPT_NS1_25CatArrInputTensorMetadataIS5_T0_XT2_EXT3_EEENS1_16TensorSizeStrideIS8_Lj4EEEiS8_: ; @_ZN2at6native12_GLOBAL__N_119CatArrayBatchedCopyINS1_10OpaqueTypeILj4EEEjLi1ELi128ELi1EEEvPT_NS1_25CatArrInputTensorMetadataIS5_T0_XT2_EXT3_EEENS1_16TensorSizeStrideIS8_Lj4EEEiS8_
; %bb.0:
	s_mov_b32 s0, s7
	s_load_dword s7, s[4:5], 0xadc
	s_or_b32 s8, s4, 8
	s_mov_b32 s1, 0
	s_add_u32 s2, s4, 0xad0
	s_addc_u32 s3, s5, 0
	s_lshl_b64 s[10:11], s[0:1], 2
	s_waitcnt lgkmcnt(0)
	s_and_b32 s14, s7, 0xffff
	s_add_u32 s12, s8, s10
	s_addc_u32 s13, s5, s11
	v_mad_u64_u32 v[0:1], null, s6, s14, v[0:1]
	s_load_dword s7, s[12:13], 0x800
	s_mov_b32 s6, exec_lo
	s_waitcnt lgkmcnt(0)
	v_cmpx_gt_u32_e64 s7, v0
	s_cbranch_execz .LBB44_3
; %bb.1:
	v_mov_b32_e32 v1, 0x800
	s_add_u32 s16, s8, s0
	s_addc_u32 s17, s5, 0
	s_mov_b32 s9, s5
	global_load_ubyte v1, v1, s[16:17] offset:512
	s_clause 0x1
	s_load_dword s6, s[8:9], 0xa90
	s_load_dword s15, s[4:5], 0xab8
	s_waitcnt lgkmcnt(0)
	v_mul_lo_u32 v2, s15, v0
	s_waitcnt vmcnt(0)
	v_readfirstlane_b32 s0, v1
	s_and_b32 s0, 1, s0
	s_add_u32 s8, s12, s10
	s_addc_u32 s9, s13, s11
	s_sub_u32 s10, 0, s10
	s_subb_u32 s11, 0, s11
	s_add_u32 s10, s8, s10
	s_addc_u32 s11, s9, s11
	s_clause 0x1
	s_load_dword s12, s[4:5], 0xacc
	s_load_dword s10, s[10:11], 0x400
	;; [unrolled: 1-line block ×3, first 2 shown]
	s_clause 0x1
	s_load_dwordx2 s[2:3], s[4:5], 0x0
	s_load_dwordx2 s[4:5], s[8:9], 0x0
	s_cmp_eq_u32 s0, 1
	s_cselect_b32 s0, 1, s6
	v_mul_lo_u32 v1, s0, v0
	s_waitcnt lgkmcnt(0)
	v_mad_u64_u32 v[3:4], null, s10, s12, v[2:3]
	v_mov_b32_e32 v2, 0
	s_mul_i32 s6, s11, s14
	s_mul_i32 s8, s6, s0
	;; [unrolled: 1-line block ×3, first 2 shown]
	.p2align	6
.LBB44_2:                               ; =>This Inner Loop Header: Depth=1
	v_lshlrev_b64 v[4:5], 2, v[1:2]
	v_add_nc_u32_e32 v0, s6, v0
	v_add_nc_u32_e32 v1, s8, v1
	v_add_co_u32 v4, vcc_lo, s4, v4
	v_add_co_ci_u32_e64 v5, null, s5, v5, vcc_lo
	v_cmp_le_u32_e32 vcc_lo, s7, v0
	global_load_dword v6, v[4:5], off
	v_mov_b32_e32 v4, v2
	s_or_b32 s1, vcc_lo, s1
	v_lshlrev_b64 v[4:5], 2, v[3:4]
	v_add_nc_u32_e32 v3, s9, v3
	v_add_co_u32 v4, s0, s2, v4
	v_add_co_ci_u32_e64 v5, null, s3, v5, s0
	s_waitcnt vmcnt(0)
	global_store_dword v[4:5], v6, off
	s_andn2_b32 exec_lo, exec_lo, s1
	s_cbranch_execnz .LBB44_2
.LBB44_3:
	s_endpgm
	.section	.rodata,"a",@progbits
	.p2align	6, 0x0
	.amdhsa_kernel _ZN2at6native12_GLOBAL__N_119CatArrayBatchedCopyINS1_10OpaqueTypeILj4EEEjLi1ELi128ELi1EEEvPT_NS1_25CatArrInputTensorMetadataIS5_T0_XT2_EXT3_EEENS1_16TensorSizeStrideIS8_Lj4EEEiS8_
		.amdhsa_group_segment_fixed_size 0
		.amdhsa_private_segment_fixed_size 0
		.amdhsa_kernarg_size 3024
		.amdhsa_user_sgpr_count 6
		.amdhsa_user_sgpr_private_segment_buffer 1
		.amdhsa_user_sgpr_dispatch_ptr 0
		.amdhsa_user_sgpr_queue_ptr 0
		.amdhsa_user_sgpr_kernarg_segment_ptr 1
		.amdhsa_user_sgpr_dispatch_id 0
		.amdhsa_user_sgpr_flat_scratch_init 0
		.amdhsa_user_sgpr_private_segment_size 0
		.amdhsa_wavefront_size32 1
		.amdhsa_uses_dynamic_stack 0
		.amdhsa_system_sgpr_private_segment_wavefront_offset 0
		.amdhsa_system_sgpr_workgroup_id_x 1
		.amdhsa_system_sgpr_workgroup_id_y 1
		.amdhsa_system_sgpr_workgroup_id_z 0
		.amdhsa_system_sgpr_workgroup_info 0
		.amdhsa_system_vgpr_workitem_id 0
		.amdhsa_next_free_vgpr 7
		.amdhsa_next_free_sgpr 18
		.amdhsa_reserve_vcc 1
		.amdhsa_reserve_flat_scratch 0
		.amdhsa_float_round_mode_32 0
		.amdhsa_float_round_mode_16_64 0
		.amdhsa_float_denorm_mode_32 3
		.amdhsa_float_denorm_mode_16_64 3
		.amdhsa_dx10_clamp 1
		.amdhsa_ieee_mode 1
		.amdhsa_fp16_overflow 0
		.amdhsa_workgroup_processor_mode 1
		.amdhsa_memory_ordered 1
		.amdhsa_forward_progress 1
		.amdhsa_shared_vgpr_count 0
		.amdhsa_exception_fp_ieee_invalid_op 0
		.amdhsa_exception_fp_denorm_src 0
		.amdhsa_exception_fp_ieee_div_zero 0
		.amdhsa_exception_fp_ieee_overflow 0
		.amdhsa_exception_fp_ieee_underflow 0
		.amdhsa_exception_fp_ieee_inexact 0
		.amdhsa_exception_int_div_zero 0
	.end_amdhsa_kernel
	.section	.text._ZN2at6native12_GLOBAL__N_119CatArrayBatchedCopyINS1_10OpaqueTypeILj4EEEjLi1ELi128ELi1EEEvPT_NS1_25CatArrInputTensorMetadataIS5_T0_XT2_EXT3_EEENS1_16TensorSizeStrideIS8_Lj4EEEiS8_,"axG",@progbits,_ZN2at6native12_GLOBAL__N_119CatArrayBatchedCopyINS1_10OpaqueTypeILj4EEEjLi1ELi128ELi1EEEvPT_NS1_25CatArrInputTensorMetadataIS5_T0_XT2_EXT3_EEENS1_16TensorSizeStrideIS8_Lj4EEEiS8_,comdat
.Lfunc_end44:
	.size	_ZN2at6native12_GLOBAL__N_119CatArrayBatchedCopyINS1_10OpaqueTypeILj4EEEjLi1ELi128ELi1EEEvPT_NS1_25CatArrInputTensorMetadataIS5_T0_XT2_EXT3_EEENS1_16TensorSizeStrideIS8_Lj4EEEiS8_, .Lfunc_end44-_ZN2at6native12_GLOBAL__N_119CatArrayBatchedCopyINS1_10OpaqueTypeILj4EEEjLi1ELi128ELi1EEEvPT_NS1_25CatArrInputTensorMetadataIS5_T0_XT2_EXT3_EEENS1_16TensorSizeStrideIS8_Lj4EEEiS8_
                                        ; -- End function
	.set _ZN2at6native12_GLOBAL__N_119CatArrayBatchedCopyINS1_10OpaqueTypeILj4EEEjLi1ELi128ELi1EEEvPT_NS1_25CatArrInputTensorMetadataIS5_T0_XT2_EXT3_EEENS1_16TensorSizeStrideIS8_Lj4EEEiS8_.num_vgpr, 7
	.set _ZN2at6native12_GLOBAL__N_119CatArrayBatchedCopyINS1_10OpaqueTypeILj4EEEjLi1ELi128ELi1EEEvPT_NS1_25CatArrInputTensorMetadataIS5_T0_XT2_EXT3_EEENS1_16TensorSizeStrideIS8_Lj4EEEiS8_.num_agpr, 0
	.set _ZN2at6native12_GLOBAL__N_119CatArrayBatchedCopyINS1_10OpaqueTypeILj4EEEjLi1ELi128ELi1EEEvPT_NS1_25CatArrInputTensorMetadataIS5_T0_XT2_EXT3_EEENS1_16TensorSizeStrideIS8_Lj4EEEiS8_.numbered_sgpr, 18
	.set _ZN2at6native12_GLOBAL__N_119CatArrayBatchedCopyINS1_10OpaqueTypeILj4EEEjLi1ELi128ELi1EEEvPT_NS1_25CatArrInputTensorMetadataIS5_T0_XT2_EXT3_EEENS1_16TensorSizeStrideIS8_Lj4EEEiS8_.num_named_barrier, 0
	.set _ZN2at6native12_GLOBAL__N_119CatArrayBatchedCopyINS1_10OpaqueTypeILj4EEEjLi1ELi128ELi1EEEvPT_NS1_25CatArrInputTensorMetadataIS5_T0_XT2_EXT3_EEENS1_16TensorSizeStrideIS8_Lj4EEEiS8_.private_seg_size, 0
	.set _ZN2at6native12_GLOBAL__N_119CatArrayBatchedCopyINS1_10OpaqueTypeILj4EEEjLi1ELi128ELi1EEEvPT_NS1_25CatArrInputTensorMetadataIS5_T0_XT2_EXT3_EEENS1_16TensorSizeStrideIS8_Lj4EEEiS8_.uses_vcc, 1
	.set _ZN2at6native12_GLOBAL__N_119CatArrayBatchedCopyINS1_10OpaqueTypeILj4EEEjLi1ELi128ELi1EEEvPT_NS1_25CatArrInputTensorMetadataIS5_T0_XT2_EXT3_EEENS1_16TensorSizeStrideIS8_Lj4EEEiS8_.uses_flat_scratch, 0
	.set _ZN2at6native12_GLOBAL__N_119CatArrayBatchedCopyINS1_10OpaqueTypeILj4EEEjLi1ELi128ELi1EEEvPT_NS1_25CatArrInputTensorMetadataIS5_T0_XT2_EXT3_EEENS1_16TensorSizeStrideIS8_Lj4EEEiS8_.has_dyn_sized_stack, 0
	.set _ZN2at6native12_GLOBAL__N_119CatArrayBatchedCopyINS1_10OpaqueTypeILj4EEEjLi1ELi128ELi1EEEvPT_NS1_25CatArrInputTensorMetadataIS5_T0_XT2_EXT3_EEENS1_16TensorSizeStrideIS8_Lj4EEEiS8_.has_recursion, 0
	.set _ZN2at6native12_GLOBAL__N_119CatArrayBatchedCopyINS1_10OpaqueTypeILj4EEEjLi1ELi128ELi1EEEvPT_NS1_25CatArrInputTensorMetadataIS5_T0_XT2_EXT3_EEENS1_16TensorSizeStrideIS8_Lj4EEEiS8_.has_indirect_call, 0
	.section	.AMDGPU.csdata,"",@progbits
; Kernel info:
; codeLenInByte = 424
; TotalNumSgprs: 20
; NumVgprs: 7
; ScratchSize: 0
; MemoryBound: 0
; FloatMode: 240
; IeeeMode: 1
; LDSByteSize: 0 bytes/workgroup (compile time only)
; SGPRBlocks: 0
; VGPRBlocks: 0
; NumSGPRsForWavesPerEU: 20
; NumVGPRsForWavesPerEU: 7
; Occupancy: 16
; WaveLimiterHint : 1
; COMPUTE_PGM_RSRC2:SCRATCH_EN: 0
; COMPUTE_PGM_RSRC2:USER_SGPR: 6
; COMPUTE_PGM_RSRC2:TRAP_HANDLER: 0
; COMPUTE_PGM_RSRC2:TGID_X_EN: 1
; COMPUTE_PGM_RSRC2:TGID_Y_EN: 1
; COMPUTE_PGM_RSRC2:TGID_Z_EN: 0
; COMPUTE_PGM_RSRC2:TIDIG_COMP_CNT: 0
	.section	.text._ZN2at6native12_GLOBAL__N_130CatArrayBatchedCopy_vectorizedINS1_10OpaqueTypeILj4EEEjLi2ELi128ELi1ELi16ELi4EEEvPcNS1_25CatArrInputTensorMetadataIT_T0_XT2_EXT3_EEENS1_16TensorSizeStrideIS8_Lj4EEEiS8_,"axG",@progbits,_ZN2at6native12_GLOBAL__N_130CatArrayBatchedCopy_vectorizedINS1_10OpaqueTypeILj4EEEjLi2ELi128ELi1ELi16ELi4EEEvPcNS1_25CatArrInputTensorMetadataIT_T0_XT2_EXT3_EEENS1_16TensorSizeStrideIS8_Lj4EEEiS8_,comdat
	.globl	_ZN2at6native12_GLOBAL__N_130CatArrayBatchedCopy_vectorizedINS1_10OpaqueTypeILj4EEEjLi2ELi128ELi1ELi16ELi4EEEvPcNS1_25CatArrInputTensorMetadataIT_T0_XT2_EXT3_EEENS1_16TensorSizeStrideIS8_Lj4EEEiS8_ ; -- Begin function _ZN2at6native12_GLOBAL__N_130CatArrayBatchedCopy_vectorizedINS1_10OpaqueTypeILj4EEEjLi2ELi128ELi1ELi16ELi4EEEvPcNS1_25CatArrInputTensorMetadataIT_T0_XT2_EXT3_EEENS1_16TensorSizeStrideIS8_Lj4EEEiS8_
	.p2align	8
	.type	_ZN2at6native12_GLOBAL__N_130CatArrayBatchedCopy_vectorizedINS1_10OpaqueTypeILj4EEEjLi2ELi128ELi1ELi16ELi4EEEvPcNS1_25CatArrInputTensorMetadataIT_T0_XT2_EXT3_EEENS1_16TensorSizeStrideIS8_Lj4EEEiS8_,@function
_ZN2at6native12_GLOBAL__N_130CatArrayBatchedCopy_vectorizedINS1_10OpaqueTypeILj4EEEjLi2ELi128ELi1ELi16ELi4EEEvPcNS1_25CatArrInputTensorMetadataIT_T0_XT2_EXT3_EEENS1_16TensorSizeStrideIS8_Lj4EEEiS8_: ; @_ZN2at6native12_GLOBAL__N_130CatArrayBatchedCopy_vectorizedINS1_10OpaqueTypeILj4EEEjLi2ELi128ELi1ELi16ELi4EEEvPcNS1_25CatArrInputTensorMetadataIT_T0_XT2_EXT3_EEENS1_16TensorSizeStrideIS8_Lj4EEEiS8_
; %bb.0:
	s_mov_b32 s0, s7
	s_load_dword s7, s[4:5], 0xadc
	s_mov_b32 s1, 0
	s_add_u32 s8, s4, 0xad0
	s_addc_u32 s9, s5, 0
	s_lshl_b64 s[2:3], s[0:1], 2
	s_waitcnt lgkmcnt(0)
	s_and_b32 s13, s7, 0xffff
	s_add_u32 s10, s4, s2
	s_addc_u32 s11, s5, s3
	v_mad_u64_u32 v[0:1], null, s6, s13, v[0:1]
	s_load_dword s12, s[10:11], 0x808
	s_add_u32 s0, s10, 8
	s_addc_u32 s7, s11, 0
	s_mov_b32 s10, exec_lo
	s_waitcnt lgkmcnt(0)
	s_lshr_b32 s6, s12, 2
	v_cmpx_gt_u32_e64 s6, v0
	s_cbranch_execz .LBB45_3
; %bb.1:
	s_add_u32 s14, s0, s2
	s_addc_u32 s15, s7, s3
	s_sub_u32 s0, 0, s2
	s_subb_u32 s3, 0, s3
	s_add_u32 s2, s14, s0
	s_addc_u32 s3, s15, s3
	s_clause 0x5
	s_load_dwordx2 s[10:11], s[4:5], 0xac8
	s_load_dword s0, s[2:3], 0x400
	s_load_dword s7, s[2:3], 0x600
	;; [unrolled: 1-line block ×3, first 2 shown]
	s_load_dwordx2 s[2:3], s[4:5], 0xab8
	s_load_dwordx2 s[4:5], s[4:5], 0x0
	s_load_dword s8, s[8:9], 0x0
	s_waitcnt lgkmcnt(0)
	s_mul_i32 s0, s0, s11
	s_mul_i32 s7, s7, s11
	s_lshr_b32 s0, s0, 2
	s_lshr_b32 s7, s7, 2
	s_lshl_b64 s[16:17], s[0:1], 4
	s_cmp_eq_u32 s10, 1
	s_mul_i32 s8, s8, s13
	s_cselect_b32 s7, s7, s12
	s_add_u32 s10, s4, s16
	v_cvt_f32_u32_e32 v1, s7
	s_addc_u32 s11, s5, s17
	s_sub_i32 s12, 0, s7
	s_load_dwordx2 s[4:5], s[14:15], 0x0
	v_rcp_iflag_f32_e32 v1, v1
	v_mul_f32_e32 v1, 0x4f7ffffe, v1
	v_cvt_u32_f32_e32 v1, v1
	v_mul_lo_u32 v2, s12, v1
	v_mul_hi_u32 v2, v1, v2
	v_add_nc_u32_e32 v2, v1, v2
	v_mov_b32_e32 v1, 0
	s_inst_prefetch 0x1
	.p2align	6
.LBB45_2:                               ; =>This Inner Loop Header: Depth=1
	v_lshlrev_b64 v[3:4], 4, v[0:1]
	v_mul_hi_u32 v9, v2, v0
	s_waitcnt lgkmcnt(0)
	v_add_co_u32 v3, vcc_lo, s4, v3
	v_add_co_ci_u32_e64 v4, null, s5, v4, vcc_lo
	v_mul_lo_u32 v10, s7, v9
	v_not_b32_e32 v7, v9
	v_add_nc_u32_e32 v11, 1, v9
	global_load_dwordx4 v[3:6], v[3:4], off
	v_mad_u64_u32 v[7:8], null, s7, v7, v[0:1]
	v_sub_nc_u32_e32 v8, v0, v10
	v_cmp_le_u32_e32 vcc_lo, s7, v8
	v_cndmask_b32_e32 v9, v9, v11, vcc_lo
	v_cndmask_b32_e32 v7, v8, v7, vcc_lo
	v_add_nc_u32_e32 v8, 1, v9
	v_cmp_le_u32_e32 vcc_lo, s7, v7
	v_cndmask_b32_e32 v9, v9, v8, vcc_lo
	v_mad_u64_u32 v[7:8], null, s12, v9, v[0:1]
	v_mul_lo_u32 v8, v9, s2
	v_add_nc_u32_e32 v0, s8, v0
	v_cmp_le_u32_e32 vcc_lo, s6, v0
	v_mad_u64_u32 v[7:8], null, v7, s3, v[8:9]
	v_mov_b32_e32 v8, v1
	s_or_b32 s1, vcc_lo, s1
	v_lshlrev_b64 v[7:8], 4, v[7:8]
	v_add_co_u32 v7, s0, s10, v7
	v_add_co_ci_u32_e64 v8, null, s11, v8, s0
	s_waitcnt vmcnt(0)
	global_store_dwordx4 v[7:8], v[3:6], off
	s_andn2_b32 exec_lo, exec_lo, s1
	s_cbranch_execnz .LBB45_2
.LBB45_3:
	s_inst_prefetch 0x2
	s_endpgm
	.section	.rodata,"a",@progbits
	.p2align	6, 0x0
	.amdhsa_kernel _ZN2at6native12_GLOBAL__N_130CatArrayBatchedCopy_vectorizedINS1_10OpaqueTypeILj4EEEjLi2ELi128ELi1ELi16ELi4EEEvPcNS1_25CatArrInputTensorMetadataIT_T0_XT2_EXT3_EEENS1_16TensorSizeStrideIS8_Lj4EEEiS8_
		.amdhsa_group_segment_fixed_size 0
		.amdhsa_private_segment_fixed_size 0
		.amdhsa_kernarg_size 3024
		.amdhsa_user_sgpr_count 6
		.amdhsa_user_sgpr_private_segment_buffer 1
		.amdhsa_user_sgpr_dispatch_ptr 0
		.amdhsa_user_sgpr_queue_ptr 0
		.amdhsa_user_sgpr_kernarg_segment_ptr 1
		.amdhsa_user_sgpr_dispatch_id 0
		.amdhsa_user_sgpr_flat_scratch_init 0
		.amdhsa_user_sgpr_private_segment_size 0
		.amdhsa_wavefront_size32 1
		.amdhsa_uses_dynamic_stack 0
		.amdhsa_system_sgpr_private_segment_wavefront_offset 0
		.amdhsa_system_sgpr_workgroup_id_x 1
		.amdhsa_system_sgpr_workgroup_id_y 1
		.amdhsa_system_sgpr_workgroup_id_z 0
		.amdhsa_system_sgpr_workgroup_info 0
		.amdhsa_system_vgpr_workitem_id 0
		.amdhsa_next_free_vgpr 12
		.amdhsa_next_free_sgpr 18
		.amdhsa_reserve_vcc 1
		.amdhsa_reserve_flat_scratch 0
		.amdhsa_float_round_mode_32 0
		.amdhsa_float_round_mode_16_64 0
		.amdhsa_float_denorm_mode_32 3
		.amdhsa_float_denorm_mode_16_64 3
		.amdhsa_dx10_clamp 1
		.amdhsa_ieee_mode 1
		.amdhsa_fp16_overflow 0
		.amdhsa_workgroup_processor_mode 1
		.amdhsa_memory_ordered 1
		.amdhsa_forward_progress 1
		.amdhsa_shared_vgpr_count 0
		.amdhsa_exception_fp_ieee_invalid_op 0
		.amdhsa_exception_fp_denorm_src 0
		.amdhsa_exception_fp_ieee_div_zero 0
		.amdhsa_exception_fp_ieee_overflow 0
		.amdhsa_exception_fp_ieee_underflow 0
		.amdhsa_exception_fp_ieee_inexact 0
		.amdhsa_exception_int_div_zero 0
	.end_amdhsa_kernel
	.section	.text._ZN2at6native12_GLOBAL__N_130CatArrayBatchedCopy_vectorizedINS1_10OpaqueTypeILj4EEEjLi2ELi128ELi1ELi16ELi4EEEvPcNS1_25CatArrInputTensorMetadataIT_T0_XT2_EXT3_EEENS1_16TensorSizeStrideIS8_Lj4EEEiS8_,"axG",@progbits,_ZN2at6native12_GLOBAL__N_130CatArrayBatchedCopy_vectorizedINS1_10OpaqueTypeILj4EEEjLi2ELi128ELi1ELi16ELi4EEEvPcNS1_25CatArrInputTensorMetadataIT_T0_XT2_EXT3_EEENS1_16TensorSizeStrideIS8_Lj4EEEiS8_,comdat
.Lfunc_end45:
	.size	_ZN2at6native12_GLOBAL__N_130CatArrayBatchedCopy_vectorizedINS1_10OpaqueTypeILj4EEEjLi2ELi128ELi1ELi16ELi4EEEvPcNS1_25CatArrInputTensorMetadataIT_T0_XT2_EXT3_EEENS1_16TensorSizeStrideIS8_Lj4EEEiS8_, .Lfunc_end45-_ZN2at6native12_GLOBAL__N_130CatArrayBatchedCopy_vectorizedINS1_10OpaqueTypeILj4EEEjLi2ELi128ELi1ELi16ELi4EEEvPcNS1_25CatArrInputTensorMetadataIT_T0_XT2_EXT3_EEENS1_16TensorSizeStrideIS8_Lj4EEEiS8_
                                        ; -- End function
	.set _ZN2at6native12_GLOBAL__N_130CatArrayBatchedCopy_vectorizedINS1_10OpaqueTypeILj4EEEjLi2ELi128ELi1ELi16ELi4EEEvPcNS1_25CatArrInputTensorMetadataIT_T0_XT2_EXT3_EEENS1_16TensorSizeStrideIS8_Lj4EEEiS8_.num_vgpr, 12
	.set _ZN2at6native12_GLOBAL__N_130CatArrayBatchedCopy_vectorizedINS1_10OpaqueTypeILj4EEEjLi2ELi128ELi1ELi16ELi4EEEvPcNS1_25CatArrInputTensorMetadataIT_T0_XT2_EXT3_EEENS1_16TensorSizeStrideIS8_Lj4EEEiS8_.num_agpr, 0
	.set _ZN2at6native12_GLOBAL__N_130CatArrayBatchedCopy_vectorizedINS1_10OpaqueTypeILj4EEEjLi2ELi128ELi1ELi16ELi4EEEvPcNS1_25CatArrInputTensorMetadataIT_T0_XT2_EXT3_EEENS1_16TensorSizeStrideIS8_Lj4EEEiS8_.numbered_sgpr, 18
	.set _ZN2at6native12_GLOBAL__N_130CatArrayBatchedCopy_vectorizedINS1_10OpaqueTypeILj4EEEjLi2ELi128ELi1ELi16ELi4EEEvPcNS1_25CatArrInputTensorMetadataIT_T0_XT2_EXT3_EEENS1_16TensorSizeStrideIS8_Lj4EEEiS8_.num_named_barrier, 0
	.set _ZN2at6native12_GLOBAL__N_130CatArrayBatchedCopy_vectorizedINS1_10OpaqueTypeILj4EEEjLi2ELi128ELi1ELi16ELi4EEEvPcNS1_25CatArrInputTensorMetadataIT_T0_XT2_EXT3_EEENS1_16TensorSizeStrideIS8_Lj4EEEiS8_.private_seg_size, 0
	.set _ZN2at6native12_GLOBAL__N_130CatArrayBatchedCopy_vectorizedINS1_10OpaqueTypeILj4EEEjLi2ELi128ELi1ELi16ELi4EEEvPcNS1_25CatArrInputTensorMetadataIT_T0_XT2_EXT3_EEENS1_16TensorSizeStrideIS8_Lj4EEEiS8_.uses_vcc, 1
	.set _ZN2at6native12_GLOBAL__N_130CatArrayBatchedCopy_vectorizedINS1_10OpaqueTypeILj4EEEjLi2ELi128ELi1ELi16ELi4EEEvPcNS1_25CatArrInputTensorMetadataIT_T0_XT2_EXT3_EEENS1_16TensorSizeStrideIS8_Lj4EEEiS8_.uses_flat_scratch, 0
	.set _ZN2at6native12_GLOBAL__N_130CatArrayBatchedCopy_vectorizedINS1_10OpaqueTypeILj4EEEjLi2ELi128ELi1ELi16ELi4EEEvPcNS1_25CatArrInputTensorMetadataIT_T0_XT2_EXT3_EEENS1_16TensorSizeStrideIS8_Lj4EEEiS8_.has_dyn_sized_stack, 0
	.set _ZN2at6native12_GLOBAL__N_130CatArrayBatchedCopy_vectorizedINS1_10OpaqueTypeILj4EEEjLi2ELi128ELi1ELi16ELi4EEEvPcNS1_25CatArrInputTensorMetadataIT_T0_XT2_EXT3_EEENS1_16TensorSizeStrideIS8_Lj4EEEiS8_.has_recursion, 0
	.set _ZN2at6native12_GLOBAL__N_130CatArrayBatchedCopy_vectorizedINS1_10OpaqueTypeILj4EEEjLi2ELi128ELi1ELi16ELi4EEEvPcNS1_25CatArrInputTensorMetadataIT_T0_XT2_EXT3_EEENS1_16TensorSizeStrideIS8_Lj4EEEiS8_.has_indirect_call, 0
	.section	.AMDGPU.csdata,"",@progbits
; Kernel info:
; codeLenInByte = 508
; TotalNumSgprs: 20
; NumVgprs: 12
; ScratchSize: 0
; MemoryBound: 0
; FloatMode: 240
; IeeeMode: 1
; LDSByteSize: 0 bytes/workgroup (compile time only)
; SGPRBlocks: 0
; VGPRBlocks: 1
; NumSGPRsForWavesPerEU: 20
; NumVGPRsForWavesPerEU: 12
; Occupancy: 16
; WaveLimiterHint : 1
; COMPUTE_PGM_RSRC2:SCRATCH_EN: 0
; COMPUTE_PGM_RSRC2:USER_SGPR: 6
; COMPUTE_PGM_RSRC2:TRAP_HANDLER: 0
; COMPUTE_PGM_RSRC2:TGID_X_EN: 1
; COMPUTE_PGM_RSRC2:TGID_Y_EN: 1
; COMPUTE_PGM_RSRC2:TGID_Z_EN: 0
; COMPUTE_PGM_RSRC2:TIDIG_COMP_CNT: 0
	.section	.text._ZN2at6native12_GLOBAL__N_135CatArrayBatchedCopy_alignedK_contigINS1_10OpaqueTypeILj4EEEjLi2ELi128ELi1ELi16EEEvPT_NS1_25CatArrInputTensorMetadataIS5_T0_XT2_EXT3_EEENS1_16TensorSizeStrideIS8_Lj4EEEiS8_,"axG",@progbits,_ZN2at6native12_GLOBAL__N_135CatArrayBatchedCopy_alignedK_contigINS1_10OpaqueTypeILj4EEEjLi2ELi128ELi1ELi16EEEvPT_NS1_25CatArrInputTensorMetadataIS5_T0_XT2_EXT3_EEENS1_16TensorSizeStrideIS8_Lj4EEEiS8_,comdat
	.globl	_ZN2at6native12_GLOBAL__N_135CatArrayBatchedCopy_alignedK_contigINS1_10OpaqueTypeILj4EEEjLi2ELi128ELi1ELi16EEEvPT_NS1_25CatArrInputTensorMetadataIS5_T0_XT2_EXT3_EEENS1_16TensorSizeStrideIS8_Lj4EEEiS8_ ; -- Begin function _ZN2at6native12_GLOBAL__N_135CatArrayBatchedCopy_alignedK_contigINS1_10OpaqueTypeILj4EEEjLi2ELi128ELi1ELi16EEEvPT_NS1_25CatArrInputTensorMetadataIS5_T0_XT2_EXT3_EEENS1_16TensorSizeStrideIS8_Lj4EEEiS8_
	.p2align	8
	.type	_ZN2at6native12_GLOBAL__N_135CatArrayBatchedCopy_alignedK_contigINS1_10OpaqueTypeILj4EEEjLi2ELi128ELi1ELi16EEEvPT_NS1_25CatArrInputTensorMetadataIS5_T0_XT2_EXT3_EEENS1_16TensorSizeStrideIS8_Lj4EEEiS8_,@function
_ZN2at6native12_GLOBAL__N_135CatArrayBatchedCopy_alignedK_contigINS1_10OpaqueTypeILj4EEEjLi2ELi128ELi1ELi16EEEvPT_NS1_25CatArrInputTensorMetadataIS5_T0_XT2_EXT3_EEENS1_16TensorSizeStrideIS8_Lj4EEEiS8_: ; @_ZN2at6native12_GLOBAL__N_135CatArrayBatchedCopy_alignedK_contigINS1_10OpaqueTypeILj4EEEjLi2ELi128ELi1ELi16EEEvPT_NS1_25CatArrInputTensorMetadataIS5_T0_XT2_EXT3_EEENS1_16TensorSizeStrideIS8_Lj4EEEiS8_
; %bb.0:
	s_mov_b32 s2, s7
	s_load_dword s7, s[4:5], 0xadc
	s_mov_b32 s3, 0
	s_add_u32 s0, s4, 0xad0
	s_addc_u32 s1, s5, 0
	s_lshl_b64 s[2:3], s[2:3], 2
	s_waitcnt lgkmcnt(0)
	s_and_b32 s12, s7, 0xffff
	s_add_u32 s8, s4, s2
	s_addc_u32 s9, s5, s3
	s_mul_i32 s6, s6, s12
	s_load_dword s13, s[8:9], 0x808
	v_add_lshl_u32 v0, s6, v0, 2
	s_add_u32 s6, s8, 8
	s_addc_u32 s7, s9, 0
	s_mov_b32 s8, exec_lo
	s_waitcnt lgkmcnt(0)
	v_cmpx_gt_u32_e64 s13, v0
	s_cbranch_execz .LBB46_8
; %bb.1:
	s_add_u32 s8, s6, s2
	s_addc_u32 s9, s7, s3
	s_sub_u32 s2, 0, s2
	s_subb_u32 s3, 0, s3
	s_add_u32 s2, s8, s2
	s_addc_u32 s3, s9, s3
	s_clause 0x6
	s_load_dwordx2 s[6:7], s[4:5], 0x0
	s_load_dwordx2 s[10:11], s[4:5], 0xac8
	s_load_dword s14, s[4:5], 0xaac
	s_load_dwordx2 s[4:5], s[4:5], 0xab8
	s_load_dword s16, s[2:3], 0x400
	;; [unrolled: 2-line block ×3, first 2 shown]
	v_add_nc_u32_e32 v1, 4, v0
	s_waitcnt lgkmcnt(0)
	s_mul_i32 s3, s16, s11
	s_mov_b32 s11, exec_lo
	v_cmpx_ge_u32_e64 s13, v1
	s_cbranch_execz .LBB46_5
; %bb.2:
	s_load_dword s0, s[0:1], 0x0
	v_add_nc_u32_e32 v2, 3, v0
	v_add_nc_u32_e32 v3, 2, v0
	s_mov_b32 s19, 0
	s_waitcnt lgkmcnt(0)
	s_mul_i32 s0, s0, s12
	s_mov_b32 s12, s5
	s_lshl_b32 s16, s0, 2
	s_cmp_eq_u32 s10, 1
	s_cselect_b32 s17, s15, s14
	v_cvt_f32_u32_e32 v1, s17
	s_sub_i32 s18, 0, s17
	v_rcp_iflag_f32_e32 v1, v1
	v_mul_f32_e32 v1, 0x4f7ffffe, v1
	v_cvt_u32_f32_e32 v4, v1
	v_mul_lo_u32 v1, s18, v4
	v_mul_hi_u32 v5, v4, v1
	v_mov_b32_e32 v1, 0
	v_add_nc_u32_e32 v4, v4, v5
	v_add_nc_u32_e32 v5, 1, v0
.LBB46_3:                               ; =>This Inner Loop Header: Depth=1
	v_lshlrev_b64 v[6:7], 2, v[0:1]
	v_mul_hi_u32 v14, v4, v0
	v_mul_hi_u32 v22, v4, v5
	;; [unrolled: 1-line block ×4, first 2 shown]
	v_add_nc_u32_e32 v10, 1, v0
	v_add_co_u32 v6, vcc_lo, s8, v6
	v_add_co_ci_u32_e64 v7, null, s9, v7, vcc_lo
	v_add_nc_u32_e32 v11, 2, v0
	v_add_nc_u32_e32 v12, 3, v0
	v_mov_b32_e32 v13, v1
	global_load_dwordx4 v[6:9], v[6:7], off
	v_not_b32_e32 v25, v14
	v_mad_u64_u32 v[20:21], null, s18, v14, v[0:1]
	v_not_b32_e32 v26, v22
	v_mad_u64_u32 v[21:22], null, s18, v22, v[10:11]
	v_mul_hi_u32 v29, v10, v4
	v_mad_u64_u32 v[22:23], null, s18, v18, v[11:12]
	v_mad_u64_u32 v[23:24], null, s18, v16, v[12:13]
	v_mul_hi_u32 v30, v11, v4
	v_not_b32_e32 v27, v18
	v_mad_u64_u32 v[24:25], null, s17, v25, v[0:1]
	v_mul_hi_u32 v31, v12, v4
	v_not_b32_e32 v28, v16
	v_add_nc_u32_e32 v32, 1, v14
	v_mad_u64_u32 v[25:26], null, s17, v26, v[10:11]
	v_cmp_le_u32_e32 vcc_lo, s17, v20
	v_mad_u64_u32 v[26:27], null, s17, v27, v[11:12]
	v_add_nc_u32_e32 v16, 1, v29
	v_mad_u64_u32 v[27:28], null, s17, v28, v[12:13]
	v_cmp_le_u32_e64 s2, s17, v21
	v_add_nc_u32_e32 v10, 1, v30
	v_cndmask_b32_e32 v14, v14, v32, vcc_lo
	v_cmp_le_u32_e64 s0, s17, v22
	v_cndmask_b32_e32 v20, v20, v24, vcc_lo
	v_add_nc_u32_e32 v18, 1, v31
	v_cmp_le_u32_e64 s1, s17, v23
	v_cndmask_b32_e64 v16, v29, v16, s2
	v_cndmask_b32_e64 v21, v21, v25, s2
	v_cndmask_b32_e64 v10, v30, v10, s0
	v_add_nc_u32_e32 v24, 1, v14
	v_cndmask_b32_e64 v22, v22, v26, s0
	v_cmp_le_u32_e32 vcc_lo, s17, v20
	v_cndmask_b32_e64 v18, v31, v18, s1
	v_cndmask_b32_e64 v23, v23, v27, s1
	v_add_nc_u32_e32 v25, 1, v16
	v_cmp_le_u32_e64 s1, s17, v21
	v_add_nc_u32_e32 v26, 1, v10
	v_cndmask_b32_e32 v14, v14, v24, vcc_lo
	v_cmp_le_u32_e32 vcc_lo, s17, v22
	v_add_nc_u32_e32 v27, 1, v18
	v_cmp_le_u32_e64 s0, s17, v23
	v_cndmask_b32_e64 v16, v16, v25, s1
	v_mad_u64_u32 v[20:21], null, s18, v14, v[0:1]
	v_cndmask_b32_e32 v23, v10, v26, vcc_lo
	v_cndmask_b32_e64 v18, v18, v27, s0
	v_mad_u64_u32 v[21:22], null, s18, v16, v[0:1]
	v_add_nc_u32_e32 v0, s16, v0
	v_mad_u64_u32 v[10:11], null, s18, v23, v[11:12]
	v_mad_u64_u32 v[11:12], null, s18, v18, v[12:13]
	v_mul_lo_u32 v14, v14, s4
	v_mul_lo_u32 v22, v23, s4
	;; [unrolled: 1-line block ×4, first 2 shown]
	v_mad_u64_u32 v[20:21], null, s5, v21, s[12:13]
	v_add_nc_u32_e32 v12, 4, v0
	v_mul_lo_u32 v10, v10, s5
	v_mul_lo_u32 v18, v18, s4
	;; [unrolled: 1-line block ×3, first 2 shown]
	v_mov_b32_e32 v15, v1
	v_cmp_lt_u32_e32 vcc_lo, s13, v12
	v_add3_u32 v12, v23, v14, s3
	v_add3_u32 v14, v20, v16, s3
	v_mov_b32_e32 v17, v1
	v_add3_u32 v16, v10, v22, s3
	v_mov_b32_e32 v19, v1
	v_add3_u32 v18, v11, v18, s3
	v_lshlrev_b64 v[10:11], 2, v[12:13]
	v_lshlrev_b64 v[12:13], 2, v[14:15]
	;; [unrolled: 1-line block ×3, first 2 shown]
	v_add_nc_u32_e32 v2, s16, v2
	v_lshlrev_b64 v[16:17], 2, v[18:19]
	v_add_nc_u32_e32 v3, s16, v3
	v_add_co_u32 v10, s0, s6, v10
	v_add_co_ci_u32_e64 v11, null, s7, v11, s0
	v_add_co_u32 v12, s0, s6, v12
	v_add_co_ci_u32_e64 v13, null, s7, v13, s0
	v_add_co_u32 v14, s0, s6, v14
	v_add_nc_u32_e32 v5, s16, v5
	v_add_co_ci_u32_e64 v15, null, s7, v15, s0
	v_add_co_u32 v16, s0, s6, v16
	v_add_co_ci_u32_e64 v17, null, s7, v17, s0
	s_or_b32 s19, vcc_lo, s19
	s_waitcnt vmcnt(0)
	global_store_dword v[10:11], v6, off
	global_store_dword v[12:13], v7, off
	;; [unrolled: 1-line block ×4, first 2 shown]
	s_andn2_b32 exec_lo, exec_lo, s19
	s_cbranch_execnz .LBB46_3
; %bb.4:
	s_or_b32 exec_lo, exec_lo, s19
.LBB46_5:
	s_or_b32 exec_lo, exec_lo, s11
	v_cmp_gt_u32_e32 vcc_lo, s13, v0
	s_and_b32 exec_lo, exec_lo, vcc_lo
	s_cbranch_execz .LBB46_8
; %bb.6:
	s_cmp_eq_u32 s10, 1
	v_mov_b32_e32 v2, 0
	s_cselect_b32 s2, s15, s14
	v_cvt_f32_u32_e32 v1, s2
	s_sub_i32 s10, 0, s2
	v_rcp_iflag_f32_e32 v1, v1
	v_mul_f32_e32 v1, 0x4f7ffffe, v1
	v_cvt_u32_f32_e32 v3, v1
	v_mul_lo_u32 v1, s10, v3
	v_mul_hi_u32 v4, v3, v1
	v_mov_b32_e32 v1, v2
	v_lshlrev_b64 v[5:6], 2, v[0:1]
	v_add_nc_u32_e32 v7, v3, v4
	v_add_co_u32 v5, vcc_lo, s8, v5
	v_mad_u64_u32 v[3:4], null, v0, v7, 0
	v_add_co_ci_u32_e64 v6, null, s9, v6, vcc_lo
	s_mov_b32 s8, 0
	s_inst_prefetch 0x1
	.p2align	6
.LBB46_7:                               ; =>This Inner Loop Header: Depth=1
	global_load_dword v10, v[5:6], off
	v_mul_lo_u32 v1, s2, v4
	v_not_b32_e32 v8, v4
	v_add_nc_u32_e32 v11, 1, v4
	v_add_co_u32 v5, s0, v5, 4
	v_add_co_ci_u32_e64 v6, null, 0, v6, s0
	v_mad_u64_u32 v[8:9], null, s2, v8, v[0:1]
	v_sub_nc_u32_e32 v1, v0, v1
	v_cmp_le_u32_e32 vcc_lo, s2, v1
	v_cndmask_b32_e32 v9, v4, v11, vcc_lo
	v_cndmask_b32_e32 v1, v1, v8, vcc_lo
	v_add_nc_u32_e32 v8, 1, v9
	v_cmp_le_u32_e32 vcc_lo, s2, v1
	v_cndmask_b32_e32 v1, v9, v8, vcc_lo
	v_add_co_u32 v3, vcc_lo, v3, v7
	v_add_co_ci_u32_e64 v4, null, 0, v4, vcc_lo
	v_mad_u64_u32 v[8:9], null, s10, v1, v[0:1]
	v_mul_lo_u32 v1, v1, s4
	v_add_nc_u32_e32 v0, 1, v0
	v_mul_lo_u32 v8, v8, s5
	v_cmp_le_u32_e64 s0, s13, v0
	s_or_b32 s8, s0, s8
	v_add3_u32 v1, v8, v1, s3
	v_lshlrev_b64 v[8:9], 2, v[1:2]
	v_add_co_u32 v8, s1, s6, v8
	v_add_co_ci_u32_e64 v9, null, s7, v9, s1
	s_waitcnt vmcnt(0)
	global_store_dword v[8:9], v10, off
	s_andn2_b32 exec_lo, exec_lo, s8
	s_cbranch_execnz .LBB46_7
.LBB46_8:
	s_inst_prefetch 0x2
	s_endpgm
	.section	.rodata,"a",@progbits
	.p2align	6, 0x0
	.amdhsa_kernel _ZN2at6native12_GLOBAL__N_135CatArrayBatchedCopy_alignedK_contigINS1_10OpaqueTypeILj4EEEjLi2ELi128ELi1ELi16EEEvPT_NS1_25CatArrInputTensorMetadataIS5_T0_XT2_EXT3_EEENS1_16TensorSizeStrideIS8_Lj4EEEiS8_
		.amdhsa_group_segment_fixed_size 0
		.amdhsa_private_segment_fixed_size 0
		.amdhsa_kernarg_size 3024
		.amdhsa_user_sgpr_count 6
		.amdhsa_user_sgpr_private_segment_buffer 1
		.amdhsa_user_sgpr_dispatch_ptr 0
		.amdhsa_user_sgpr_queue_ptr 0
		.amdhsa_user_sgpr_kernarg_segment_ptr 1
		.amdhsa_user_sgpr_dispatch_id 0
		.amdhsa_user_sgpr_flat_scratch_init 0
		.amdhsa_user_sgpr_private_segment_size 0
		.amdhsa_wavefront_size32 1
		.amdhsa_uses_dynamic_stack 0
		.amdhsa_system_sgpr_private_segment_wavefront_offset 0
		.amdhsa_system_sgpr_workgroup_id_x 1
		.amdhsa_system_sgpr_workgroup_id_y 1
		.amdhsa_system_sgpr_workgroup_id_z 0
		.amdhsa_system_sgpr_workgroup_info 0
		.amdhsa_system_vgpr_workitem_id 0
		.amdhsa_next_free_vgpr 33
		.amdhsa_next_free_sgpr 20
		.amdhsa_reserve_vcc 1
		.amdhsa_reserve_flat_scratch 0
		.amdhsa_float_round_mode_32 0
		.amdhsa_float_round_mode_16_64 0
		.amdhsa_float_denorm_mode_32 3
		.amdhsa_float_denorm_mode_16_64 3
		.amdhsa_dx10_clamp 1
		.amdhsa_ieee_mode 1
		.amdhsa_fp16_overflow 0
		.amdhsa_workgroup_processor_mode 1
		.amdhsa_memory_ordered 1
		.amdhsa_forward_progress 1
		.amdhsa_shared_vgpr_count 0
		.amdhsa_exception_fp_ieee_invalid_op 0
		.amdhsa_exception_fp_denorm_src 0
		.amdhsa_exception_fp_ieee_div_zero 0
		.amdhsa_exception_fp_ieee_overflow 0
		.amdhsa_exception_fp_ieee_underflow 0
		.amdhsa_exception_fp_ieee_inexact 0
		.amdhsa_exception_int_div_zero 0
	.end_amdhsa_kernel
	.section	.text._ZN2at6native12_GLOBAL__N_135CatArrayBatchedCopy_alignedK_contigINS1_10OpaqueTypeILj4EEEjLi2ELi128ELi1ELi16EEEvPT_NS1_25CatArrInputTensorMetadataIS5_T0_XT2_EXT3_EEENS1_16TensorSizeStrideIS8_Lj4EEEiS8_,"axG",@progbits,_ZN2at6native12_GLOBAL__N_135CatArrayBatchedCopy_alignedK_contigINS1_10OpaqueTypeILj4EEEjLi2ELi128ELi1ELi16EEEvPT_NS1_25CatArrInputTensorMetadataIS5_T0_XT2_EXT3_EEENS1_16TensorSizeStrideIS8_Lj4EEEiS8_,comdat
.Lfunc_end46:
	.size	_ZN2at6native12_GLOBAL__N_135CatArrayBatchedCopy_alignedK_contigINS1_10OpaqueTypeILj4EEEjLi2ELi128ELi1ELi16EEEvPT_NS1_25CatArrInputTensorMetadataIS5_T0_XT2_EXT3_EEENS1_16TensorSizeStrideIS8_Lj4EEEiS8_, .Lfunc_end46-_ZN2at6native12_GLOBAL__N_135CatArrayBatchedCopy_alignedK_contigINS1_10OpaqueTypeILj4EEEjLi2ELi128ELi1ELi16EEEvPT_NS1_25CatArrInputTensorMetadataIS5_T0_XT2_EXT3_EEENS1_16TensorSizeStrideIS8_Lj4EEEiS8_
                                        ; -- End function
	.set _ZN2at6native12_GLOBAL__N_135CatArrayBatchedCopy_alignedK_contigINS1_10OpaqueTypeILj4EEEjLi2ELi128ELi1ELi16EEEvPT_NS1_25CatArrInputTensorMetadataIS5_T0_XT2_EXT3_EEENS1_16TensorSizeStrideIS8_Lj4EEEiS8_.num_vgpr, 33
	.set _ZN2at6native12_GLOBAL__N_135CatArrayBatchedCopy_alignedK_contigINS1_10OpaqueTypeILj4EEEjLi2ELi128ELi1ELi16EEEvPT_NS1_25CatArrInputTensorMetadataIS5_T0_XT2_EXT3_EEENS1_16TensorSizeStrideIS8_Lj4EEEiS8_.num_agpr, 0
	.set _ZN2at6native12_GLOBAL__N_135CatArrayBatchedCopy_alignedK_contigINS1_10OpaqueTypeILj4EEEjLi2ELi128ELi1ELi16EEEvPT_NS1_25CatArrInputTensorMetadataIS5_T0_XT2_EXT3_EEENS1_16TensorSizeStrideIS8_Lj4EEEiS8_.numbered_sgpr, 20
	.set _ZN2at6native12_GLOBAL__N_135CatArrayBatchedCopy_alignedK_contigINS1_10OpaqueTypeILj4EEEjLi2ELi128ELi1ELi16EEEvPT_NS1_25CatArrInputTensorMetadataIS5_T0_XT2_EXT3_EEENS1_16TensorSizeStrideIS8_Lj4EEEiS8_.num_named_barrier, 0
	.set _ZN2at6native12_GLOBAL__N_135CatArrayBatchedCopy_alignedK_contigINS1_10OpaqueTypeILj4EEEjLi2ELi128ELi1ELi16EEEvPT_NS1_25CatArrInputTensorMetadataIS5_T0_XT2_EXT3_EEENS1_16TensorSizeStrideIS8_Lj4EEEiS8_.private_seg_size, 0
	.set _ZN2at6native12_GLOBAL__N_135CatArrayBatchedCopy_alignedK_contigINS1_10OpaqueTypeILj4EEEjLi2ELi128ELi1ELi16EEEvPT_NS1_25CatArrInputTensorMetadataIS5_T0_XT2_EXT3_EEENS1_16TensorSizeStrideIS8_Lj4EEEiS8_.uses_vcc, 1
	.set _ZN2at6native12_GLOBAL__N_135CatArrayBatchedCopy_alignedK_contigINS1_10OpaqueTypeILj4EEEjLi2ELi128ELi1ELi16EEEvPT_NS1_25CatArrInputTensorMetadataIS5_T0_XT2_EXT3_EEENS1_16TensorSizeStrideIS8_Lj4EEEiS8_.uses_flat_scratch, 0
	.set _ZN2at6native12_GLOBAL__N_135CatArrayBatchedCopy_alignedK_contigINS1_10OpaqueTypeILj4EEEjLi2ELi128ELi1ELi16EEEvPT_NS1_25CatArrInputTensorMetadataIS5_T0_XT2_EXT3_EEENS1_16TensorSizeStrideIS8_Lj4EEEiS8_.has_dyn_sized_stack, 0
	.set _ZN2at6native12_GLOBAL__N_135CatArrayBatchedCopy_alignedK_contigINS1_10OpaqueTypeILj4EEEjLi2ELi128ELi1ELi16EEEvPT_NS1_25CatArrInputTensorMetadataIS5_T0_XT2_EXT3_EEENS1_16TensorSizeStrideIS8_Lj4EEEiS8_.has_recursion, 0
	.set _ZN2at6native12_GLOBAL__N_135CatArrayBatchedCopy_alignedK_contigINS1_10OpaqueTypeILj4EEEjLi2ELi128ELi1ELi16EEEvPT_NS1_25CatArrInputTensorMetadataIS5_T0_XT2_EXT3_EEENS1_16TensorSizeStrideIS8_Lj4EEEiS8_.has_indirect_call, 0
	.section	.AMDGPU.csdata,"",@progbits
; Kernel info:
; codeLenInByte = 1280
; TotalNumSgprs: 22
; NumVgprs: 33
; ScratchSize: 0
; MemoryBound: 0
; FloatMode: 240
; IeeeMode: 1
; LDSByteSize: 0 bytes/workgroup (compile time only)
; SGPRBlocks: 0
; VGPRBlocks: 4
; NumSGPRsForWavesPerEU: 22
; NumVGPRsForWavesPerEU: 33
; Occupancy: 16
; WaveLimiterHint : 1
; COMPUTE_PGM_RSRC2:SCRATCH_EN: 0
; COMPUTE_PGM_RSRC2:USER_SGPR: 6
; COMPUTE_PGM_RSRC2:TRAP_HANDLER: 0
; COMPUTE_PGM_RSRC2:TGID_X_EN: 1
; COMPUTE_PGM_RSRC2:TGID_Y_EN: 1
; COMPUTE_PGM_RSRC2:TGID_Z_EN: 0
; COMPUTE_PGM_RSRC2:TIDIG_COMP_CNT: 0
	.section	.text._ZN2at6native12_GLOBAL__N_135CatArrayBatchedCopy_alignedK_contigINS1_10OpaqueTypeILj4EEEjLi2ELi128ELi1ELi8EEEvPT_NS1_25CatArrInputTensorMetadataIS5_T0_XT2_EXT3_EEENS1_16TensorSizeStrideIS8_Lj4EEEiS8_,"axG",@progbits,_ZN2at6native12_GLOBAL__N_135CatArrayBatchedCopy_alignedK_contigINS1_10OpaqueTypeILj4EEEjLi2ELi128ELi1ELi8EEEvPT_NS1_25CatArrInputTensorMetadataIS5_T0_XT2_EXT3_EEENS1_16TensorSizeStrideIS8_Lj4EEEiS8_,comdat
	.globl	_ZN2at6native12_GLOBAL__N_135CatArrayBatchedCopy_alignedK_contigINS1_10OpaqueTypeILj4EEEjLi2ELi128ELi1ELi8EEEvPT_NS1_25CatArrInputTensorMetadataIS5_T0_XT2_EXT3_EEENS1_16TensorSizeStrideIS8_Lj4EEEiS8_ ; -- Begin function _ZN2at6native12_GLOBAL__N_135CatArrayBatchedCopy_alignedK_contigINS1_10OpaqueTypeILj4EEEjLi2ELi128ELi1ELi8EEEvPT_NS1_25CatArrInputTensorMetadataIS5_T0_XT2_EXT3_EEENS1_16TensorSizeStrideIS8_Lj4EEEiS8_
	.p2align	8
	.type	_ZN2at6native12_GLOBAL__N_135CatArrayBatchedCopy_alignedK_contigINS1_10OpaqueTypeILj4EEEjLi2ELi128ELi1ELi8EEEvPT_NS1_25CatArrInputTensorMetadataIS5_T0_XT2_EXT3_EEENS1_16TensorSizeStrideIS8_Lj4EEEiS8_,@function
_ZN2at6native12_GLOBAL__N_135CatArrayBatchedCopy_alignedK_contigINS1_10OpaqueTypeILj4EEEjLi2ELi128ELi1ELi8EEEvPT_NS1_25CatArrInputTensorMetadataIS5_T0_XT2_EXT3_EEENS1_16TensorSizeStrideIS8_Lj4EEEiS8_: ; @_ZN2at6native12_GLOBAL__N_135CatArrayBatchedCopy_alignedK_contigINS1_10OpaqueTypeILj4EEEjLi2ELi128ELi1ELi8EEEvPT_NS1_25CatArrInputTensorMetadataIS5_T0_XT2_EXT3_EEENS1_16TensorSizeStrideIS8_Lj4EEEiS8_
; %bb.0:
	s_mov_b32 s2, s7
	s_load_dword s7, s[4:5], 0xadc
	s_mov_b32 s3, 0
	s_add_u32 s0, s4, 0xad0
	s_addc_u32 s1, s5, 0
	s_lshl_b64 s[2:3], s[2:3], 2
	s_waitcnt lgkmcnt(0)
	s_and_b32 s10, s7, 0xffff
	s_add_u32 s8, s4, s2
	s_addc_u32 s9, s5, s3
	s_mul_i32 s6, s6, s10
	s_load_dword s11, s[8:9], 0x808
	v_add_lshl_u32 v0, s6, v0, 1
	s_add_u32 s6, s8, 8
	s_addc_u32 s7, s9, 0
	s_mov_b32 s8, exec_lo
	s_waitcnt lgkmcnt(0)
	v_cmpx_gt_u32_e64 s11, v0
	s_cbranch_execz .LBB47_8
; %bb.1:
	s_add_u32 s6, s6, s2
	s_addc_u32 s7, s7, s3
	s_sub_u32 s2, 0, s2
	s_subb_u32 s3, 0, s3
	s_add_u32 s14, s6, s2
	s_addc_u32 s15, s7, s3
	s_clause 0x6
	s_load_dwordx2 s[2:3], s[4:5], 0x0
	s_load_dwordx2 s[8:9], s[4:5], 0xac8
	s_load_dword s12, s[4:5], 0xaac
	s_load_dwordx2 s[4:5], s[4:5], 0xab8
	s_load_dword s16, s[14:15], 0x400
	;; [unrolled: 2-line block ×3, first 2 shown]
	v_add_nc_u32_e32 v1, 2, v0
	s_mov_b32 s14, exec_lo
	s_waitcnt lgkmcnt(0)
	s_mul_i32 s9, s16, s9
	v_cmpx_ge_u32_e64 s11, v1
	s_cbranch_execz .LBB47_5
; %bb.2:
	s_load_dword s0, s[0:1], 0x0
	s_mov_b32 s17, 0
	s_waitcnt lgkmcnt(0)
	s_mul_i32 s0, s0, s10
	s_mov_b32 s10, s5
	s_lshl_b32 s1, s0, 1
	s_cmp_eq_u32 s8, 1
	s_cselect_b32 s15, s13, s12
	v_cvt_f32_u32_e32 v1, s15
	s_sub_i32 s16, 0, s15
	v_rcp_iflag_f32_e32 v1, v1
	v_mul_f32_e32 v1, 0x4f7ffffe, v1
	v_cvt_u32_f32_e32 v2, v1
	v_mul_lo_u32 v1, s16, v2
	v_mul_hi_u32 v3, v2, v1
	v_mov_b32_e32 v1, 0
	v_add_nc_u32_e32 v2, v2, v3
	v_add_nc_u32_e32 v3, 1, v0
.LBB47_3:                               ; =>This Inner Loop Header: Depth=1
	v_lshlrev_b64 v[4:5], 2, v[0:1]
	v_mul_hi_u32 v8, v2, v0
	v_mul_hi_u32 v12, v2, v3
	v_add_nc_u32_e32 v6, 1, v0
	v_mov_b32_e32 v7, v1
	v_mov_b32_e32 v9, v1
	v_add_co_u32 v4, vcc_lo, s6, v4
	v_add_co_ci_u32_e64 v5, null, s7, v5, vcc_lo
	v_not_b32_e32 v13, v8
	v_mad_u64_u32 v[10:11], null, s16, v8, v[0:1]
	global_load_dwordx2 v[4:5], v[4:5], off
	v_not_b32_e32 v14, v12
	v_mad_u64_u32 v[11:12], null, s16, v12, v[6:7]
	v_mul_hi_u32 v15, v6, v2
	v_mad_u64_u32 v[12:13], null, s15, v13, v[0:1]
	v_add_nc_u32_e32 v16, 1, v8
	v_cmp_le_u32_e32 vcc_lo, s15, v10
	v_mad_u64_u32 v[13:14], null, s15, v14, v[6:7]
	v_cmp_le_u32_e64 s0, s15, v11
	v_add_nc_u32_e32 v17, 1, v15
	v_cndmask_b32_e32 v6, v8, v16, vcc_lo
	v_cndmask_b32_e32 v10, v10, v12, vcc_lo
	v_add_nc_u32_e32 v3, s1, v3
	v_cndmask_b32_e64 v8, v15, v17, s0
	v_add_nc_u32_e32 v12, 1, v6
	v_cndmask_b32_e64 v11, v11, v13, s0
	v_cmp_le_u32_e32 vcc_lo, s15, v10
	v_add_nc_u32_e32 v13, 1, v8
	v_cndmask_b32_e32 v6, v6, v12, vcc_lo
	v_cmp_le_u32_e32 vcc_lo, s15, v11
	v_mad_u64_u32 v[10:11], null, s16, v6, v[0:1]
	v_cndmask_b32_e32 v8, v8, v13, vcc_lo
	v_mul_lo_u32 v6, v6, s4
	v_mad_u64_u32 v[11:12], null, s16, v8, v[0:1]
	v_mul_lo_u32 v13, v10, s5
	v_mul_lo_u32 v8, v8, s4
	v_add_nc_u32_e32 v0, s1, v0
	v_mad_u64_u32 v[10:11], null, s5, v11, s[10:11]
	v_add3_u32 v6, v13, v6, s9
	v_add_nc_u32_e32 v12, 2, v0
	v_lshlrev_b64 v[6:7], 2, v[6:7]
	v_add3_u32 v8, v10, v8, s9
	v_cmp_lt_u32_e32 vcc_lo, s11, v12
	v_lshlrev_b64 v[8:9], 2, v[8:9]
	v_add_co_u32 v6, s0, s2, v6
	v_add_co_ci_u32_e64 v7, null, s3, v7, s0
	s_or_b32 s17, vcc_lo, s17
	v_add_co_u32 v8, s0, s2, v8
	v_add_co_ci_u32_e64 v9, null, s3, v9, s0
	s_waitcnt vmcnt(0)
	global_store_dword v[6:7], v4, off
	global_store_dword v[8:9], v5, off
	s_andn2_b32 exec_lo, exec_lo, s17
	s_cbranch_execnz .LBB47_3
; %bb.4:
	s_or_b32 exec_lo, exec_lo, s17
.LBB47_5:
	s_or_b32 exec_lo, exec_lo, s14
	v_cmp_gt_u32_e32 vcc_lo, s11, v0
	s_and_b32 exec_lo, exec_lo, vcc_lo
	s_cbranch_execz .LBB47_8
; %bb.6:
	s_cmp_eq_u32 s8, 1
	v_mov_b32_e32 v2, 0
	s_cselect_b32 s8, s13, s12
	v_cvt_f32_u32_e32 v1, s8
	s_sub_i32 s10, 0, s8
	v_rcp_iflag_f32_e32 v1, v1
	v_mul_f32_e32 v1, 0x4f7ffffe, v1
	v_cvt_u32_f32_e32 v3, v1
	v_mul_lo_u32 v1, s10, v3
	v_mul_hi_u32 v4, v3, v1
	v_mov_b32_e32 v1, v2
	v_lshlrev_b64 v[5:6], 2, v[0:1]
	v_add_nc_u32_e32 v7, v3, v4
	v_add_co_u32 v5, vcc_lo, s6, v5
	v_mad_u64_u32 v[3:4], null, v0, v7, 0
	v_add_co_ci_u32_e64 v6, null, s7, v6, vcc_lo
	s_mov_b32 s6, 0
	s_inst_prefetch 0x1
	.p2align	6
.LBB47_7:                               ; =>This Inner Loop Header: Depth=1
	global_load_dword v10, v[5:6], off
	v_mul_lo_u32 v1, s8, v4
	v_not_b32_e32 v8, v4
	v_add_nc_u32_e32 v11, 1, v4
	v_add_co_u32 v5, s0, v5, 4
	v_add_co_ci_u32_e64 v6, null, 0, v6, s0
	v_mad_u64_u32 v[8:9], null, s8, v8, v[0:1]
	v_sub_nc_u32_e32 v1, v0, v1
	v_cmp_le_u32_e32 vcc_lo, s8, v1
	v_cndmask_b32_e32 v9, v4, v11, vcc_lo
	v_cndmask_b32_e32 v1, v1, v8, vcc_lo
	v_add_nc_u32_e32 v8, 1, v9
	v_cmp_le_u32_e32 vcc_lo, s8, v1
	v_cndmask_b32_e32 v1, v9, v8, vcc_lo
	v_add_co_u32 v3, vcc_lo, v3, v7
	v_add_co_ci_u32_e64 v4, null, 0, v4, vcc_lo
	v_mad_u64_u32 v[8:9], null, s10, v1, v[0:1]
	v_mul_lo_u32 v1, v1, s4
	v_add_nc_u32_e32 v0, 1, v0
	v_mul_lo_u32 v8, v8, s5
	v_cmp_le_u32_e64 s0, s11, v0
	s_or_b32 s6, s0, s6
	v_add3_u32 v1, v8, v1, s9
	v_lshlrev_b64 v[8:9], 2, v[1:2]
	v_add_co_u32 v8, s1, s2, v8
	v_add_co_ci_u32_e64 v9, null, s3, v9, s1
	s_waitcnt vmcnt(0)
	global_store_dword v[8:9], v10, off
	s_andn2_b32 exec_lo, exec_lo, s6
	s_cbranch_execnz .LBB47_7
.LBB47_8:
	s_inst_prefetch 0x2
	s_endpgm
	.section	.rodata,"a",@progbits
	.p2align	6, 0x0
	.amdhsa_kernel _ZN2at6native12_GLOBAL__N_135CatArrayBatchedCopy_alignedK_contigINS1_10OpaqueTypeILj4EEEjLi2ELi128ELi1ELi8EEEvPT_NS1_25CatArrInputTensorMetadataIS5_T0_XT2_EXT3_EEENS1_16TensorSizeStrideIS8_Lj4EEEiS8_
		.amdhsa_group_segment_fixed_size 0
		.amdhsa_private_segment_fixed_size 0
		.amdhsa_kernarg_size 3024
		.amdhsa_user_sgpr_count 6
		.amdhsa_user_sgpr_private_segment_buffer 1
		.amdhsa_user_sgpr_dispatch_ptr 0
		.amdhsa_user_sgpr_queue_ptr 0
		.amdhsa_user_sgpr_kernarg_segment_ptr 1
		.amdhsa_user_sgpr_dispatch_id 0
		.amdhsa_user_sgpr_flat_scratch_init 0
		.amdhsa_user_sgpr_private_segment_size 0
		.amdhsa_wavefront_size32 1
		.amdhsa_uses_dynamic_stack 0
		.amdhsa_system_sgpr_private_segment_wavefront_offset 0
		.amdhsa_system_sgpr_workgroup_id_x 1
		.amdhsa_system_sgpr_workgroup_id_y 1
		.amdhsa_system_sgpr_workgroup_id_z 0
		.amdhsa_system_sgpr_workgroup_info 0
		.amdhsa_system_vgpr_workitem_id 0
		.amdhsa_next_free_vgpr 18
		.amdhsa_next_free_sgpr 18
		.amdhsa_reserve_vcc 1
		.amdhsa_reserve_flat_scratch 0
		.amdhsa_float_round_mode_32 0
		.amdhsa_float_round_mode_16_64 0
		.amdhsa_float_denorm_mode_32 3
		.amdhsa_float_denorm_mode_16_64 3
		.amdhsa_dx10_clamp 1
		.amdhsa_ieee_mode 1
		.amdhsa_fp16_overflow 0
		.amdhsa_workgroup_processor_mode 1
		.amdhsa_memory_ordered 1
		.amdhsa_forward_progress 1
		.amdhsa_shared_vgpr_count 0
		.amdhsa_exception_fp_ieee_invalid_op 0
		.amdhsa_exception_fp_denorm_src 0
		.amdhsa_exception_fp_ieee_div_zero 0
		.amdhsa_exception_fp_ieee_overflow 0
		.amdhsa_exception_fp_ieee_underflow 0
		.amdhsa_exception_fp_ieee_inexact 0
		.amdhsa_exception_int_div_zero 0
	.end_amdhsa_kernel
	.section	.text._ZN2at6native12_GLOBAL__N_135CatArrayBatchedCopy_alignedK_contigINS1_10OpaqueTypeILj4EEEjLi2ELi128ELi1ELi8EEEvPT_NS1_25CatArrInputTensorMetadataIS5_T0_XT2_EXT3_EEENS1_16TensorSizeStrideIS8_Lj4EEEiS8_,"axG",@progbits,_ZN2at6native12_GLOBAL__N_135CatArrayBatchedCopy_alignedK_contigINS1_10OpaqueTypeILj4EEEjLi2ELi128ELi1ELi8EEEvPT_NS1_25CatArrInputTensorMetadataIS5_T0_XT2_EXT3_EEENS1_16TensorSizeStrideIS8_Lj4EEEiS8_,comdat
.Lfunc_end47:
	.size	_ZN2at6native12_GLOBAL__N_135CatArrayBatchedCopy_alignedK_contigINS1_10OpaqueTypeILj4EEEjLi2ELi128ELi1ELi8EEEvPT_NS1_25CatArrInputTensorMetadataIS5_T0_XT2_EXT3_EEENS1_16TensorSizeStrideIS8_Lj4EEEiS8_, .Lfunc_end47-_ZN2at6native12_GLOBAL__N_135CatArrayBatchedCopy_alignedK_contigINS1_10OpaqueTypeILj4EEEjLi2ELi128ELi1ELi8EEEvPT_NS1_25CatArrInputTensorMetadataIS5_T0_XT2_EXT3_EEENS1_16TensorSizeStrideIS8_Lj4EEEiS8_
                                        ; -- End function
	.set _ZN2at6native12_GLOBAL__N_135CatArrayBatchedCopy_alignedK_contigINS1_10OpaqueTypeILj4EEEjLi2ELi128ELi1ELi8EEEvPT_NS1_25CatArrInputTensorMetadataIS5_T0_XT2_EXT3_EEENS1_16TensorSizeStrideIS8_Lj4EEEiS8_.num_vgpr, 18
	.set _ZN2at6native12_GLOBAL__N_135CatArrayBatchedCopy_alignedK_contigINS1_10OpaqueTypeILj4EEEjLi2ELi128ELi1ELi8EEEvPT_NS1_25CatArrInputTensorMetadataIS5_T0_XT2_EXT3_EEENS1_16TensorSizeStrideIS8_Lj4EEEiS8_.num_agpr, 0
	.set _ZN2at6native12_GLOBAL__N_135CatArrayBatchedCopy_alignedK_contigINS1_10OpaqueTypeILj4EEEjLi2ELi128ELi1ELi8EEEvPT_NS1_25CatArrInputTensorMetadataIS5_T0_XT2_EXT3_EEENS1_16TensorSizeStrideIS8_Lj4EEEiS8_.numbered_sgpr, 18
	.set _ZN2at6native12_GLOBAL__N_135CatArrayBatchedCopy_alignedK_contigINS1_10OpaqueTypeILj4EEEjLi2ELi128ELi1ELi8EEEvPT_NS1_25CatArrInputTensorMetadataIS5_T0_XT2_EXT3_EEENS1_16TensorSizeStrideIS8_Lj4EEEiS8_.num_named_barrier, 0
	.set _ZN2at6native12_GLOBAL__N_135CatArrayBatchedCopy_alignedK_contigINS1_10OpaqueTypeILj4EEEjLi2ELi128ELi1ELi8EEEvPT_NS1_25CatArrInputTensorMetadataIS5_T0_XT2_EXT3_EEENS1_16TensorSizeStrideIS8_Lj4EEEiS8_.private_seg_size, 0
	.set _ZN2at6native12_GLOBAL__N_135CatArrayBatchedCopy_alignedK_contigINS1_10OpaqueTypeILj4EEEjLi2ELi128ELi1ELi8EEEvPT_NS1_25CatArrInputTensorMetadataIS5_T0_XT2_EXT3_EEENS1_16TensorSizeStrideIS8_Lj4EEEiS8_.uses_vcc, 1
	.set _ZN2at6native12_GLOBAL__N_135CatArrayBatchedCopy_alignedK_contigINS1_10OpaqueTypeILj4EEEjLi2ELi128ELi1ELi8EEEvPT_NS1_25CatArrInputTensorMetadataIS5_T0_XT2_EXT3_EEENS1_16TensorSizeStrideIS8_Lj4EEEiS8_.uses_flat_scratch, 0
	.set _ZN2at6native12_GLOBAL__N_135CatArrayBatchedCopy_alignedK_contigINS1_10OpaqueTypeILj4EEEjLi2ELi128ELi1ELi8EEEvPT_NS1_25CatArrInputTensorMetadataIS5_T0_XT2_EXT3_EEENS1_16TensorSizeStrideIS8_Lj4EEEiS8_.has_dyn_sized_stack, 0
	.set _ZN2at6native12_GLOBAL__N_135CatArrayBatchedCopy_alignedK_contigINS1_10OpaqueTypeILj4EEEjLi2ELi128ELi1ELi8EEEvPT_NS1_25CatArrInputTensorMetadataIS5_T0_XT2_EXT3_EEENS1_16TensorSizeStrideIS8_Lj4EEEiS8_.has_recursion, 0
	.set _ZN2at6native12_GLOBAL__N_135CatArrayBatchedCopy_alignedK_contigINS1_10OpaqueTypeILj4EEEjLi2ELi128ELi1ELi8EEEvPT_NS1_25CatArrInputTensorMetadataIS5_T0_XT2_EXT3_EEENS1_16TensorSizeStrideIS8_Lj4EEEiS8_.has_indirect_call, 0
	.section	.AMDGPU.csdata,"",@progbits
; Kernel info:
; codeLenInByte = 960
; TotalNumSgprs: 20
; NumVgprs: 18
; ScratchSize: 0
; MemoryBound: 0
; FloatMode: 240
; IeeeMode: 1
; LDSByteSize: 0 bytes/workgroup (compile time only)
; SGPRBlocks: 0
; VGPRBlocks: 2
; NumSGPRsForWavesPerEU: 20
; NumVGPRsForWavesPerEU: 18
; Occupancy: 16
; WaveLimiterHint : 1
; COMPUTE_PGM_RSRC2:SCRATCH_EN: 0
; COMPUTE_PGM_RSRC2:USER_SGPR: 6
; COMPUTE_PGM_RSRC2:TRAP_HANDLER: 0
; COMPUTE_PGM_RSRC2:TGID_X_EN: 1
; COMPUTE_PGM_RSRC2:TGID_Y_EN: 1
; COMPUTE_PGM_RSRC2:TGID_Z_EN: 0
; COMPUTE_PGM_RSRC2:TIDIG_COMP_CNT: 0
	.section	.text._ZN2at6native12_GLOBAL__N_126CatArrayBatchedCopy_contigINS1_10OpaqueTypeILj4EEEjLi2ELi128ELi1EEEvPT_NS1_25CatArrInputTensorMetadataIS5_T0_XT2_EXT3_EEENS1_16TensorSizeStrideIS8_Lj4EEEiS8_,"axG",@progbits,_ZN2at6native12_GLOBAL__N_126CatArrayBatchedCopy_contigINS1_10OpaqueTypeILj4EEEjLi2ELi128ELi1EEEvPT_NS1_25CatArrInputTensorMetadataIS5_T0_XT2_EXT3_EEENS1_16TensorSizeStrideIS8_Lj4EEEiS8_,comdat
	.globl	_ZN2at6native12_GLOBAL__N_126CatArrayBatchedCopy_contigINS1_10OpaqueTypeILj4EEEjLi2ELi128ELi1EEEvPT_NS1_25CatArrInputTensorMetadataIS5_T0_XT2_EXT3_EEENS1_16TensorSizeStrideIS8_Lj4EEEiS8_ ; -- Begin function _ZN2at6native12_GLOBAL__N_126CatArrayBatchedCopy_contigINS1_10OpaqueTypeILj4EEEjLi2ELi128ELi1EEEvPT_NS1_25CatArrInputTensorMetadataIS5_T0_XT2_EXT3_EEENS1_16TensorSizeStrideIS8_Lj4EEEiS8_
	.p2align	8
	.type	_ZN2at6native12_GLOBAL__N_126CatArrayBatchedCopy_contigINS1_10OpaqueTypeILj4EEEjLi2ELi128ELi1EEEvPT_NS1_25CatArrInputTensorMetadataIS5_T0_XT2_EXT3_EEENS1_16TensorSizeStrideIS8_Lj4EEEiS8_,@function
_ZN2at6native12_GLOBAL__N_126CatArrayBatchedCopy_contigINS1_10OpaqueTypeILj4EEEjLi2ELi128ELi1EEEvPT_NS1_25CatArrInputTensorMetadataIS5_T0_XT2_EXT3_EEENS1_16TensorSizeStrideIS8_Lj4EEEiS8_: ; @_ZN2at6native12_GLOBAL__N_126CatArrayBatchedCopy_contigINS1_10OpaqueTypeILj4EEEjLi2ELi128ELi1EEEvPT_NS1_25CatArrInputTensorMetadataIS5_T0_XT2_EXT3_EEENS1_16TensorSizeStrideIS8_Lj4EEEiS8_
; %bb.0:
	s_mov_b32 s0, s7
	s_load_dword s7, s[4:5], 0xadc
	s_mov_b32 s1, 0
	s_add_u32 s8, s4, 0xad0
	s_addc_u32 s9, s5, 0
	s_lshl_b64 s[2:3], s[0:1], 2
	s_mov_b32 s11, exec_lo
	s_waitcnt lgkmcnt(0)
	s_and_b32 s0, s7, 0xffff
	s_add_u32 s12, s4, s2
	s_addc_u32 s13, s5, s3
	v_mad_u64_u32 v[0:1], null, s6, s0, v[0:1]
	s_load_dword s10, s[12:13], 0x808
	s_add_u32 s6, s12, 8
	s_addc_u32 s7, s13, 0
	s_waitcnt lgkmcnt(0)
	v_cmpx_gt_u32_e64 s10, v0
	s_cbranch_execz .LBB48_3
; %bb.1:
	s_add_u32 s6, s6, s2
	s_addc_u32 s7, s7, s3
	s_sub_u32 s2, 0, s2
	s_subb_u32 s3, 0, s3
	s_add_u32 s12, s6, s2
	s_addc_u32 s13, s7, s3
	s_clause 0x4
	s_load_dwordx2 s[14:15], s[4:5], 0xac8
	s_load_dword s11, s[12:13], 0x600
	s_load_dword s16, s[4:5], 0xaac
	s_load_dwordx2 s[2:3], s[4:5], 0xab8
	s_load_dword s13, s[12:13], 0x400
	s_load_dword s9, s[8:9], 0x0
	s_clause 0x1
	s_load_dwordx2 s[4:5], s[4:5], 0x0
	s_load_dwordx2 s[6:7], s[6:7], 0x0
	s_waitcnt lgkmcnt(0)
	s_cmp_eq_u32 s14, 1
	s_cselect_b32 s11, s11, s16
	v_cvt_f32_u32_e32 v1, s11
	s_sub_i32 s12, 0, s11
	s_mul_i32 s8, s13, s15
	s_mul_i32 s9, s9, s0
	v_rcp_iflag_f32_e32 v1, v1
	v_mul_f32_e32 v1, 0x4f7ffffe, v1
	v_cvt_u32_f32_e32 v1, v1
	v_mul_lo_u32 v2, s12, v1
	v_mul_hi_u32 v2, v1, v2
	v_add_nc_u32_e32 v2, v1, v2
	v_mov_b32_e32 v1, 0
	s_inst_prefetch 0x1
	.p2align	6
.LBB48_2:                               ; =>This Inner Loop Header: Depth=1
	v_lshlrev_b64 v[3:4], 2, v[0:1]
	v_mul_hi_u32 v6, v2, v0
	v_add_co_u32 v3, vcc_lo, s6, v3
	v_add_co_ci_u32_e64 v4, null, s7, v4, vcc_lo
	v_add_nc_u32_e32 v7, 1, v6
	global_load_dword v5, v[3:4], off
	v_mul_lo_u32 v3, s11, v6
	v_not_b32_e32 v4, v6
	v_sub_nc_u32_e32 v8, v0, v3
	v_mad_u64_u32 v[3:4], null, s11, v4, v[0:1]
	v_cmp_le_u32_e32 vcc_lo, s11, v8
	v_cndmask_b32_e32 v4, v6, v7, vcc_lo
	v_cndmask_b32_e32 v3, v8, v3, vcc_lo
	v_add_nc_u32_e32 v6, 1, v4
	v_cmp_le_u32_e32 vcc_lo, s11, v3
	v_cndmask_b32_e32 v6, v4, v6, vcc_lo
	v_mad_u64_u32 v[3:4], null, s12, v6, v[0:1]
	v_mul_lo_u32 v6, v6, s2
	v_mov_b32_e32 v4, v1
	v_add_nc_u32_e32 v0, s9, v0
	v_mul_lo_u32 v3, v3, s3
	v_cmp_le_u32_e32 vcc_lo, s10, v0
	s_or_b32 s1, vcc_lo, s1
	v_add3_u32 v3, v6, s8, v3
	v_lshlrev_b64 v[3:4], 2, v[3:4]
	v_add_co_u32 v3, s0, s4, v3
	v_add_co_ci_u32_e64 v4, null, s5, v4, s0
	s_waitcnt vmcnt(0)
	global_store_dword v[3:4], v5, off
	s_andn2_b32 exec_lo, exec_lo, s1
	s_cbranch_execnz .LBB48_2
.LBB48_3:
	s_inst_prefetch 0x2
	s_endpgm
	.section	.rodata,"a",@progbits
	.p2align	6, 0x0
	.amdhsa_kernel _ZN2at6native12_GLOBAL__N_126CatArrayBatchedCopy_contigINS1_10OpaqueTypeILj4EEEjLi2ELi128ELi1EEEvPT_NS1_25CatArrInputTensorMetadataIS5_T0_XT2_EXT3_EEENS1_16TensorSizeStrideIS8_Lj4EEEiS8_
		.amdhsa_group_segment_fixed_size 0
		.amdhsa_private_segment_fixed_size 0
		.amdhsa_kernarg_size 3024
		.amdhsa_user_sgpr_count 6
		.amdhsa_user_sgpr_private_segment_buffer 1
		.amdhsa_user_sgpr_dispatch_ptr 0
		.amdhsa_user_sgpr_queue_ptr 0
		.amdhsa_user_sgpr_kernarg_segment_ptr 1
		.amdhsa_user_sgpr_dispatch_id 0
		.amdhsa_user_sgpr_flat_scratch_init 0
		.amdhsa_user_sgpr_private_segment_size 0
		.amdhsa_wavefront_size32 1
		.amdhsa_uses_dynamic_stack 0
		.amdhsa_system_sgpr_private_segment_wavefront_offset 0
		.amdhsa_system_sgpr_workgroup_id_x 1
		.amdhsa_system_sgpr_workgroup_id_y 1
		.amdhsa_system_sgpr_workgroup_id_z 0
		.amdhsa_system_sgpr_workgroup_info 0
		.amdhsa_system_vgpr_workitem_id 0
		.amdhsa_next_free_vgpr 9
		.amdhsa_next_free_sgpr 17
		.amdhsa_reserve_vcc 1
		.amdhsa_reserve_flat_scratch 0
		.amdhsa_float_round_mode_32 0
		.amdhsa_float_round_mode_16_64 0
		.amdhsa_float_denorm_mode_32 3
		.amdhsa_float_denorm_mode_16_64 3
		.amdhsa_dx10_clamp 1
		.amdhsa_ieee_mode 1
		.amdhsa_fp16_overflow 0
		.amdhsa_workgroup_processor_mode 1
		.amdhsa_memory_ordered 1
		.amdhsa_forward_progress 1
		.amdhsa_shared_vgpr_count 0
		.amdhsa_exception_fp_ieee_invalid_op 0
		.amdhsa_exception_fp_denorm_src 0
		.amdhsa_exception_fp_ieee_div_zero 0
		.amdhsa_exception_fp_ieee_overflow 0
		.amdhsa_exception_fp_ieee_underflow 0
		.amdhsa_exception_fp_ieee_inexact 0
		.amdhsa_exception_int_div_zero 0
	.end_amdhsa_kernel
	.section	.text._ZN2at6native12_GLOBAL__N_126CatArrayBatchedCopy_contigINS1_10OpaqueTypeILj4EEEjLi2ELi128ELi1EEEvPT_NS1_25CatArrInputTensorMetadataIS5_T0_XT2_EXT3_EEENS1_16TensorSizeStrideIS8_Lj4EEEiS8_,"axG",@progbits,_ZN2at6native12_GLOBAL__N_126CatArrayBatchedCopy_contigINS1_10OpaqueTypeILj4EEEjLi2ELi128ELi1EEEvPT_NS1_25CatArrInputTensorMetadataIS5_T0_XT2_EXT3_EEENS1_16TensorSizeStrideIS8_Lj4EEEiS8_,comdat
.Lfunc_end48:
	.size	_ZN2at6native12_GLOBAL__N_126CatArrayBatchedCopy_contigINS1_10OpaqueTypeILj4EEEjLi2ELi128ELi1EEEvPT_NS1_25CatArrInputTensorMetadataIS5_T0_XT2_EXT3_EEENS1_16TensorSizeStrideIS8_Lj4EEEiS8_, .Lfunc_end48-_ZN2at6native12_GLOBAL__N_126CatArrayBatchedCopy_contigINS1_10OpaqueTypeILj4EEEjLi2ELi128ELi1EEEvPT_NS1_25CatArrInputTensorMetadataIS5_T0_XT2_EXT3_EEENS1_16TensorSizeStrideIS8_Lj4EEEiS8_
                                        ; -- End function
	.set _ZN2at6native12_GLOBAL__N_126CatArrayBatchedCopy_contigINS1_10OpaqueTypeILj4EEEjLi2ELi128ELi1EEEvPT_NS1_25CatArrInputTensorMetadataIS5_T0_XT2_EXT3_EEENS1_16TensorSizeStrideIS8_Lj4EEEiS8_.num_vgpr, 9
	.set _ZN2at6native12_GLOBAL__N_126CatArrayBatchedCopy_contigINS1_10OpaqueTypeILj4EEEjLi2ELi128ELi1EEEvPT_NS1_25CatArrInputTensorMetadataIS5_T0_XT2_EXT3_EEENS1_16TensorSizeStrideIS8_Lj4EEEiS8_.num_agpr, 0
	.set _ZN2at6native12_GLOBAL__N_126CatArrayBatchedCopy_contigINS1_10OpaqueTypeILj4EEEjLi2ELi128ELi1EEEvPT_NS1_25CatArrInputTensorMetadataIS5_T0_XT2_EXT3_EEENS1_16TensorSizeStrideIS8_Lj4EEEiS8_.numbered_sgpr, 17
	.set _ZN2at6native12_GLOBAL__N_126CatArrayBatchedCopy_contigINS1_10OpaqueTypeILj4EEEjLi2ELi128ELi1EEEvPT_NS1_25CatArrInputTensorMetadataIS5_T0_XT2_EXT3_EEENS1_16TensorSizeStrideIS8_Lj4EEEiS8_.num_named_barrier, 0
	.set _ZN2at6native12_GLOBAL__N_126CatArrayBatchedCopy_contigINS1_10OpaqueTypeILj4EEEjLi2ELi128ELi1EEEvPT_NS1_25CatArrInputTensorMetadataIS5_T0_XT2_EXT3_EEENS1_16TensorSizeStrideIS8_Lj4EEEiS8_.private_seg_size, 0
	.set _ZN2at6native12_GLOBAL__N_126CatArrayBatchedCopy_contigINS1_10OpaqueTypeILj4EEEjLi2ELi128ELi1EEEvPT_NS1_25CatArrInputTensorMetadataIS5_T0_XT2_EXT3_EEENS1_16TensorSizeStrideIS8_Lj4EEEiS8_.uses_vcc, 1
	.set _ZN2at6native12_GLOBAL__N_126CatArrayBatchedCopy_contigINS1_10OpaqueTypeILj4EEEjLi2ELi128ELi1EEEvPT_NS1_25CatArrInputTensorMetadataIS5_T0_XT2_EXT3_EEENS1_16TensorSizeStrideIS8_Lj4EEEiS8_.uses_flat_scratch, 0
	.set _ZN2at6native12_GLOBAL__N_126CatArrayBatchedCopy_contigINS1_10OpaqueTypeILj4EEEjLi2ELi128ELi1EEEvPT_NS1_25CatArrInputTensorMetadataIS5_T0_XT2_EXT3_EEENS1_16TensorSizeStrideIS8_Lj4EEEiS8_.has_dyn_sized_stack, 0
	.set _ZN2at6native12_GLOBAL__N_126CatArrayBatchedCopy_contigINS1_10OpaqueTypeILj4EEEjLi2ELi128ELi1EEEvPT_NS1_25CatArrInputTensorMetadataIS5_T0_XT2_EXT3_EEENS1_16TensorSizeStrideIS8_Lj4EEEiS8_.has_recursion, 0
	.set _ZN2at6native12_GLOBAL__N_126CatArrayBatchedCopy_contigINS1_10OpaqueTypeILj4EEEjLi2ELi128ELi1EEEvPT_NS1_25CatArrInputTensorMetadataIS5_T0_XT2_EXT3_EEENS1_16TensorSizeStrideIS8_Lj4EEEiS8_.has_indirect_call, 0
	.section	.AMDGPU.csdata,"",@progbits
; Kernel info:
; codeLenInByte = 512
; TotalNumSgprs: 19
; NumVgprs: 9
; ScratchSize: 0
; MemoryBound: 0
; FloatMode: 240
; IeeeMode: 1
; LDSByteSize: 0 bytes/workgroup (compile time only)
; SGPRBlocks: 0
; VGPRBlocks: 1
; NumSGPRsForWavesPerEU: 19
; NumVGPRsForWavesPerEU: 9
; Occupancy: 16
; WaveLimiterHint : 1
; COMPUTE_PGM_RSRC2:SCRATCH_EN: 0
; COMPUTE_PGM_RSRC2:USER_SGPR: 6
; COMPUTE_PGM_RSRC2:TRAP_HANDLER: 0
; COMPUTE_PGM_RSRC2:TGID_X_EN: 1
; COMPUTE_PGM_RSRC2:TGID_Y_EN: 1
; COMPUTE_PGM_RSRC2:TGID_Z_EN: 0
; COMPUTE_PGM_RSRC2:TIDIG_COMP_CNT: 0
	.section	.text._ZN2at6native12_GLOBAL__N_119CatArrayBatchedCopyINS1_10OpaqueTypeILj4EEEjLi2ELi128ELi1EEEvPT_NS1_25CatArrInputTensorMetadataIS5_T0_XT2_EXT3_EEENS1_16TensorSizeStrideIS8_Lj4EEEiS8_,"axG",@progbits,_ZN2at6native12_GLOBAL__N_119CatArrayBatchedCopyINS1_10OpaqueTypeILj4EEEjLi2ELi128ELi1EEEvPT_NS1_25CatArrInputTensorMetadataIS5_T0_XT2_EXT3_EEENS1_16TensorSizeStrideIS8_Lj4EEEiS8_,comdat
	.globl	_ZN2at6native12_GLOBAL__N_119CatArrayBatchedCopyINS1_10OpaqueTypeILj4EEEjLi2ELi128ELi1EEEvPT_NS1_25CatArrInputTensorMetadataIS5_T0_XT2_EXT3_EEENS1_16TensorSizeStrideIS8_Lj4EEEiS8_ ; -- Begin function _ZN2at6native12_GLOBAL__N_119CatArrayBatchedCopyINS1_10OpaqueTypeILj4EEEjLi2ELi128ELi1EEEvPT_NS1_25CatArrInputTensorMetadataIS5_T0_XT2_EXT3_EEENS1_16TensorSizeStrideIS8_Lj4EEEiS8_
	.p2align	8
	.type	_ZN2at6native12_GLOBAL__N_119CatArrayBatchedCopyINS1_10OpaqueTypeILj4EEEjLi2ELi128ELi1EEEvPT_NS1_25CatArrInputTensorMetadataIS5_T0_XT2_EXT3_EEENS1_16TensorSizeStrideIS8_Lj4EEEiS8_,@function
_ZN2at6native12_GLOBAL__N_119CatArrayBatchedCopyINS1_10OpaqueTypeILj4EEEjLi2ELi128ELi1EEEvPT_NS1_25CatArrInputTensorMetadataIS5_T0_XT2_EXT3_EEENS1_16TensorSizeStrideIS8_Lj4EEEiS8_: ; @_ZN2at6native12_GLOBAL__N_119CatArrayBatchedCopyINS1_10OpaqueTypeILj4EEEjLi2ELi128ELi1EEEvPT_NS1_25CatArrInputTensorMetadataIS5_T0_XT2_EXT3_EEENS1_16TensorSizeStrideIS8_Lj4EEEiS8_
; %bb.0:
	s_load_dword s3, s[4:5], 0xadc
	s_mov_b32 s0, s7
	s_or_b32 s2, s4, 8
	s_mov_b32 s1, 0
	s_add_u32 s8, s4, 0xad0
	s_addc_u32 s9, s5, 0
	s_lshl_b64 s[10:11], s[0:1], 2
	s_waitcnt lgkmcnt(0)
	s_and_b32 s17, s3, 0xffff
	s_add_u32 s12, s2, s10
	s_addc_u32 s13, s5, s11
	v_mad_u64_u32 v[0:1], null, s6, s17, v[0:1]
	s_load_dword s14, s[12:13], 0x800
	s_mov_b32 s6, exec_lo
	s_waitcnt lgkmcnt(0)
	v_cmpx_gt_u32_e64 s14, v0
	s_cbranch_execz .LBB49_5
; %bb.1:
	v_mov_b32_e32 v1, 0x800
	s_add_u32 s6, s2, s0
	s_addc_u32 s7, s5, 0
	s_mov_b32 s3, s5
	global_load_ubyte v1, v1, s[6:7] offset:512
	s_waitcnt vmcnt(0)
	v_and_b32_e32 v1, 1, v1
	v_cmp_eq_u32_e32 vcc_lo, 1, v1
	s_xor_b32 s15, vcc_lo, -1
	s_add_u32 s18, s12, s10
	s_addc_u32 s19, s13, s11
	s_sub_u32 s0, 0, s10
	s_subb_u32 s7, 0, s11
	s_add_u32 s6, s18, s0
	s_addc_u32 s7, s19, s7
	s_clause 0x5
	s_load_dwordx2 s[20:21], s[4:5], 0xac8
	s_load_dword s0, s[6:7], 0x600
	s_load_dword s10, s[4:5], 0xaac
	;; [unrolled: 1-line block ×3, first 2 shown]
	s_load_dwordx2 s[2:3], s[2:3], 0xa90
	s_load_dword s16, s[6:7], 0x400
	s_waitcnt lgkmcnt(0)
	s_cmp_eq_u32 s20, 1
	s_cselect_b32 s10, s0, s10
	s_cselect_b32 s11, s0, s11
	v_cvt_f32_u32_e32 v1, s10
	v_cvt_f32_u32_e32 v2, s11
	s_sub_i32 s12, 0, s10
	s_sub_i32 s13, 0, s11
	s_load_dword s0, s[8:9], 0x0
	v_rcp_iflag_f32_e32 v1, v1
	v_rcp_iflag_f32_e32 v2, v2
	s_clause 0x2
	s_load_dwordx2 s[6:7], s[4:5], 0x0
	s_load_dwordx2 s[4:5], s[4:5], 0xab8
	;; [unrolled: 1-line block ×3, first 2 shown]
	s_mul_i32 s16, s16, s21
	v_mul_f32_e32 v1, 0x4f7ffffe, v1
	v_mul_f32_e32 v2, 0x4f7ffffe, v2
	v_cvt_u32_f32_e32 v3, v1
	v_cvt_u32_f32_e32 v2, v2
	s_waitcnt lgkmcnt(0)
	s_mul_i32 s17, s0, s17
	v_mul_lo_u32 v1, s12, v3
	v_mul_lo_u32 v4, s13, v2
	v_mul_hi_u32 v5, v3, v1
	v_mul_hi_u32 v6, v2, v4
	v_mov_b32_e32 v1, 0
	v_add_nc_u32_e32 v4, v3, v5
	v_add_nc_u32_e32 v5, v2, v6
	s_branch .LBB49_3
.LBB49_2:                               ;   in Loop: Header=BB49_3 Depth=1
	v_lshlrev_b64 v[2:3], 2, v[2:3]
	v_mul_hi_u32 v9, v4, v0
	v_add_co_u32 v2, vcc_lo, s8, v2
	v_add_co_ci_u32_e64 v3, null, s9, v3, vcc_lo
	v_not_b32_e32 v6, v9
	global_load_dword v8, v[2:3], off
	v_mad_u64_u32 v[2:3], null, s12, v9, v[0:1]
	v_mad_u64_u32 v[6:7], null, s10, v6, v[0:1]
	v_add_nc_u32_e32 v3, 1, v9
	v_cmp_le_u32_e32 vcc_lo, s10, v2
	v_cndmask_b32_e32 v3, v9, v3, vcc_lo
	v_cndmask_b32_e32 v2, v2, v6, vcc_lo
	v_add_nc_u32_e32 v6, 1, v3
	v_cmp_le_u32_e32 vcc_lo, s10, v2
	v_cndmask_b32_e32 v6, v3, v6, vcc_lo
	v_mad_u64_u32 v[2:3], null, s12, v6, v[0:1]
	v_mul_lo_u32 v3, v6, s4
	v_add_nc_u32_e32 v0, s17, v0
	v_cmp_le_u32_e32 vcc_lo, s14, v0
	v_mul_lo_u32 v2, v2, s5
	s_or_b32 s1, vcc_lo, s1
	v_add3_u32 v2, v2, v3, s16
	v_mov_b32_e32 v3, v1
	v_lshlrev_b64 v[2:3], 2, v[2:3]
	v_add_co_u32 v2, s0, s6, v2
	v_add_co_ci_u32_e64 v3, null, s7, v3, s0
	s_waitcnt vmcnt(0)
	global_store_dword v[2:3], v8, off
	s_andn2_b32 exec_lo, exec_lo, s1
	s_cbranch_execz .LBB49_5
.LBB49_3:                               ; =>This Inner Loop Header: Depth=1
	v_mov_b32_e32 v3, v1
	v_mov_b32_e32 v2, v0
	s_andn2_b32 vcc_lo, exec_lo, s15
	s_cbranch_vccnz .LBB49_2
; %bb.4:                                ;   in Loop: Header=BB49_3 Depth=1
	v_mul_hi_u32 v8, v5, v0
	v_not_b32_e32 v6, v8
	v_mad_u64_u32 v[2:3], null, s13, v8, v[0:1]
	v_add_nc_u32_e32 v3, 1, v8
	v_mad_u64_u32 v[6:7], null, s11, v6, v[0:1]
	v_cmp_le_u32_e32 vcc_lo, s11, v2
	v_cndmask_b32_e32 v3, v8, v3, vcc_lo
	v_cndmask_b32_e32 v2, v2, v6, vcc_lo
	v_add_nc_u32_e32 v6, 1, v3
	v_cmp_le_u32_e32 vcc_lo, s11, v2
	v_cndmask_b32_e32 v6, v3, v6, vcc_lo
	v_mad_u64_u32 v[2:3], null, s13, v6, v[0:1]
	v_mul_lo_u32 v3, v6, s2
	v_mad_u64_u32 v[2:3], null, v2, s3, v[3:4]
	v_mov_b32_e32 v3, v1
	s_branch .LBB49_2
.LBB49_5:
	s_endpgm
	.section	.rodata,"a",@progbits
	.p2align	6, 0x0
	.amdhsa_kernel _ZN2at6native12_GLOBAL__N_119CatArrayBatchedCopyINS1_10OpaqueTypeILj4EEEjLi2ELi128ELi1EEEvPT_NS1_25CatArrInputTensorMetadataIS5_T0_XT2_EXT3_EEENS1_16TensorSizeStrideIS8_Lj4EEEiS8_
		.amdhsa_group_segment_fixed_size 0
		.amdhsa_private_segment_fixed_size 0
		.amdhsa_kernarg_size 3024
		.amdhsa_user_sgpr_count 6
		.amdhsa_user_sgpr_private_segment_buffer 1
		.amdhsa_user_sgpr_dispatch_ptr 0
		.amdhsa_user_sgpr_queue_ptr 0
		.amdhsa_user_sgpr_kernarg_segment_ptr 1
		.amdhsa_user_sgpr_dispatch_id 0
		.amdhsa_user_sgpr_flat_scratch_init 0
		.amdhsa_user_sgpr_private_segment_size 0
		.amdhsa_wavefront_size32 1
		.amdhsa_uses_dynamic_stack 0
		.amdhsa_system_sgpr_private_segment_wavefront_offset 0
		.amdhsa_system_sgpr_workgroup_id_x 1
		.amdhsa_system_sgpr_workgroup_id_y 1
		.amdhsa_system_sgpr_workgroup_id_z 0
		.amdhsa_system_sgpr_workgroup_info 0
		.amdhsa_system_vgpr_workitem_id 0
		.amdhsa_next_free_vgpr 10
		.amdhsa_next_free_sgpr 22
		.amdhsa_reserve_vcc 1
		.amdhsa_reserve_flat_scratch 0
		.amdhsa_float_round_mode_32 0
		.amdhsa_float_round_mode_16_64 0
		.amdhsa_float_denorm_mode_32 3
		.amdhsa_float_denorm_mode_16_64 3
		.amdhsa_dx10_clamp 1
		.amdhsa_ieee_mode 1
		.amdhsa_fp16_overflow 0
		.amdhsa_workgroup_processor_mode 1
		.amdhsa_memory_ordered 1
		.amdhsa_forward_progress 1
		.amdhsa_shared_vgpr_count 0
		.amdhsa_exception_fp_ieee_invalid_op 0
		.amdhsa_exception_fp_denorm_src 0
		.amdhsa_exception_fp_ieee_div_zero 0
		.amdhsa_exception_fp_ieee_overflow 0
		.amdhsa_exception_fp_ieee_underflow 0
		.amdhsa_exception_fp_ieee_inexact 0
		.amdhsa_exception_int_div_zero 0
	.end_amdhsa_kernel
	.section	.text._ZN2at6native12_GLOBAL__N_119CatArrayBatchedCopyINS1_10OpaqueTypeILj4EEEjLi2ELi128ELi1EEEvPT_NS1_25CatArrInputTensorMetadataIS5_T0_XT2_EXT3_EEENS1_16TensorSizeStrideIS8_Lj4EEEiS8_,"axG",@progbits,_ZN2at6native12_GLOBAL__N_119CatArrayBatchedCopyINS1_10OpaqueTypeILj4EEEjLi2ELi128ELi1EEEvPT_NS1_25CatArrInputTensorMetadataIS5_T0_XT2_EXT3_EEENS1_16TensorSizeStrideIS8_Lj4EEEiS8_,comdat
.Lfunc_end49:
	.size	_ZN2at6native12_GLOBAL__N_119CatArrayBatchedCopyINS1_10OpaqueTypeILj4EEEjLi2ELi128ELi1EEEvPT_NS1_25CatArrInputTensorMetadataIS5_T0_XT2_EXT3_EEENS1_16TensorSizeStrideIS8_Lj4EEEiS8_, .Lfunc_end49-_ZN2at6native12_GLOBAL__N_119CatArrayBatchedCopyINS1_10OpaqueTypeILj4EEEjLi2ELi128ELi1EEEvPT_NS1_25CatArrInputTensorMetadataIS5_T0_XT2_EXT3_EEENS1_16TensorSizeStrideIS8_Lj4EEEiS8_
                                        ; -- End function
	.set _ZN2at6native12_GLOBAL__N_119CatArrayBatchedCopyINS1_10OpaqueTypeILj4EEEjLi2ELi128ELi1EEEvPT_NS1_25CatArrInputTensorMetadataIS5_T0_XT2_EXT3_EEENS1_16TensorSizeStrideIS8_Lj4EEEiS8_.num_vgpr, 10
	.set _ZN2at6native12_GLOBAL__N_119CatArrayBatchedCopyINS1_10OpaqueTypeILj4EEEjLi2ELi128ELi1EEEvPT_NS1_25CatArrInputTensorMetadataIS5_T0_XT2_EXT3_EEENS1_16TensorSizeStrideIS8_Lj4EEEiS8_.num_agpr, 0
	.set _ZN2at6native12_GLOBAL__N_119CatArrayBatchedCopyINS1_10OpaqueTypeILj4EEEjLi2ELi128ELi1EEEvPT_NS1_25CatArrInputTensorMetadataIS5_T0_XT2_EXT3_EEENS1_16TensorSizeStrideIS8_Lj4EEEiS8_.numbered_sgpr, 22
	.set _ZN2at6native12_GLOBAL__N_119CatArrayBatchedCopyINS1_10OpaqueTypeILj4EEEjLi2ELi128ELi1EEEvPT_NS1_25CatArrInputTensorMetadataIS5_T0_XT2_EXT3_EEENS1_16TensorSizeStrideIS8_Lj4EEEiS8_.num_named_barrier, 0
	.set _ZN2at6native12_GLOBAL__N_119CatArrayBatchedCopyINS1_10OpaqueTypeILj4EEEjLi2ELi128ELi1EEEvPT_NS1_25CatArrInputTensorMetadataIS5_T0_XT2_EXT3_EEENS1_16TensorSizeStrideIS8_Lj4EEEiS8_.private_seg_size, 0
	.set _ZN2at6native12_GLOBAL__N_119CatArrayBatchedCopyINS1_10OpaqueTypeILj4EEEjLi2ELi128ELi1EEEvPT_NS1_25CatArrInputTensorMetadataIS5_T0_XT2_EXT3_EEENS1_16TensorSizeStrideIS8_Lj4EEEiS8_.uses_vcc, 1
	.set _ZN2at6native12_GLOBAL__N_119CatArrayBatchedCopyINS1_10OpaqueTypeILj4EEEjLi2ELi128ELi1EEEvPT_NS1_25CatArrInputTensorMetadataIS5_T0_XT2_EXT3_EEENS1_16TensorSizeStrideIS8_Lj4EEEiS8_.uses_flat_scratch, 0
	.set _ZN2at6native12_GLOBAL__N_119CatArrayBatchedCopyINS1_10OpaqueTypeILj4EEEjLi2ELi128ELi1EEEvPT_NS1_25CatArrInputTensorMetadataIS5_T0_XT2_EXT3_EEENS1_16TensorSizeStrideIS8_Lj4EEEiS8_.has_dyn_sized_stack, 0
	.set _ZN2at6native12_GLOBAL__N_119CatArrayBatchedCopyINS1_10OpaqueTypeILj4EEEjLi2ELi128ELi1EEEvPT_NS1_25CatArrInputTensorMetadataIS5_T0_XT2_EXT3_EEENS1_16TensorSizeStrideIS8_Lj4EEEiS8_.has_recursion, 0
	.set _ZN2at6native12_GLOBAL__N_119CatArrayBatchedCopyINS1_10OpaqueTypeILj4EEEjLi2ELi128ELi1EEEvPT_NS1_25CatArrInputTensorMetadataIS5_T0_XT2_EXT3_EEENS1_16TensorSizeStrideIS8_Lj4EEEiS8_.has_indirect_call, 0
	.section	.AMDGPU.csdata,"",@progbits
; Kernel info:
; codeLenInByte = 660
; TotalNumSgprs: 24
; NumVgprs: 10
; ScratchSize: 0
; MemoryBound: 0
; FloatMode: 240
; IeeeMode: 1
; LDSByteSize: 0 bytes/workgroup (compile time only)
; SGPRBlocks: 0
; VGPRBlocks: 1
; NumSGPRsForWavesPerEU: 24
; NumVGPRsForWavesPerEU: 10
; Occupancy: 16
; WaveLimiterHint : 1
; COMPUTE_PGM_RSRC2:SCRATCH_EN: 0
; COMPUTE_PGM_RSRC2:USER_SGPR: 6
; COMPUTE_PGM_RSRC2:TRAP_HANDLER: 0
; COMPUTE_PGM_RSRC2:TGID_X_EN: 1
; COMPUTE_PGM_RSRC2:TGID_Y_EN: 1
; COMPUTE_PGM_RSRC2:TGID_Z_EN: 0
; COMPUTE_PGM_RSRC2:TIDIG_COMP_CNT: 0
	.section	.text._ZN2at6native12_GLOBAL__N_130CatArrayBatchedCopy_vectorizedINS1_10OpaqueTypeILj4EEEjLi3ELi128ELi1ELi16ELi4EEEvPcNS1_25CatArrInputTensorMetadataIT_T0_XT2_EXT3_EEENS1_16TensorSizeStrideIS8_Lj4EEEiS8_,"axG",@progbits,_ZN2at6native12_GLOBAL__N_130CatArrayBatchedCopy_vectorizedINS1_10OpaqueTypeILj4EEEjLi3ELi128ELi1ELi16ELi4EEEvPcNS1_25CatArrInputTensorMetadataIT_T0_XT2_EXT3_EEENS1_16TensorSizeStrideIS8_Lj4EEEiS8_,comdat
	.globl	_ZN2at6native12_GLOBAL__N_130CatArrayBatchedCopy_vectorizedINS1_10OpaqueTypeILj4EEEjLi3ELi128ELi1ELi16ELi4EEEvPcNS1_25CatArrInputTensorMetadataIT_T0_XT2_EXT3_EEENS1_16TensorSizeStrideIS8_Lj4EEEiS8_ ; -- Begin function _ZN2at6native12_GLOBAL__N_130CatArrayBatchedCopy_vectorizedINS1_10OpaqueTypeILj4EEEjLi3ELi128ELi1ELi16ELi4EEEvPcNS1_25CatArrInputTensorMetadataIT_T0_XT2_EXT3_EEENS1_16TensorSizeStrideIS8_Lj4EEEiS8_
	.p2align	8
	.type	_ZN2at6native12_GLOBAL__N_130CatArrayBatchedCopy_vectorizedINS1_10OpaqueTypeILj4EEEjLi3ELi128ELi1ELi16ELi4EEEvPcNS1_25CatArrInputTensorMetadataIT_T0_XT2_EXT3_EEENS1_16TensorSizeStrideIS8_Lj4EEEiS8_,@function
_ZN2at6native12_GLOBAL__N_130CatArrayBatchedCopy_vectorizedINS1_10OpaqueTypeILj4EEEjLi3ELi128ELi1ELi16ELi4EEEvPcNS1_25CatArrInputTensorMetadataIT_T0_XT2_EXT3_EEENS1_16TensorSizeStrideIS8_Lj4EEEiS8_: ; @_ZN2at6native12_GLOBAL__N_130CatArrayBatchedCopy_vectorizedINS1_10OpaqueTypeILj4EEEjLi3ELi128ELi1ELi16ELi4EEEvPcNS1_25CatArrInputTensorMetadataIT_T0_XT2_EXT3_EEENS1_16TensorSizeStrideIS8_Lj4EEEiS8_
; %bb.0:
	s_mov_b32 s0, s7
	s_load_dword s7, s[4:5], 0xadc
	s_mov_b32 s1, 0
	s_add_u32 s2, s4, 0xad0
	s_addc_u32 s3, s5, 0
	s_lshl_b64 s[8:9], s[0:1], 2
	s_waitcnt lgkmcnt(0)
	s_and_b32 s13, s7, 0xffff
	s_add_u32 s10, s4, s8
	s_addc_u32 s11, s5, s9
	v_mad_u64_u32 v[0:1], null, s6, s13, v[0:1]
	s_load_dword s12, s[10:11], 0x808
	s_add_u32 s0, s10, 8
	s_addc_u32 s7, s11, 0
	s_mov_b32 s10, exec_lo
	s_waitcnt lgkmcnt(0)
	s_lshr_b32 s6, s12, 2
	v_cmpx_gt_u32_e64 s6, v0
	s_cbranch_execz .LBB50_3
; %bb.1:
	s_add_u32 s14, s0, s8
	s_addc_u32 s15, s7, s9
	s_sub_u32 s0, 0, s8
	s_subb_u32 s7, 0, s9
	s_add_u32 s8, s14, s0
	s_addc_u32 s9, s15, s7
	s_clause 0x5
	s_load_dwordx2 s[16:17], s[4:5], 0xac8
	s_load_dword s0, s[8:9], 0x400
	s_load_dword s7, s[8:9], 0x600
	s_load_dwordx2 s[18:19], s[4:5], 0xaac
	s_load_dwordx4 s[8:11], s[4:5], 0xab8
	s_load_dwordx2 s[22:23], s[4:5], 0x0
	s_waitcnt lgkmcnt(0)
	s_mul_i32 s0, s0, s17
	s_mul_i32 s7, s7, s17
	s_lshr_b32 s0, s0, 2
	s_lshr_b32 s7, s7, 2
	s_lshl_b64 s[20:21], s[0:1], 4
	s_cmp_eq_u32 s16, 2
	s_cselect_b32 s4, s7, s19
	s_cmp_eq_u32 s16, 1
	v_cvt_f32_u32_e32 v1, s4
	s_cselect_b32 s5, s7, s18
	s_add_u32 s7, s22, s20
	v_cvt_f32_u32_e32 v2, s5
	s_addc_u32 s11, s23, s21
	v_rcp_iflag_f32_e32 v1, v1
	s_sub_i32 s12, 0, s4
	s_sub_i32 s0, 0, s5
	v_rcp_iflag_f32_e32 v2, v2
	s_load_dword s16, s[2:3], 0x0
	s_load_dwordx2 s[2:3], s[14:15], 0x0
	v_mul_f32_e32 v1, 0x4f7ffffe, v1
	v_mul_f32_e32 v2, 0x4f7ffffe, v2
	v_cvt_u32_f32_e32 v1, v1
	v_cvt_u32_f32_e32 v3, v2
	v_mul_lo_u32 v2, s12, v1
	v_mul_lo_u32 v4, s0, v3
	s_waitcnt lgkmcnt(0)
	s_mul_i32 s13, s16, s13
	v_mul_hi_u32 v2, v1, v2
	v_mul_hi_u32 v4, v3, v4
	v_add_nc_u32_e32 v2, v1, v2
	v_mov_b32_e32 v1, 0
	v_add_nc_u32_e32 v3, v3, v4
.LBB50_2:                               ; =>This Inner Loop Header: Depth=1
	v_lshlrev_b64 v[4:5], 4, v[0:1]
	v_mul_hi_u32 v10, v2, v0
	v_add_co_u32 v4, vcc_lo, s2, v4
	v_add_co_ci_u32_e64 v5, null, s3, v5, vcc_lo
	v_mul_lo_u32 v11, s4, v10
	v_not_b32_e32 v8, v10
	v_add_nc_u32_e32 v12, 1, v10
	global_load_dwordx4 v[4:7], v[4:5], off
	v_mad_u64_u32 v[8:9], null, s4, v8, v[0:1]
	v_sub_nc_u32_e32 v9, v0, v11
	v_cmp_le_u32_e32 vcc_lo, s4, v9
	v_cndmask_b32_e32 v10, v10, v12, vcc_lo
	v_cndmask_b32_e32 v8, v9, v8, vcc_lo
	v_add_nc_u32_e32 v9, 1, v10
	v_cmp_le_u32_e32 vcc_lo, s4, v8
	v_cndmask_b32_e32 v10, v10, v9, vcc_lo
	v_mul_hi_u32 v8, v10, v3
	v_mul_lo_u32 v9, v8, s5
	v_add_nc_u32_e32 v11, 1, v8
	v_sub_nc_u32_e32 v9, v10, v9
	v_subrev_nc_u32_e32 v12, s5, v9
	v_cmp_le_u32_e32 vcc_lo, s5, v9
	v_cndmask_b32_e32 v8, v8, v11, vcc_lo
	v_cndmask_b32_e32 v9, v9, v12, vcc_lo
	v_add_nc_u32_e32 v11, 1, v8
	v_cmp_le_u32_e32 vcc_lo, s5, v9
	v_cndmask_b32_e32 v11, v8, v11, vcc_lo
	v_mad_u64_u32 v[8:9], null, s12, v10, v[0:1]
	v_add_nc_u32_e32 v0, s13, v0
	v_mul_lo_u32 v12, v11, s5
	v_cmp_le_u32_e32 vcc_lo, s6, v0
	v_mul_lo_u32 v8, v8, s10
	v_sub_nc_u32_e32 v9, v10, v12
	v_mul_lo_u32 v10, v11, s8
	s_or_b32 s1, vcc_lo, s1
	v_mul_lo_u32 v11, v9, s9
	v_mov_b32_e32 v9, v1
	v_add3_u32 v8, v8, v10, v11
	v_lshlrev_b64 v[8:9], 4, v[8:9]
	v_add_co_u32 v8, s0, s7, v8
	v_add_co_ci_u32_e64 v9, null, s11, v9, s0
	s_waitcnt vmcnt(0)
	global_store_dwordx4 v[8:9], v[4:7], off
	s_andn2_b32 exec_lo, exec_lo, s1
	s_cbranch_execnz .LBB50_2
.LBB50_3:
	s_endpgm
	.section	.rodata,"a",@progbits
	.p2align	6, 0x0
	.amdhsa_kernel _ZN2at6native12_GLOBAL__N_130CatArrayBatchedCopy_vectorizedINS1_10OpaqueTypeILj4EEEjLi3ELi128ELi1ELi16ELi4EEEvPcNS1_25CatArrInputTensorMetadataIT_T0_XT2_EXT3_EEENS1_16TensorSizeStrideIS8_Lj4EEEiS8_
		.amdhsa_group_segment_fixed_size 0
		.amdhsa_private_segment_fixed_size 0
		.amdhsa_kernarg_size 3024
		.amdhsa_user_sgpr_count 6
		.amdhsa_user_sgpr_private_segment_buffer 1
		.amdhsa_user_sgpr_dispatch_ptr 0
		.amdhsa_user_sgpr_queue_ptr 0
		.amdhsa_user_sgpr_kernarg_segment_ptr 1
		.amdhsa_user_sgpr_dispatch_id 0
		.amdhsa_user_sgpr_flat_scratch_init 0
		.amdhsa_user_sgpr_private_segment_size 0
		.amdhsa_wavefront_size32 1
		.amdhsa_uses_dynamic_stack 0
		.amdhsa_system_sgpr_private_segment_wavefront_offset 0
		.amdhsa_system_sgpr_workgroup_id_x 1
		.amdhsa_system_sgpr_workgroup_id_y 1
		.amdhsa_system_sgpr_workgroup_id_z 0
		.amdhsa_system_sgpr_workgroup_info 0
		.amdhsa_system_vgpr_workitem_id 0
		.amdhsa_next_free_vgpr 13
		.amdhsa_next_free_sgpr 24
		.amdhsa_reserve_vcc 1
		.amdhsa_reserve_flat_scratch 0
		.amdhsa_float_round_mode_32 0
		.amdhsa_float_round_mode_16_64 0
		.amdhsa_float_denorm_mode_32 3
		.amdhsa_float_denorm_mode_16_64 3
		.amdhsa_dx10_clamp 1
		.amdhsa_ieee_mode 1
		.amdhsa_fp16_overflow 0
		.amdhsa_workgroup_processor_mode 1
		.amdhsa_memory_ordered 1
		.amdhsa_forward_progress 1
		.amdhsa_shared_vgpr_count 0
		.amdhsa_exception_fp_ieee_invalid_op 0
		.amdhsa_exception_fp_denorm_src 0
		.amdhsa_exception_fp_ieee_div_zero 0
		.amdhsa_exception_fp_ieee_overflow 0
		.amdhsa_exception_fp_ieee_underflow 0
		.amdhsa_exception_fp_ieee_inexact 0
		.amdhsa_exception_int_div_zero 0
	.end_amdhsa_kernel
	.section	.text._ZN2at6native12_GLOBAL__N_130CatArrayBatchedCopy_vectorizedINS1_10OpaqueTypeILj4EEEjLi3ELi128ELi1ELi16ELi4EEEvPcNS1_25CatArrInputTensorMetadataIT_T0_XT2_EXT3_EEENS1_16TensorSizeStrideIS8_Lj4EEEiS8_,"axG",@progbits,_ZN2at6native12_GLOBAL__N_130CatArrayBatchedCopy_vectorizedINS1_10OpaqueTypeILj4EEEjLi3ELi128ELi1ELi16ELi4EEEvPcNS1_25CatArrInputTensorMetadataIT_T0_XT2_EXT3_EEENS1_16TensorSizeStrideIS8_Lj4EEEiS8_,comdat
.Lfunc_end50:
	.size	_ZN2at6native12_GLOBAL__N_130CatArrayBatchedCopy_vectorizedINS1_10OpaqueTypeILj4EEEjLi3ELi128ELi1ELi16ELi4EEEvPcNS1_25CatArrInputTensorMetadataIT_T0_XT2_EXT3_EEENS1_16TensorSizeStrideIS8_Lj4EEEiS8_, .Lfunc_end50-_ZN2at6native12_GLOBAL__N_130CatArrayBatchedCopy_vectorizedINS1_10OpaqueTypeILj4EEEjLi3ELi128ELi1ELi16ELi4EEEvPcNS1_25CatArrInputTensorMetadataIT_T0_XT2_EXT3_EEENS1_16TensorSizeStrideIS8_Lj4EEEiS8_
                                        ; -- End function
	.set _ZN2at6native12_GLOBAL__N_130CatArrayBatchedCopy_vectorizedINS1_10OpaqueTypeILj4EEEjLi3ELi128ELi1ELi16ELi4EEEvPcNS1_25CatArrInputTensorMetadataIT_T0_XT2_EXT3_EEENS1_16TensorSizeStrideIS8_Lj4EEEiS8_.num_vgpr, 13
	.set _ZN2at6native12_GLOBAL__N_130CatArrayBatchedCopy_vectorizedINS1_10OpaqueTypeILj4EEEjLi3ELi128ELi1ELi16ELi4EEEvPcNS1_25CatArrInputTensorMetadataIT_T0_XT2_EXT3_EEENS1_16TensorSizeStrideIS8_Lj4EEEiS8_.num_agpr, 0
	.set _ZN2at6native12_GLOBAL__N_130CatArrayBatchedCopy_vectorizedINS1_10OpaqueTypeILj4EEEjLi3ELi128ELi1ELi16ELi4EEEvPcNS1_25CatArrInputTensorMetadataIT_T0_XT2_EXT3_EEENS1_16TensorSizeStrideIS8_Lj4EEEiS8_.numbered_sgpr, 24
	.set _ZN2at6native12_GLOBAL__N_130CatArrayBatchedCopy_vectorizedINS1_10OpaqueTypeILj4EEEjLi3ELi128ELi1ELi16ELi4EEEvPcNS1_25CatArrInputTensorMetadataIT_T0_XT2_EXT3_EEENS1_16TensorSizeStrideIS8_Lj4EEEiS8_.num_named_barrier, 0
	.set _ZN2at6native12_GLOBAL__N_130CatArrayBatchedCopy_vectorizedINS1_10OpaqueTypeILj4EEEjLi3ELi128ELi1ELi16ELi4EEEvPcNS1_25CatArrInputTensorMetadataIT_T0_XT2_EXT3_EEENS1_16TensorSizeStrideIS8_Lj4EEEiS8_.private_seg_size, 0
	.set _ZN2at6native12_GLOBAL__N_130CatArrayBatchedCopy_vectorizedINS1_10OpaqueTypeILj4EEEjLi3ELi128ELi1ELi16ELi4EEEvPcNS1_25CatArrInputTensorMetadataIT_T0_XT2_EXT3_EEENS1_16TensorSizeStrideIS8_Lj4EEEiS8_.uses_vcc, 1
	.set _ZN2at6native12_GLOBAL__N_130CatArrayBatchedCopy_vectorizedINS1_10OpaqueTypeILj4EEEjLi3ELi128ELi1ELi16ELi4EEEvPcNS1_25CatArrInputTensorMetadataIT_T0_XT2_EXT3_EEENS1_16TensorSizeStrideIS8_Lj4EEEiS8_.uses_flat_scratch, 0
	.set _ZN2at6native12_GLOBAL__N_130CatArrayBatchedCopy_vectorizedINS1_10OpaqueTypeILj4EEEjLi3ELi128ELi1ELi16ELi4EEEvPcNS1_25CatArrInputTensorMetadataIT_T0_XT2_EXT3_EEENS1_16TensorSizeStrideIS8_Lj4EEEiS8_.has_dyn_sized_stack, 0
	.set _ZN2at6native12_GLOBAL__N_130CatArrayBatchedCopy_vectorizedINS1_10OpaqueTypeILj4EEEjLi3ELi128ELi1ELi16ELi4EEEvPcNS1_25CatArrInputTensorMetadataIT_T0_XT2_EXT3_EEENS1_16TensorSizeStrideIS8_Lj4EEEiS8_.has_recursion, 0
	.set _ZN2at6native12_GLOBAL__N_130CatArrayBatchedCopy_vectorizedINS1_10OpaqueTypeILj4EEEjLi3ELi128ELi1ELi16ELi4EEEvPcNS1_25CatArrInputTensorMetadataIT_T0_XT2_EXT3_EEENS1_16TensorSizeStrideIS8_Lj4EEEiS8_.has_indirect_call, 0
	.section	.AMDGPU.csdata,"",@progbits
; Kernel info:
; codeLenInByte = 600
; TotalNumSgprs: 26
; NumVgprs: 13
; ScratchSize: 0
; MemoryBound: 0
; FloatMode: 240
; IeeeMode: 1
; LDSByteSize: 0 bytes/workgroup (compile time only)
; SGPRBlocks: 0
; VGPRBlocks: 1
; NumSGPRsForWavesPerEU: 26
; NumVGPRsForWavesPerEU: 13
; Occupancy: 16
; WaveLimiterHint : 1
; COMPUTE_PGM_RSRC2:SCRATCH_EN: 0
; COMPUTE_PGM_RSRC2:USER_SGPR: 6
; COMPUTE_PGM_RSRC2:TRAP_HANDLER: 0
; COMPUTE_PGM_RSRC2:TGID_X_EN: 1
; COMPUTE_PGM_RSRC2:TGID_Y_EN: 1
; COMPUTE_PGM_RSRC2:TGID_Z_EN: 0
; COMPUTE_PGM_RSRC2:TIDIG_COMP_CNT: 0
	.section	.text._ZN2at6native12_GLOBAL__N_135CatArrayBatchedCopy_alignedK_contigINS1_10OpaqueTypeILj4EEEjLi3ELi128ELi1ELi16EEEvPT_NS1_25CatArrInputTensorMetadataIS5_T0_XT2_EXT3_EEENS1_16TensorSizeStrideIS8_Lj4EEEiS8_,"axG",@progbits,_ZN2at6native12_GLOBAL__N_135CatArrayBatchedCopy_alignedK_contigINS1_10OpaqueTypeILj4EEEjLi3ELi128ELi1ELi16EEEvPT_NS1_25CatArrInputTensorMetadataIS5_T0_XT2_EXT3_EEENS1_16TensorSizeStrideIS8_Lj4EEEiS8_,comdat
	.globl	_ZN2at6native12_GLOBAL__N_135CatArrayBatchedCopy_alignedK_contigINS1_10OpaqueTypeILj4EEEjLi3ELi128ELi1ELi16EEEvPT_NS1_25CatArrInputTensorMetadataIS5_T0_XT2_EXT3_EEENS1_16TensorSizeStrideIS8_Lj4EEEiS8_ ; -- Begin function _ZN2at6native12_GLOBAL__N_135CatArrayBatchedCopy_alignedK_contigINS1_10OpaqueTypeILj4EEEjLi3ELi128ELi1ELi16EEEvPT_NS1_25CatArrInputTensorMetadataIS5_T0_XT2_EXT3_EEENS1_16TensorSizeStrideIS8_Lj4EEEiS8_
	.p2align	8
	.type	_ZN2at6native12_GLOBAL__N_135CatArrayBatchedCopy_alignedK_contigINS1_10OpaqueTypeILj4EEEjLi3ELi128ELi1ELi16EEEvPT_NS1_25CatArrInputTensorMetadataIS5_T0_XT2_EXT3_EEENS1_16TensorSizeStrideIS8_Lj4EEEiS8_,@function
_ZN2at6native12_GLOBAL__N_135CatArrayBatchedCopy_alignedK_contigINS1_10OpaqueTypeILj4EEEjLi3ELi128ELi1ELi16EEEvPT_NS1_25CatArrInputTensorMetadataIS5_T0_XT2_EXT3_EEENS1_16TensorSizeStrideIS8_Lj4EEEiS8_: ; @_ZN2at6native12_GLOBAL__N_135CatArrayBatchedCopy_alignedK_contigINS1_10OpaqueTypeILj4EEEjLi3ELi128ELi1ELi16EEEvPT_NS1_25CatArrInputTensorMetadataIS5_T0_XT2_EXT3_EEENS1_16TensorSizeStrideIS8_Lj4EEEiS8_
; %bb.0:
	s_mov_b32 s2, s7
	s_load_dword s7, s[4:5], 0xadc
	s_mov_b32 s3, 0
	s_add_u32 s0, s4, 0xad0
	s_addc_u32 s1, s5, 0
	s_lshl_b64 s[2:3], s[2:3], 2
	s_waitcnt lgkmcnt(0)
	s_and_b32 s18, s7, 0xffff
	s_add_u32 s8, s4, s2
	s_addc_u32 s9, s5, s3
	s_mul_i32 s6, s6, s18
	s_load_dword s16, s[8:9], 0x808
	v_add_lshl_u32 v0, s6, v0, 2
	s_add_u32 s6, s8, 8
	s_addc_u32 s7, s9, 0
	s_mov_b32 s8, exec_lo
	s_waitcnt lgkmcnt(0)
	v_cmpx_gt_u32_e64 s16, v0
	s_cbranch_execz .LBB51_8
; %bb.1:
	s_add_u32 s10, s6, s2
	s_addc_u32 s11, s7, s3
	s_sub_u32 s2, 0, s2
	s_subb_u32 s3, 0, s3
	s_add_u32 s2, s10, s2
	s_addc_u32 s3, s11, s3
	s_clause 0x3
	s_load_dwordx2 s[8:9], s[4:5], 0x0
	s_load_dwordx2 s[12:13], s[4:5], 0xaac
	;; [unrolled: 1-line block ×3, first 2 shown]
	s_load_dwordx4 s[4:7], s[4:5], 0xab8
	s_waitcnt lgkmcnt(0)
	s_clause 0x2
	s_load_dword s7, s[2:3], 0x400
	s_load_dwordx2 s[10:11], s[10:11], 0x0
	s_load_dword s17, s[2:3], 0x600
	v_add_nc_u32_e32 v1, 4, v0
	s_waitcnt lgkmcnt(0)
	s_mul_i32 s7, s7, s15
	s_mov_b32 s15, exec_lo
	v_cmpx_ge_u32_e64 s16, v1
	s_cbranch_execz .LBB51_5
; %bb.2:
	s_load_dword s0, s[0:1], 0x0
	v_add_nc_u32_e32 v3, 2, v0
	s_mov_b32 s22, 0
	s_waitcnt lgkmcnt(0)
	s_mul_i32 s0, s0, s18
	s_lshl_b32 s18, s0, 2
	s_cmp_eq_u32 s14, 2
	s_cselect_b32 s19, s17, s13
	s_cmp_eq_u32 s14, 1
	v_cvt_f32_u32_e32 v1, s19
	s_cselect_b32 s20, s17, s12
	s_sub_i32 s21, 0, s19
	v_cvt_f32_u32_e32 v2, s20
	s_sub_i32 s0, 0, s20
	v_rcp_iflag_f32_e32 v1, v1
	v_rcp_iflag_f32_e32 v2, v2
	v_mul_f32_e32 v1, 0x4f7ffffe, v1
	v_mul_f32_e32 v2, 0x4f7ffffe, v2
	v_cvt_u32_f32_e32 v4, v1
	v_cvt_u32_f32_e32 v5, v2
	v_mul_lo_u32 v1, s21, v4
	v_mul_lo_u32 v2, s0, v5
	v_mul_hi_u32 v6, v4, v1
	v_mov_b32_e32 v1, 0
	v_mul_hi_u32 v7, v5, v2
	v_add_nc_u32_e32 v2, 3, v0
	v_add_nc_u32_e32 v4, v4, v6
	;; [unrolled: 1-line block ×4, first 2 shown]
.LBB51_3:                               ; =>This Inner Loop Header: Depth=1
	v_lshlrev_b64 v[7:8], 2, v[0:1]
	v_mul_hi_u32 v15, v4, v0
	v_mul_hi_u32 v23, v4, v6
	;; [unrolled: 1-line block ×4, first 2 shown]
	v_add_nc_u32_e32 v11, 1, v0
	v_add_co_u32 v7, vcc_lo, s10, v7
	v_add_co_ci_u32_e64 v8, null, s11, v8, vcc_lo
	v_add_nc_u32_e32 v12, 2, v0
	v_add_nc_u32_e32 v13, 3, v0
	v_mov_b32_e32 v14, v1
	global_load_dwordx4 v[7:10], v[7:8], off
	v_not_b32_e32 v26, v15
	v_mad_u64_u32 v[21:22], null, s21, v15, v[0:1]
	v_not_b32_e32 v27, v23
	v_mad_u64_u32 v[22:23], null, s21, v23, v[11:12]
	v_mad_u64_u32 v[23:24], null, s21, v19, v[12:13]
	;; [unrolled: 1-line block ×3, first 2 shown]
	v_mul_hi_u32 v30, v11, v4
	v_mad_u64_u32 v[25:26], null, s19, v26, v[0:1]
	v_add_nc_u32_e32 v33, 1, v15
	v_cmp_le_u32_e32 vcc_lo, s19, v21
	v_not_b32_e32 v28, v19
	v_mul_hi_u32 v32, v13, v4
	v_not_b32_e32 v29, v17
	v_mad_u64_u32 v[26:27], null, s19, v27, v[11:12]
	v_add_nc_u32_e32 v17, 1, v30
	v_cndmask_b32_e32 v15, v15, v33, vcc_lo
	v_cmp_le_u32_e64 s2, s19, v22
	v_cndmask_b32_e32 v21, v21, v25, vcc_lo
	v_mad_u64_u32 v[27:28], null, s19, v28, v[12:13]
	v_mul_hi_u32 v31, v12, v4
	v_mad_u64_u32 v[28:29], null, s19, v29, v[13:14]
	v_add_nc_u32_e32 v19, 1, v32
	v_cmp_le_u32_e64 s1, s19, v24
	v_cndmask_b32_e64 v17, v30, v17, s2
	v_add_nc_u32_e32 v25, 1, v15
	v_cndmask_b32_e64 v22, v22, v26, s2
	v_cmp_le_u32_e32 vcc_lo, s19, v21
	v_add_nc_u32_e32 v11, 1, v31
	v_cmp_le_u32_e64 s0, s19, v23
	v_cndmask_b32_e64 v19, v32, v19, s1
	v_cndmask_b32_e64 v24, v24, v28, s1
	v_add_nc_u32_e32 v26, 1, v17
	v_cndmask_b32_e32 v25, v15, v25, vcc_lo
	v_cmp_le_u32_e64 s1, s19, v22
	v_cndmask_b32_e64 v11, v31, v11, s0
	v_cndmask_b32_e64 v23, v23, v27, s0
	v_cmp_le_u32_e64 s0, s19, v24
	v_mul_hi_u32 v15, v25, v5
	v_cndmask_b32_e64 v24, v17, v26, s1
	v_add_nc_u32_e32 v28, 1, v19
	v_mad_u64_u32 v[21:22], null, s21, v25, v[0:1]
	v_add_nc_u32_e32 v27, 1, v11
	v_cmp_le_u32_e32 vcc_lo, s19, v23
	v_mad_u64_u32 v[22:23], null, s21, v24, v[0:1]
	v_mul_hi_u32 v17, v24, v5
	v_add_nc_u32_e32 v0, s18, v0
	v_cndmask_b32_e64 v19, v19, v28, s0
	v_mul_lo_u32 v28, v15, s20
	v_cndmask_b32_e32 v26, v11, v27, vcc_lo
	v_add_nc_u32_e32 v29, 1, v15
	v_add_nc_u32_e32 v27, 4, v0
	v_mul_lo_u32 v30, s6, v22
	v_mul_lo_u32 v22, v17, s20
	v_mul_hi_u32 v23, v26, v5
	v_mad_u64_u32 v[11:12], null, s21, v26, v[12:13]
	v_cmp_lt_u32_e32 vcc_lo, s16, v27
	v_sub_nc_u32_e32 v27, v25, v28
	v_mad_u64_u32 v[12:13], null, s21, v19, v[13:14]
	v_mul_hi_u32 v13, v19, v5
	v_sub_nc_u32_e32 v22, v24, v22
	v_cmp_le_u32_e64 s0, s20, v27
	v_mul_lo_u32 v32, v23, s20
	v_add_nc_u32_e32 v31, 1, v17
	v_add_nc_u32_e32 v34, 1, v23
	v_cmp_le_u32_e64 s1, s20, v22
	v_cndmask_b32_e64 v15, v15, v29, s0
	v_subrev_nc_u32_e32 v29, s20, v27
	v_mul_lo_u32 v33, v13, s20
	v_add_nc_u32_e32 v35, 1, v13
	v_sub_nc_u32_e32 v28, v26, v32
	v_cndmask_b32_e64 v17, v17, v31, s1
	v_subrev_nc_u32_e32 v31, s20, v22
	v_cndmask_b32_e64 v27, v27, v29, s0
	v_add_nc_u32_e32 v29, 1, v15
	v_cmp_le_u32_e64 s2, s20, v28
	v_sub_nc_u32_e32 v32, v19, v33
	v_subrev_nc_u32_e32 v33, s20, v28
	v_cndmask_b32_e64 v22, v22, v31, s1
	v_cmp_le_u32_e64 s0, s20, v27
	v_cndmask_b32_e64 v23, v23, v34, s2
	v_cmp_le_u32_e64 s3, s20, v32
	v_subrev_nc_u32_e32 v34, s20, v32
	v_add_nc_u32_e32 v31, 1, v17
	v_cndmask_b32_e64 v28, v28, v33, s2
	v_cndmask_b32_e64 v15, v15, v29, s0
	v_cmp_le_u32_e64 s0, s20, v22
	v_cndmask_b32_e64 v13, v13, v35, s3
	v_add_nc_u32_e32 v33, 1, v23
	v_cndmask_b32_e64 v32, v32, v34, s3
	v_mul_lo_u32 v27, v15, s20
	v_cndmask_b32_e64 v17, v17, v31, s0
	v_cmp_le_u32_e64 s0, s20, v28
	v_add_nc_u32_e32 v34, 1, v13
	v_mov_b32_e32 v16, v1
	v_mov_b32_e32 v18, v1
	v_mul_lo_u32 v28, v17, s20
	v_cndmask_b32_e64 v22, v23, v33, s0
	v_cmp_le_u32_e64 s0, s20, v32
	v_mul_lo_u32 v29, v17, s4
	v_sub_nc_u32_e32 v25, v25, v27
	v_mov_b32_e32 v20, v1
	v_mul_lo_u32 v31, v22, s20
	v_cndmask_b32_e64 v23, v13, v34, s0
	v_mul_lo_u32 v13, v15, s4
	v_mul_lo_u32 v15, v22, s4
	v_add_nc_u32_e32 v2, s18, v2
	v_add_nc_u32_e32 v3, s18, v3
	v_mul_lo_u32 v17, v23, s4
	v_mul_lo_u32 v32, v23, s20
	v_sub_nc_u32_e32 v26, v26, v31
	v_add_nc_u32_e32 v6, s18, v6
	v_mad_u64_u32 v[21:22], null, v21, s6, v[13:14]
	v_sub_nc_u32_e32 v13, v24, v28
	v_mad_u64_u32 v[22:23], null, v11, s6, v[15:16]
	v_mad_u64_u32 v[11:12], null, v12, s6, v[17:18]
	v_sub_nc_u32_e32 v15, v19, v32
	v_mul_lo_u32 v12, v25, s5
	v_mul_lo_u32 v17, v13, s5
	;; [unrolled: 1-line block ×3, first 2 shown]
	v_add3_u32 v24, v30, s6, v29
	v_mul_lo_u32 v23, v15, s5
	s_or_b32 s22, vcc_lo, s22
	v_add3_u32 v13, v21, v12, s7
	v_add3_u32 v15, v24, v17, s7
	;; [unrolled: 1-line block ×4, first 2 shown]
	v_lshlrev_b64 v[11:12], 2, v[13:14]
	v_lshlrev_b64 v[13:14], 2, v[15:16]
	;; [unrolled: 1-line block ×4, first 2 shown]
	v_add_co_u32 v11, s0, s8, v11
	v_add_co_ci_u32_e64 v12, null, s9, v12, s0
	v_add_co_u32 v13, s0, s8, v13
	v_add_co_ci_u32_e64 v14, null, s9, v14, s0
	;; [unrolled: 2-line block ×4, first 2 shown]
	s_waitcnt vmcnt(0)
	global_store_dword v[11:12], v7, off
	global_store_dword v[13:14], v8, off
	;; [unrolled: 1-line block ×4, first 2 shown]
	s_andn2_b32 exec_lo, exec_lo, s22
	s_cbranch_execnz .LBB51_3
; %bb.4:
	s_or_b32 exec_lo, exec_lo, s22
.LBB51_5:
	s_or_b32 exec_lo, exec_lo, s15
	v_cmp_gt_u32_e32 vcc_lo, s16, v0
	s_and_b32 exec_lo, exec_lo, vcc_lo
	s_cbranch_execz .LBB51_8
; %bb.6:
	s_cmp_eq_u32 s14, 2
	s_cselect_b32 s2, s17, s13
	s_cmp_eq_u32 s14, 1
	v_cvt_f32_u32_e32 v1, s2
	s_cselect_b32 s3, s17, s12
	s_sub_i32 s12, 0, s2
	v_cvt_f32_u32_e32 v2, s3
	s_sub_i32 s0, 0, s3
	v_rcp_iflag_f32_e32 v1, v1
	v_rcp_iflag_f32_e32 v2, v2
	v_mul_f32_e32 v1, 0x4f7ffffe, v1
	v_mul_f32_e32 v2, 0x4f7ffffe, v2
	v_cvt_u32_f32_e32 v3, v1
	v_cvt_u32_f32_e32 v4, v2
	v_mov_b32_e32 v2, 0
	v_mul_lo_u32 v1, s12, v3
	v_mul_lo_u32 v5, s0, v4
	v_mul_hi_u32 v6, v3, v1
	v_mov_b32_e32 v1, v2
	v_mul_hi_u32 v8, v4, v5
	v_add_nc_u32_e32 v7, v3, v6
	v_lshlrev_b64 v[5:6], 2, v[0:1]
	v_add_nc_u32_e32 v8, v4, v8
	v_mad_u64_u32 v[3:4], null, v0, v7, 0
	v_add_co_u32 v5, vcc_lo, s10, v5
	v_add_co_ci_u32_e64 v6, null, s11, v6, vcc_lo
	s_mov_b32 s10, 0
.LBB51_7:                               ; =>This Inner Loop Header: Depth=1
	global_load_dword v11, v[5:6], off
	v_mul_lo_u32 v1, s2, v4
	v_not_b32_e32 v9, v4
	v_add_nc_u32_e32 v12, 1, v4
	v_mad_u64_u32 v[9:10], null, s2, v9, v[0:1]
	v_sub_nc_u32_e32 v1, v0, v1
	v_cmp_le_u32_e32 vcc_lo, s2, v1
	v_cndmask_b32_e32 v10, v4, v12, vcc_lo
	v_cndmask_b32_e32 v1, v1, v9, vcc_lo
	v_add_nc_u32_e32 v9, 1, v10
	v_cmp_le_u32_e32 vcc_lo, s2, v1
	v_cndmask_b32_e32 v12, v10, v9, vcc_lo
	v_add_co_u32 v3, vcc_lo, v3, v7
	v_add_co_ci_u32_e64 v4, null, 0, v4, vcc_lo
	v_mul_hi_u32 v1, v12, v8
	v_mul_lo_u32 v9, v1, s3
	v_add_nc_u32_e32 v10, 1, v1
	v_sub_nc_u32_e32 v9, v12, v9
	v_subrev_nc_u32_e32 v13, s3, v9
	v_cmp_le_u32_e64 s0, s3, v9
	v_cndmask_b32_e64 v1, v1, v10, s0
	v_cndmask_b32_e64 v9, v9, v13, s0
	v_add_nc_u32_e32 v10, 1, v1
	v_cmp_le_u32_e64 s0, s3, v9
	v_cndmask_b32_e64 v1, v1, v10, s0
	v_add_co_u32 v5, s0, v5, 4
	v_add_co_ci_u32_e64 v6, null, 0, v6, s0
	v_mad_u64_u32 v[9:10], null, s12, v12, v[0:1]
	v_mul_lo_u32 v10, v1, s3
	v_mul_lo_u32 v1, v1, s4
	v_add_nc_u32_e32 v0, 1, v0
	v_cmp_le_u32_e64 s0, s16, v0
	v_sub_nc_u32_e32 v12, v12, v10
	v_mad_u64_u32 v[9:10], null, v9, s6, v[1:2]
	s_or_b32 s10, s0, s10
	v_mul_lo_u32 v1, v12, s5
	v_add3_u32 v1, v9, v1, s7
	v_lshlrev_b64 v[9:10], 2, v[1:2]
	v_add_co_u32 v9, s1, s8, v9
	v_add_co_ci_u32_e64 v10, null, s9, v10, s1
	s_waitcnt vmcnt(0)
	global_store_dword v[9:10], v11, off
	s_andn2_b32 exec_lo, exec_lo, s10
	s_cbranch_execnz .LBB51_7
.LBB51_8:
	s_endpgm
	.section	.rodata,"a",@progbits
	.p2align	6, 0x0
	.amdhsa_kernel _ZN2at6native12_GLOBAL__N_135CatArrayBatchedCopy_alignedK_contigINS1_10OpaqueTypeILj4EEEjLi3ELi128ELi1ELi16EEEvPT_NS1_25CatArrInputTensorMetadataIS5_T0_XT2_EXT3_EEENS1_16TensorSizeStrideIS8_Lj4EEEiS8_
		.amdhsa_group_segment_fixed_size 0
		.amdhsa_private_segment_fixed_size 0
		.amdhsa_kernarg_size 3024
		.amdhsa_user_sgpr_count 6
		.amdhsa_user_sgpr_private_segment_buffer 1
		.amdhsa_user_sgpr_dispatch_ptr 0
		.amdhsa_user_sgpr_queue_ptr 0
		.amdhsa_user_sgpr_kernarg_segment_ptr 1
		.amdhsa_user_sgpr_dispatch_id 0
		.amdhsa_user_sgpr_flat_scratch_init 0
		.amdhsa_user_sgpr_private_segment_size 0
		.amdhsa_wavefront_size32 1
		.amdhsa_uses_dynamic_stack 0
		.amdhsa_system_sgpr_private_segment_wavefront_offset 0
		.amdhsa_system_sgpr_workgroup_id_x 1
		.amdhsa_system_sgpr_workgroup_id_y 1
		.amdhsa_system_sgpr_workgroup_id_z 0
		.amdhsa_system_sgpr_workgroup_info 0
		.amdhsa_system_vgpr_workitem_id 0
		.amdhsa_next_free_vgpr 36
		.amdhsa_next_free_sgpr 23
		.amdhsa_reserve_vcc 1
		.amdhsa_reserve_flat_scratch 0
		.amdhsa_float_round_mode_32 0
		.amdhsa_float_round_mode_16_64 0
		.amdhsa_float_denorm_mode_32 3
		.amdhsa_float_denorm_mode_16_64 3
		.amdhsa_dx10_clamp 1
		.amdhsa_ieee_mode 1
		.amdhsa_fp16_overflow 0
		.amdhsa_workgroup_processor_mode 1
		.amdhsa_memory_ordered 1
		.amdhsa_forward_progress 1
		.amdhsa_shared_vgpr_count 0
		.amdhsa_exception_fp_ieee_invalid_op 0
		.amdhsa_exception_fp_denorm_src 0
		.amdhsa_exception_fp_ieee_div_zero 0
		.amdhsa_exception_fp_ieee_overflow 0
		.amdhsa_exception_fp_ieee_underflow 0
		.amdhsa_exception_fp_ieee_inexact 0
		.amdhsa_exception_int_div_zero 0
	.end_amdhsa_kernel
	.section	.text._ZN2at6native12_GLOBAL__N_135CatArrayBatchedCopy_alignedK_contigINS1_10OpaqueTypeILj4EEEjLi3ELi128ELi1ELi16EEEvPT_NS1_25CatArrInputTensorMetadataIS5_T0_XT2_EXT3_EEENS1_16TensorSizeStrideIS8_Lj4EEEiS8_,"axG",@progbits,_ZN2at6native12_GLOBAL__N_135CatArrayBatchedCopy_alignedK_contigINS1_10OpaqueTypeILj4EEEjLi3ELi128ELi1ELi16EEEvPT_NS1_25CatArrInputTensorMetadataIS5_T0_XT2_EXT3_EEENS1_16TensorSizeStrideIS8_Lj4EEEiS8_,comdat
.Lfunc_end51:
	.size	_ZN2at6native12_GLOBAL__N_135CatArrayBatchedCopy_alignedK_contigINS1_10OpaqueTypeILj4EEEjLi3ELi128ELi1ELi16EEEvPT_NS1_25CatArrInputTensorMetadataIS5_T0_XT2_EXT3_EEENS1_16TensorSizeStrideIS8_Lj4EEEiS8_, .Lfunc_end51-_ZN2at6native12_GLOBAL__N_135CatArrayBatchedCopy_alignedK_contigINS1_10OpaqueTypeILj4EEEjLi3ELi128ELi1ELi16EEEvPT_NS1_25CatArrInputTensorMetadataIS5_T0_XT2_EXT3_EEENS1_16TensorSizeStrideIS8_Lj4EEEiS8_
                                        ; -- End function
	.set _ZN2at6native12_GLOBAL__N_135CatArrayBatchedCopy_alignedK_contigINS1_10OpaqueTypeILj4EEEjLi3ELi128ELi1ELi16EEEvPT_NS1_25CatArrInputTensorMetadataIS5_T0_XT2_EXT3_EEENS1_16TensorSizeStrideIS8_Lj4EEEiS8_.num_vgpr, 36
	.set _ZN2at6native12_GLOBAL__N_135CatArrayBatchedCopy_alignedK_contigINS1_10OpaqueTypeILj4EEEjLi3ELi128ELi1ELi16EEEvPT_NS1_25CatArrInputTensorMetadataIS5_T0_XT2_EXT3_EEENS1_16TensorSizeStrideIS8_Lj4EEEiS8_.num_agpr, 0
	.set _ZN2at6native12_GLOBAL__N_135CatArrayBatchedCopy_alignedK_contigINS1_10OpaqueTypeILj4EEEjLi3ELi128ELi1ELi16EEEvPT_NS1_25CatArrInputTensorMetadataIS5_T0_XT2_EXT3_EEENS1_16TensorSizeStrideIS8_Lj4EEEiS8_.numbered_sgpr, 23
	.set _ZN2at6native12_GLOBAL__N_135CatArrayBatchedCopy_alignedK_contigINS1_10OpaqueTypeILj4EEEjLi3ELi128ELi1ELi16EEEvPT_NS1_25CatArrInputTensorMetadataIS5_T0_XT2_EXT3_EEENS1_16TensorSizeStrideIS8_Lj4EEEiS8_.num_named_barrier, 0
	.set _ZN2at6native12_GLOBAL__N_135CatArrayBatchedCopy_alignedK_contigINS1_10OpaqueTypeILj4EEEjLi3ELi128ELi1ELi16EEEvPT_NS1_25CatArrInputTensorMetadataIS5_T0_XT2_EXT3_EEENS1_16TensorSizeStrideIS8_Lj4EEEiS8_.private_seg_size, 0
	.set _ZN2at6native12_GLOBAL__N_135CatArrayBatchedCopy_alignedK_contigINS1_10OpaqueTypeILj4EEEjLi3ELi128ELi1ELi16EEEvPT_NS1_25CatArrInputTensorMetadataIS5_T0_XT2_EXT3_EEENS1_16TensorSizeStrideIS8_Lj4EEEiS8_.uses_vcc, 1
	.set _ZN2at6native12_GLOBAL__N_135CatArrayBatchedCopy_alignedK_contigINS1_10OpaqueTypeILj4EEEjLi3ELi128ELi1ELi16EEEvPT_NS1_25CatArrInputTensorMetadataIS5_T0_XT2_EXT3_EEENS1_16TensorSizeStrideIS8_Lj4EEEiS8_.uses_flat_scratch, 0
	.set _ZN2at6native12_GLOBAL__N_135CatArrayBatchedCopy_alignedK_contigINS1_10OpaqueTypeILj4EEEjLi3ELi128ELi1ELi16EEEvPT_NS1_25CatArrInputTensorMetadataIS5_T0_XT2_EXT3_EEENS1_16TensorSizeStrideIS8_Lj4EEEiS8_.has_dyn_sized_stack, 0
	.set _ZN2at6native12_GLOBAL__N_135CatArrayBatchedCopy_alignedK_contigINS1_10OpaqueTypeILj4EEEjLi3ELi128ELi1ELi16EEEvPT_NS1_25CatArrInputTensorMetadataIS5_T0_XT2_EXT3_EEENS1_16TensorSizeStrideIS8_Lj4EEEiS8_.has_recursion, 0
	.set _ZN2at6native12_GLOBAL__N_135CatArrayBatchedCopy_alignedK_contigINS1_10OpaqueTypeILj4EEEjLi3ELi128ELi1ELi16EEEvPT_NS1_25CatArrInputTensorMetadataIS5_T0_XT2_EXT3_EEENS1_16TensorSizeStrideIS8_Lj4EEEiS8_.has_indirect_call, 0
	.section	.AMDGPU.csdata,"",@progbits
; Kernel info:
; codeLenInByte = 1844
; TotalNumSgprs: 25
; NumVgprs: 36
; ScratchSize: 0
; MemoryBound: 0
; FloatMode: 240
; IeeeMode: 1
; LDSByteSize: 0 bytes/workgroup (compile time only)
; SGPRBlocks: 0
; VGPRBlocks: 4
; NumSGPRsForWavesPerEU: 25
; NumVGPRsForWavesPerEU: 36
; Occupancy: 16
; WaveLimiterHint : 1
; COMPUTE_PGM_RSRC2:SCRATCH_EN: 0
; COMPUTE_PGM_RSRC2:USER_SGPR: 6
; COMPUTE_PGM_RSRC2:TRAP_HANDLER: 0
; COMPUTE_PGM_RSRC2:TGID_X_EN: 1
; COMPUTE_PGM_RSRC2:TGID_Y_EN: 1
; COMPUTE_PGM_RSRC2:TGID_Z_EN: 0
; COMPUTE_PGM_RSRC2:TIDIG_COMP_CNT: 0
	.section	.text._ZN2at6native12_GLOBAL__N_135CatArrayBatchedCopy_alignedK_contigINS1_10OpaqueTypeILj4EEEjLi3ELi128ELi1ELi8EEEvPT_NS1_25CatArrInputTensorMetadataIS5_T0_XT2_EXT3_EEENS1_16TensorSizeStrideIS8_Lj4EEEiS8_,"axG",@progbits,_ZN2at6native12_GLOBAL__N_135CatArrayBatchedCopy_alignedK_contigINS1_10OpaqueTypeILj4EEEjLi3ELi128ELi1ELi8EEEvPT_NS1_25CatArrInputTensorMetadataIS5_T0_XT2_EXT3_EEENS1_16TensorSizeStrideIS8_Lj4EEEiS8_,comdat
	.globl	_ZN2at6native12_GLOBAL__N_135CatArrayBatchedCopy_alignedK_contigINS1_10OpaqueTypeILj4EEEjLi3ELi128ELi1ELi8EEEvPT_NS1_25CatArrInputTensorMetadataIS5_T0_XT2_EXT3_EEENS1_16TensorSizeStrideIS8_Lj4EEEiS8_ ; -- Begin function _ZN2at6native12_GLOBAL__N_135CatArrayBatchedCopy_alignedK_contigINS1_10OpaqueTypeILj4EEEjLi3ELi128ELi1ELi8EEEvPT_NS1_25CatArrInputTensorMetadataIS5_T0_XT2_EXT3_EEENS1_16TensorSizeStrideIS8_Lj4EEEiS8_
	.p2align	8
	.type	_ZN2at6native12_GLOBAL__N_135CatArrayBatchedCopy_alignedK_contigINS1_10OpaqueTypeILj4EEEjLi3ELi128ELi1ELi8EEEvPT_NS1_25CatArrInputTensorMetadataIS5_T0_XT2_EXT3_EEENS1_16TensorSizeStrideIS8_Lj4EEEiS8_,@function
_ZN2at6native12_GLOBAL__N_135CatArrayBatchedCopy_alignedK_contigINS1_10OpaqueTypeILj4EEEjLi3ELi128ELi1ELi8EEEvPT_NS1_25CatArrInputTensorMetadataIS5_T0_XT2_EXT3_EEENS1_16TensorSizeStrideIS8_Lj4EEEiS8_: ; @_ZN2at6native12_GLOBAL__N_135CatArrayBatchedCopy_alignedK_contigINS1_10OpaqueTypeILj4EEEjLi3ELi128ELi1ELi8EEEvPT_NS1_25CatArrInputTensorMetadataIS5_T0_XT2_EXT3_EEENS1_16TensorSizeStrideIS8_Lj4EEEiS8_
; %bb.0:
	s_mov_b32 s2, s7
	s_load_dword s7, s[4:5], 0xadc
	s_mov_b32 s3, 0
	s_add_u32 s0, s4, 0xad0
	s_addc_u32 s1, s5, 0
	s_lshl_b64 s[8:9], s[2:3], 2
	s_waitcnt lgkmcnt(0)
	s_and_b32 s16, s7, 0xffff
	s_add_u32 s2, s4, s8
	s_addc_u32 s3, s5, s9
	s_mul_i32 s6, s6, s16
	s_load_dword s14, s[2:3], 0x808
	v_add_lshl_u32 v0, s6, v0, 1
	s_add_u32 s6, s2, 8
	s_addc_u32 s7, s3, 0
	s_mov_b32 s2, exec_lo
	s_waitcnt lgkmcnt(0)
	v_cmpx_gt_u32_e64 s14, v0
	s_cbranch_execz .LBB52_8
; %bb.1:
	s_add_u32 s18, s6, s8
	s_addc_u32 s19, s7, s9
	s_sub_u32 s6, 0, s8
	s_subb_u32 s7, 0, s9
	s_add_u32 s20, s18, s6
	s_addc_u32 s21, s19, s7
	s_clause 0x3
	s_load_dwordx2 s[2:3], s[4:5], 0x0
	s_load_dwordx2 s[10:11], s[4:5], 0xaac
	;; [unrolled: 1-line block ×3, first 2 shown]
	s_load_dwordx4 s[4:7], s[4:5], 0xab8
	s_waitcnt lgkmcnt(0)
	s_clause 0x2
	s_load_dword s7, s[20:21], 0x400
	s_load_dwordx2 s[8:9], s[18:19], 0x0
	s_load_dword s15, s[20:21], 0x600
	v_add_nc_u32_e32 v1, 2, v0
	s_waitcnt lgkmcnt(0)
	s_mul_i32 s7, s7, s13
	s_mov_b32 s13, exec_lo
	v_cmpx_ge_u32_e64 s14, v1
	s_cbranch_execz .LBB52_5
; %bb.2:
	s_load_dword s0, s[0:1], 0x0
	s_mov_b32 s20, 0
	s_waitcnt lgkmcnt(0)
	s_mul_i32 s0, s0, s16
	s_lshl_b32 s16, s0, 1
	s_cmp_eq_u32 s12, 2
	s_cselect_b32 s17, s15, s11
	s_cmp_eq_u32 s12, 1
	v_cvt_f32_u32_e32 v1, s17
	s_cselect_b32 s18, s15, s10
	s_sub_i32 s19, 0, s17
	v_cvt_f32_u32_e32 v2, s18
	s_sub_i32 s0, 0, s18
	v_rcp_iflag_f32_e32 v1, v1
	v_rcp_iflag_f32_e32 v2, v2
	v_mul_f32_e32 v1, 0x4f7ffffe, v1
	v_mul_f32_e32 v2, 0x4f7ffffe, v2
	v_cvt_u32_f32_e32 v3, v1
	v_cvt_u32_f32_e32 v4, v2
	v_mul_lo_u32 v1, s19, v3
	v_mul_lo_u32 v2, s0, v4
	v_mul_hi_u32 v5, v3, v1
	v_mov_b32_e32 v1, 0
	v_mul_hi_u32 v6, v4, v2
	v_add_nc_u32_e32 v2, v3, v5
	v_add_nc_u32_e32 v3, v4, v6
	;; [unrolled: 1-line block ×3, first 2 shown]
.LBB52_3:                               ; =>This Inner Loop Header: Depth=1
	v_lshlrev_b64 v[5:6], 2, v[0:1]
	v_mul_hi_u32 v9, v2, v0
	v_mul_hi_u32 v13, v2, v4
	v_add_nc_u32_e32 v7, 1, v0
	v_mov_b32_e32 v8, v1
	v_mov_b32_e32 v10, v1
	v_add_co_u32 v5, vcc_lo, s8, v5
	v_add_co_ci_u32_e64 v6, null, s9, v6, vcc_lo
	v_not_b32_e32 v14, v9
	v_mad_u64_u32 v[11:12], null, s19, v9, v[0:1]
	global_load_dwordx2 v[5:6], v[5:6], off
	v_not_b32_e32 v15, v13
	v_mad_u64_u32 v[12:13], null, s19, v13, v[7:8]
	v_mul_hi_u32 v16, v7, v2
	v_mad_u64_u32 v[13:14], null, s17, v14, v[0:1]
	v_add_nc_u32_e32 v17, 1, v9
	v_cmp_le_u32_e32 vcc_lo, s17, v11
	v_mad_u64_u32 v[14:15], null, s17, v15, v[7:8]
	v_cmp_le_u32_e64 s0, s17, v12
	v_add_nc_u32_e32 v18, 1, v16
	v_cndmask_b32_e32 v7, v9, v17, vcc_lo
	v_cndmask_b32_e32 v11, v11, v13, vcc_lo
	v_add_nc_u32_e32 v4, s16, v4
	v_cndmask_b32_e64 v9, v16, v18, s0
	v_add_nc_u32_e32 v13, 1, v7
	v_cndmask_b32_e64 v12, v12, v14, s0
	v_cmp_le_u32_e32 vcc_lo, s17, v11
	v_add_nc_u32_e32 v14, 1, v9
	v_cndmask_b32_e32 v15, v7, v13, vcc_lo
	v_cmp_le_u32_e32 vcc_lo, s17, v12
	v_mad_u64_u32 v[11:12], null, s19, v15, v[0:1]
	v_cndmask_b32_e32 v9, v9, v14, vcc_lo
	v_mul_hi_u32 v7, v15, v3
	v_mad_u64_u32 v[12:13], null, s19, v9, v[0:1]
	v_mul_hi_u32 v13, v9, v3
	v_add_nc_u32_e32 v0, s16, v0
	v_mul_lo_u32 v16, v7, s18
	v_add_nc_u32_e32 v17, 1, v7
	v_add_nc_u32_e32 v14, 2, v0
	v_mul_lo_u32 v19, s6, v12
	v_mul_lo_u32 v18, v13, s18
	v_add_nc_u32_e32 v12, 1, v13
	v_cmp_lt_u32_e32 vcc_lo, s14, v14
	v_sub_nc_u32_e32 v14, v15, v16
	v_sub_nc_u32_e32 v16, v9, v18
	v_subrev_nc_u32_e32 v18, s18, v14
	v_cmp_le_u32_e64 s0, s18, v14
	s_or_b32 s20, vcc_lo, s20
	v_cmp_le_u32_e64 s1, s18, v16
	v_cndmask_b32_e64 v7, v7, v17, s0
	v_subrev_nc_u32_e32 v17, s18, v16
	v_cndmask_b32_e64 v12, v13, v12, s1
	v_cndmask_b32_e64 v13, v14, v18, s0
	v_add_nc_u32_e32 v14, 1, v7
	v_cndmask_b32_e64 v16, v16, v17, s1
	v_add_nc_u32_e32 v17, 1, v12
	v_cmp_le_u32_e64 s0, s18, v13
	v_cndmask_b32_e64 v7, v7, v14, s0
	v_cmp_le_u32_e64 s0, s18, v16
	v_mul_lo_u32 v13, v7, s18
	v_cndmask_b32_e64 v12, v12, v17, s0
	v_mul_lo_u32 v7, v7, s4
	v_mul_lo_u32 v14, v12, s18
	;; [unrolled: 1-line block ×3, first 2 shown]
	v_sub_nc_u32_e32 v13, v15, v13
	v_mad_u64_u32 v[11:12], null, v11, s6, v[7:8]
	v_sub_nc_u32_e32 v7, v9, v14
	v_mul_lo_u32 v9, v13, s5
	v_add3_u32 v13, v19, s6, v16
	v_mul_lo_u32 v12, v7, s5
	v_add3_u32 v7, v11, v9, s7
	v_add3_u32 v9, v13, v12, s7
	v_lshlrev_b64 v[7:8], 2, v[7:8]
	v_lshlrev_b64 v[9:10], 2, v[9:10]
	v_add_co_u32 v7, s0, s2, v7
	v_add_co_ci_u32_e64 v8, null, s3, v8, s0
	v_add_co_u32 v9, s0, s2, v9
	v_add_co_ci_u32_e64 v10, null, s3, v10, s0
	s_waitcnt vmcnt(0)
	global_store_dword v[7:8], v5, off
	global_store_dword v[9:10], v6, off
	s_andn2_b32 exec_lo, exec_lo, s20
	s_cbranch_execnz .LBB52_3
; %bb.4:
	s_or_b32 exec_lo, exec_lo, s20
.LBB52_5:
	s_or_b32 exec_lo, exec_lo, s13
	v_cmp_gt_u32_e32 vcc_lo, s14, v0
	s_and_b32 exec_lo, exec_lo, vcc_lo
	s_cbranch_execz .LBB52_8
; %bb.6:
	s_cmp_eq_u32 s12, 2
	s_cselect_b32 s11, s15, s11
	s_cmp_eq_u32 s12, 1
	v_cvt_f32_u32_e32 v1, s11
	s_cselect_b32 s10, s15, s10
	s_sub_i32 s12, 0, s11
	v_cvt_f32_u32_e32 v2, s10
	s_sub_i32 s0, 0, s10
	v_rcp_iflag_f32_e32 v1, v1
	v_rcp_iflag_f32_e32 v2, v2
	v_mul_f32_e32 v1, 0x4f7ffffe, v1
	v_mul_f32_e32 v2, 0x4f7ffffe, v2
	v_cvt_u32_f32_e32 v3, v1
	v_cvt_u32_f32_e32 v4, v2
	v_mov_b32_e32 v2, 0
	v_mul_lo_u32 v1, s12, v3
	v_mul_lo_u32 v5, s0, v4
	v_mul_hi_u32 v6, v3, v1
	v_mov_b32_e32 v1, v2
	v_mul_hi_u32 v8, v4, v5
	v_add_nc_u32_e32 v7, v3, v6
	v_lshlrev_b64 v[5:6], 2, v[0:1]
	v_add_nc_u32_e32 v8, v4, v8
	v_mad_u64_u32 v[3:4], null, v0, v7, 0
	v_add_co_u32 v5, vcc_lo, s8, v5
	v_add_co_ci_u32_e64 v6, null, s9, v6, vcc_lo
	s_mov_b32 s8, 0
.LBB52_7:                               ; =>This Inner Loop Header: Depth=1
	global_load_dword v11, v[5:6], off
	v_mul_lo_u32 v1, s11, v4
	v_not_b32_e32 v9, v4
	v_add_nc_u32_e32 v12, 1, v4
	v_mad_u64_u32 v[9:10], null, s11, v9, v[0:1]
	v_sub_nc_u32_e32 v1, v0, v1
	v_cmp_le_u32_e32 vcc_lo, s11, v1
	v_cndmask_b32_e32 v10, v4, v12, vcc_lo
	v_cndmask_b32_e32 v1, v1, v9, vcc_lo
	v_add_nc_u32_e32 v9, 1, v10
	v_cmp_le_u32_e32 vcc_lo, s11, v1
	v_cndmask_b32_e32 v12, v10, v9, vcc_lo
	v_add_co_u32 v3, vcc_lo, v3, v7
	v_add_co_ci_u32_e64 v4, null, 0, v4, vcc_lo
	v_mul_hi_u32 v1, v12, v8
	v_mul_lo_u32 v9, v1, s10
	v_add_nc_u32_e32 v10, 1, v1
	v_sub_nc_u32_e32 v9, v12, v9
	v_subrev_nc_u32_e32 v13, s10, v9
	v_cmp_le_u32_e64 s0, s10, v9
	v_cndmask_b32_e64 v1, v1, v10, s0
	v_cndmask_b32_e64 v9, v9, v13, s0
	v_add_nc_u32_e32 v10, 1, v1
	v_cmp_le_u32_e64 s0, s10, v9
	v_cndmask_b32_e64 v1, v1, v10, s0
	v_add_co_u32 v5, s0, v5, 4
	v_add_co_ci_u32_e64 v6, null, 0, v6, s0
	v_mad_u64_u32 v[9:10], null, s12, v12, v[0:1]
	v_mul_lo_u32 v10, v1, s10
	v_mul_lo_u32 v1, v1, s4
	v_add_nc_u32_e32 v0, 1, v0
	v_cmp_le_u32_e64 s0, s14, v0
	v_sub_nc_u32_e32 v12, v12, v10
	v_mad_u64_u32 v[9:10], null, v9, s6, v[1:2]
	s_or_b32 s8, s0, s8
	v_mul_lo_u32 v1, v12, s5
	v_add3_u32 v1, v9, v1, s7
	v_lshlrev_b64 v[9:10], 2, v[1:2]
	v_add_co_u32 v9, s1, s2, v9
	v_add_co_ci_u32_e64 v10, null, s3, v10, s1
	s_waitcnt vmcnt(0)
	global_store_dword v[9:10], v11, off
	s_andn2_b32 exec_lo, exec_lo, s8
	s_cbranch_execnz .LBB52_7
.LBB52_8:
	s_endpgm
	.section	.rodata,"a",@progbits
	.p2align	6, 0x0
	.amdhsa_kernel _ZN2at6native12_GLOBAL__N_135CatArrayBatchedCopy_alignedK_contigINS1_10OpaqueTypeILj4EEEjLi3ELi128ELi1ELi8EEEvPT_NS1_25CatArrInputTensorMetadataIS5_T0_XT2_EXT3_EEENS1_16TensorSizeStrideIS8_Lj4EEEiS8_
		.amdhsa_group_segment_fixed_size 0
		.amdhsa_private_segment_fixed_size 0
		.amdhsa_kernarg_size 3024
		.amdhsa_user_sgpr_count 6
		.amdhsa_user_sgpr_private_segment_buffer 1
		.amdhsa_user_sgpr_dispatch_ptr 0
		.amdhsa_user_sgpr_queue_ptr 0
		.amdhsa_user_sgpr_kernarg_segment_ptr 1
		.amdhsa_user_sgpr_dispatch_id 0
		.amdhsa_user_sgpr_flat_scratch_init 0
		.amdhsa_user_sgpr_private_segment_size 0
		.amdhsa_wavefront_size32 1
		.amdhsa_uses_dynamic_stack 0
		.amdhsa_system_sgpr_private_segment_wavefront_offset 0
		.amdhsa_system_sgpr_workgroup_id_x 1
		.amdhsa_system_sgpr_workgroup_id_y 1
		.amdhsa_system_sgpr_workgroup_id_z 0
		.amdhsa_system_sgpr_workgroup_info 0
		.amdhsa_system_vgpr_workitem_id 0
		.amdhsa_next_free_vgpr 20
		.amdhsa_next_free_sgpr 22
		.amdhsa_reserve_vcc 1
		.amdhsa_reserve_flat_scratch 0
		.amdhsa_float_round_mode_32 0
		.amdhsa_float_round_mode_16_64 0
		.amdhsa_float_denorm_mode_32 3
		.amdhsa_float_denorm_mode_16_64 3
		.amdhsa_dx10_clamp 1
		.amdhsa_ieee_mode 1
		.amdhsa_fp16_overflow 0
		.amdhsa_workgroup_processor_mode 1
		.amdhsa_memory_ordered 1
		.amdhsa_forward_progress 1
		.amdhsa_shared_vgpr_count 0
		.amdhsa_exception_fp_ieee_invalid_op 0
		.amdhsa_exception_fp_denorm_src 0
		.amdhsa_exception_fp_ieee_div_zero 0
		.amdhsa_exception_fp_ieee_overflow 0
		.amdhsa_exception_fp_ieee_underflow 0
		.amdhsa_exception_fp_ieee_inexact 0
		.amdhsa_exception_int_div_zero 0
	.end_amdhsa_kernel
	.section	.text._ZN2at6native12_GLOBAL__N_135CatArrayBatchedCopy_alignedK_contigINS1_10OpaqueTypeILj4EEEjLi3ELi128ELi1ELi8EEEvPT_NS1_25CatArrInputTensorMetadataIS5_T0_XT2_EXT3_EEENS1_16TensorSizeStrideIS8_Lj4EEEiS8_,"axG",@progbits,_ZN2at6native12_GLOBAL__N_135CatArrayBatchedCopy_alignedK_contigINS1_10OpaqueTypeILj4EEEjLi3ELi128ELi1ELi8EEEvPT_NS1_25CatArrInputTensorMetadataIS5_T0_XT2_EXT3_EEENS1_16TensorSizeStrideIS8_Lj4EEEiS8_,comdat
.Lfunc_end52:
	.size	_ZN2at6native12_GLOBAL__N_135CatArrayBatchedCopy_alignedK_contigINS1_10OpaqueTypeILj4EEEjLi3ELi128ELi1ELi8EEEvPT_NS1_25CatArrInputTensorMetadataIS5_T0_XT2_EXT3_EEENS1_16TensorSizeStrideIS8_Lj4EEEiS8_, .Lfunc_end52-_ZN2at6native12_GLOBAL__N_135CatArrayBatchedCopy_alignedK_contigINS1_10OpaqueTypeILj4EEEjLi3ELi128ELi1ELi8EEEvPT_NS1_25CatArrInputTensorMetadataIS5_T0_XT2_EXT3_EEENS1_16TensorSizeStrideIS8_Lj4EEEiS8_
                                        ; -- End function
	.set _ZN2at6native12_GLOBAL__N_135CatArrayBatchedCopy_alignedK_contigINS1_10OpaqueTypeILj4EEEjLi3ELi128ELi1ELi8EEEvPT_NS1_25CatArrInputTensorMetadataIS5_T0_XT2_EXT3_EEENS1_16TensorSizeStrideIS8_Lj4EEEiS8_.num_vgpr, 20
	.set _ZN2at6native12_GLOBAL__N_135CatArrayBatchedCopy_alignedK_contigINS1_10OpaqueTypeILj4EEEjLi3ELi128ELi1ELi8EEEvPT_NS1_25CatArrInputTensorMetadataIS5_T0_XT2_EXT3_EEENS1_16TensorSizeStrideIS8_Lj4EEEiS8_.num_agpr, 0
	.set _ZN2at6native12_GLOBAL__N_135CatArrayBatchedCopy_alignedK_contigINS1_10OpaqueTypeILj4EEEjLi3ELi128ELi1ELi8EEEvPT_NS1_25CatArrInputTensorMetadataIS5_T0_XT2_EXT3_EEENS1_16TensorSizeStrideIS8_Lj4EEEiS8_.numbered_sgpr, 22
	.set _ZN2at6native12_GLOBAL__N_135CatArrayBatchedCopy_alignedK_contigINS1_10OpaqueTypeILj4EEEjLi3ELi128ELi1ELi8EEEvPT_NS1_25CatArrInputTensorMetadataIS5_T0_XT2_EXT3_EEENS1_16TensorSizeStrideIS8_Lj4EEEiS8_.num_named_barrier, 0
	.set _ZN2at6native12_GLOBAL__N_135CatArrayBatchedCopy_alignedK_contigINS1_10OpaqueTypeILj4EEEjLi3ELi128ELi1ELi8EEEvPT_NS1_25CatArrInputTensorMetadataIS5_T0_XT2_EXT3_EEENS1_16TensorSizeStrideIS8_Lj4EEEiS8_.private_seg_size, 0
	.set _ZN2at6native12_GLOBAL__N_135CatArrayBatchedCopy_alignedK_contigINS1_10OpaqueTypeILj4EEEjLi3ELi128ELi1ELi8EEEvPT_NS1_25CatArrInputTensorMetadataIS5_T0_XT2_EXT3_EEENS1_16TensorSizeStrideIS8_Lj4EEEiS8_.uses_vcc, 1
	.set _ZN2at6native12_GLOBAL__N_135CatArrayBatchedCopy_alignedK_contigINS1_10OpaqueTypeILj4EEEjLi3ELi128ELi1ELi8EEEvPT_NS1_25CatArrInputTensorMetadataIS5_T0_XT2_EXT3_EEENS1_16TensorSizeStrideIS8_Lj4EEEiS8_.uses_flat_scratch, 0
	.set _ZN2at6native12_GLOBAL__N_135CatArrayBatchedCopy_alignedK_contigINS1_10OpaqueTypeILj4EEEjLi3ELi128ELi1ELi8EEEvPT_NS1_25CatArrInputTensorMetadataIS5_T0_XT2_EXT3_EEENS1_16TensorSizeStrideIS8_Lj4EEEiS8_.has_dyn_sized_stack, 0
	.set _ZN2at6native12_GLOBAL__N_135CatArrayBatchedCopy_alignedK_contigINS1_10OpaqueTypeILj4EEEjLi3ELi128ELi1ELi8EEEvPT_NS1_25CatArrInputTensorMetadataIS5_T0_XT2_EXT3_EEENS1_16TensorSizeStrideIS8_Lj4EEEiS8_.has_recursion, 0
	.set _ZN2at6native12_GLOBAL__N_135CatArrayBatchedCopy_alignedK_contigINS1_10OpaqueTypeILj4EEEjLi3ELi128ELi1ELi8EEEvPT_NS1_25CatArrInputTensorMetadataIS5_T0_XT2_EXT3_EEENS1_16TensorSizeStrideIS8_Lj4EEEiS8_.has_indirect_call, 0
	.section	.AMDGPU.csdata,"",@progbits
; Kernel info:
; codeLenInByte = 1332
; TotalNumSgprs: 24
; NumVgprs: 20
; ScratchSize: 0
; MemoryBound: 0
; FloatMode: 240
; IeeeMode: 1
; LDSByteSize: 0 bytes/workgroup (compile time only)
; SGPRBlocks: 0
; VGPRBlocks: 2
; NumSGPRsForWavesPerEU: 24
; NumVGPRsForWavesPerEU: 20
; Occupancy: 16
; WaveLimiterHint : 1
; COMPUTE_PGM_RSRC2:SCRATCH_EN: 0
; COMPUTE_PGM_RSRC2:USER_SGPR: 6
; COMPUTE_PGM_RSRC2:TRAP_HANDLER: 0
; COMPUTE_PGM_RSRC2:TGID_X_EN: 1
; COMPUTE_PGM_RSRC2:TGID_Y_EN: 1
; COMPUTE_PGM_RSRC2:TGID_Z_EN: 0
; COMPUTE_PGM_RSRC2:TIDIG_COMP_CNT: 0
	.section	.text._ZN2at6native12_GLOBAL__N_126CatArrayBatchedCopy_contigINS1_10OpaqueTypeILj4EEEjLi3ELi128ELi1EEEvPT_NS1_25CatArrInputTensorMetadataIS5_T0_XT2_EXT3_EEENS1_16TensorSizeStrideIS8_Lj4EEEiS8_,"axG",@progbits,_ZN2at6native12_GLOBAL__N_126CatArrayBatchedCopy_contigINS1_10OpaqueTypeILj4EEEjLi3ELi128ELi1EEEvPT_NS1_25CatArrInputTensorMetadataIS5_T0_XT2_EXT3_EEENS1_16TensorSizeStrideIS8_Lj4EEEiS8_,comdat
	.globl	_ZN2at6native12_GLOBAL__N_126CatArrayBatchedCopy_contigINS1_10OpaqueTypeILj4EEEjLi3ELi128ELi1EEEvPT_NS1_25CatArrInputTensorMetadataIS5_T0_XT2_EXT3_EEENS1_16TensorSizeStrideIS8_Lj4EEEiS8_ ; -- Begin function _ZN2at6native12_GLOBAL__N_126CatArrayBatchedCopy_contigINS1_10OpaqueTypeILj4EEEjLi3ELi128ELi1EEEvPT_NS1_25CatArrInputTensorMetadataIS5_T0_XT2_EXT3_EEENS1_16TensorSizeStrideIS8_Lj4EEEiS8_
	.p2align	8
	.type	_ZN2at6native12_GLOBAL__N_126CatArrayBatchedCopy_contigINS1_10OpaqueTypeILj4EEEjLi3ELi128ELi1EEEvPT_NS1_25CatArrInputTensorMetadataIS5_T0_XT2_EXT3_EEENS1_16TensorSizeStrideIS8_Lj4EEEiS8_,@function
_ZN2at6native12_GLOBAL__N_126CatArrayBatchedCopy_contigINS1_10OpaqueTypeILj4EEEjLi3ELi128ELi1EEEvPT_NS1_25CatArrInputTensorMetadataIS5_T0_XT2_EXT3_EEENS1_16TensorSizeStrideIS8_Lj4EEEiS8_: ; @_ZN2at6native12_GLOBAL__N_126CatArrayBatchedCopy_contigINS1_10OpaqueTypeILj4EEEjLi3ELi128ELi1EEEvPT_NS1_25CatArrInputTensorMetadataIS5_T0_XT2_EXT3_EEENS1_16TensorSizeStrideIS8_Lj4EEEiS8_
; %bb.0:
	s_mov_b32 s0, s7
	s_load_dword s7, s[4:5], 0xadc
	s_mov_b32 s1, 0
	s_add_u32 s12, s4, 0xad0
	s_addc_u32 s13, s5, 0
	s_lshl_b64 s[2:3], s[0:1], 2
	s_waitcnt lgkmcnt(0)
	s_and_b32 s0, s7, 0xffff
	s_add_u32 s8, s4, s2
	s_addc_u32 s9, s5, s3
	v_mad_u64_u32 v[0:1], null, s6, s0, v[0:1]
	s_load_dword s7, s[8:9], 0x808
	s_add_u32 s6, s8, 8
	s_addc_u32 s8, s9, 0
	s_mov_b32 s9, exec_lo
	s_waitcnt lgkmcnt(0)
	v_cmpx_gt_u32_e64 s7, v0
	s_cbranch_execz .LBB53_3
; %bb.1:
	s_add_u32 s18, s6, s2
	s_addc_u32 s19, s8, s3
	s_sub_u32 s2, 0, s2
	s_load_dwordx2 s[16:17], s[4:5], 0xac8
	s_subb_u32 s3, 0, s3
	s_add_u32 s20, s18, s2
	s_addc_u32 s21, s19, s3
	s_clause 0x2
	s_load_dwordx2 s[2:3], s[4:5], 0xaac
	s_load_dword s6, s[20:21], 0x600
	s_load_dwordx4 s[8:11], s[4:5], 0xab8
	s_load_dword s12, s[12:13], 0x0
	s_waitcnt lgkmcnt(0)
	s_cmp_eq_u32 s16, 2
	s_cselect_b32 s11, s6, s3
	s_cmp_eq_u32 s16, 1
	v_cvt_f32_u32_e32 v1, s11
	s_cselect_b32 s14, s6, s2
	s_load_dwordx2 s[2:3], s[4:5], 0x0
	v_cvt_f32_u32_e32 v2, s14
	s_sub_i32 s15, 0, s11
	v_rcp_iflag_f32_e32 v1, v1
	s_sub_i32 s4, 0, s14
	s_load_dword s6, s[20:21], 0x400
	v_rcp_iflag_f32_e32 v2, v2
	s_mul_i32 s12, s12, s0
	v_mul_f32_e32 v1, 0x4f7ffffe, v1
	v_mul_f32_e32 v2, 0x4f7ffffe, v2
	v_cvt_u32_f32_e32 v1, v1
	v_cvt_u32_f32_e32 v3, v2
	v_mul_lo_u32 v2, s15, v1
	v_mul_lo_u32 v4, s4, v3
	s_load_dwordx2 s[4:5], s[18:19], 0x0
	s_waitcnt lgkmcnt(0)
	s_mul_i32 s6, s6, s17
	v_mul_hi_u32 v2, v1, v2
	v_mul_hi_u32 v4, v3, v4
	v_add_nc_u32_e32 v2, v1, v2
	v_mov_b32_e32 v1, 0
	v_add_nc_u32_e32 v3, v3, v4
.LBB53_2:                               ; =>This Inner Loop Header: Depth=1
	v_lshlrev_b64 v[4:5], 2, v[0:1]
	v_mul_hi_u32 v7, v2, v0
	v_add_co_u32 v4, vcc_lo, s4, v4
	v_add_co_ci_u32_e64 v5, null, s5, v5, vcc_lo
	v_mul_lo_u32 v8, s11, v7
	v_add_nc_u32_e32 v9, 1, v7
	global_load_dword v6, v[4:5], off
	v_not_b32_e32 v4, v7
	v_mad_u64_u32 v[4:5], null, s11, v4, v[0:1]
	v_sub_nc_u32_e32 v5, v0, v8
	v_cmp_le_u32_e32 vcc_lo, s11, v5
	v_cndmask_b32_e32 v7, v7, v9, vcc_lo
	v_cndmask_b32_e32 v4, v5, v4, vcc_lo
	v_add_nc_u32_e32 v5, 1, v7
	v_cmp_le_u32_e32 vcc_lo, s11, v4
	v_cndmask_b32_e32 v7, v7, v5, vcc_lo
	v_mul_hi_u32 v4, v7, v3
	v_mul_lo_u32 v5, v4, s14
	v_add_nc_u32_e32 v8, 1, v4
	v_sub_nc_u32_e32 v5, v7, v5
	v_subrev_nc_u32_e32 v9, s14, v5
	v_cmp_le_u32_e32 vcc_lo, s14, v5
	v_cndmask_b32_e32 v4, v4, v8, vcc_lo
	v_cndmask_b32_e32 v5, v5, v9, vcc_lo
	v_add_nc_u32_e32 v8, 1, v4
	v_cmp_le_u32_e32 vcc_lo, s14, v5
	v_cndmask_b32_e32 v8, v4, v8, vcc_lo
	v_mad_u64_u32 v[4:5], null, s15, v7, v[0:1]
	v_add_nc_u32_e32 v0, s12, v0
	v_mul_lo_u32 v9, v8, s14
	v_cmp_le_u32_e32 vcc_lo, s7, v0
	v_mul_lo_u32 v10, v4, s10
	v_mad_u64_u32 v[4:5], null, v8, s8, s[6:7]
	v_mov_b32_e32 v5, v1
	v_sub_nc_u32_e32 v7, v7, v9
	s_or_b32 s1, vcc_lo, s1
	v_mul_lo_u32 v7, v7, s9
	v_add3_u32 v4, v4, v10, v7
	v_lshlrev_b64 v[4:5], 2, v[4:5]
	v_add_co_u32 v4, s0, s2, v4
	v_add_co_ci_u32_e64 v5, null, s3, v5, s0
	s_waitcnt vmcnt(0)
	global_store_dword v[4:5], v6, off
	s_andn2_b32 exec_lo, exec_lo, s1
	s_cbranch_execnz .LBB53_2
.LBB53_3:
	s_endpgm
	.section	.rodata,"a",@progbits
	.p2align	6, 0x0
	.amdhsa_kernel _ZN2at6native12_GLOBAL__N_126CatArrayBatchedCopy_contigINS1_10OpaqueTypeILj4EEEjLi3ELi128ELi1EEEvPT_NS1_25CatArrInputTensorMetadataIS5_T0_XT2_EXT3_EEENS1_16TensorSizeStrideIS8_Lj4EEEiS8_
		.amdhsa_group_segment_fixed_size 0
		.amdhsa_private_segment_fixed_size 0
		.amdhsa_kernarg_size 3024
		.amdhsa_user_sgpr_count 6
		.amdhsa_user_sgpr_private_segment_buffer 1
		.amdhsa_user_sgpr_dispatch_ptr 0
		.amdhsa_user_sgpr_queue_ptr 0
		.amdhsa_user_sgpr_kernarg_segment_ptr 1
		.amdhsa_user_sgpr_dispatch_id 0
		.amdhsa_user_sgpr_flat_scratch_init 0
		.amdhsa_user_sgpr_private_segment_size 0
		.amdhsa_wavefront_size32 1
		.amdhsa_uses_dynamic_stack 0
		.amdhsa_system_sgpr_private_segment_wavefront_offset 0
		.amdhsa_system_sgpr_workgroup_id_x 1
		.amdhsa_system_sgpr_workgroup_id_y 1
		.amdhsa_system_sgpr_workgroup_id_z 0
		.amdhsa_system_sgpr_workgroup_info 0
		.amdhsa_system_vgpr_workitem_id 0
		.amdhsa_next_free_vgpr 11
		.amdhsa_next_free_sgpr 22
		.amdhsa_reserve_vcc 1
		.amdhsa_reserve_flat_scratch 0
		.amdhsa_float_round_mode_32 0
		.amdhsa_float_round_mode_16_64 0
		.amdhsa_float_denorm_mode_32 3
		.amdhsa_float_denorm_mode_16_64 3
		.amdhsa_dx10_clamp 1
		.amdhsa_ieee_mode 1
		.amdhsa_fp16_overflow 0
		.amdhsa_workgroup_processor_mode 1
		.amdhsa_memory_ordered 1
		.amdhsa_forward_progress 1
		.amdhsa_shared_vgpr_count 0
		.amdhsa_exception_fp_ieee_invalid_op 0
		.amdhsa_exception_fp_denorm_src 0
		.amdhsa_exception_fp_ieee_div_zero 0
		.amdhsa_exception_fp_ieee_overflow 0
		.amdhsa_exception_fp_ieee_underflow 0
		.amdhsa_exception_fp_ieee_inexact 0
		.amdhsa_exception_int_div_zero 0
	.end_amdhsa_kernel
	.section	.text._ZN2at6native12_GLOBAL__N_126CatArrayBatchedCopy_contigINS1_10OpaqueTypeILj4EEEjLi3ELi128ELi1EEEvPT_NS1_25CatArrInputTensorMetadataIS5_T0_XT2_EXT3_EEENS1_16TensorSizeStrideIS8_Lj4EEEiS8_,"axG",@progbits,_ZN2at6native12_GLOBAL__N_126CatArrayBatchedCopy_contigINS1_10OpaqueTypeILj4EEEjLi3ELi128ELi1EEEvPT_NS1_25CatArrInputTensorMetadataIS5_T0_XT2_EXT3_EEENS1_16TensorSizeStrideIS8_Lj4EEEiS8_,comdat
.Lfunc_end53:
	.size	_ZN2at6native12_GLOBAL__N_126CatArrayBatchedCopy_contigINS1_10OpaqueTypeILj4EEEjLi3ELi128ELi1EEEvPT_NS1_25CatArrInputTensorMetadataIS5_T0_XT2_EXT3_EEENS1_16TensorSizeStrideIS8_Lj4EEEiS8_, .Lfunc_end53-_ZN2at6native12_GLOBAL__N_126CatArrayBatchedCopy_contigINS1_10OpaqueTypeILj4EEEjLi3ELi128ELi1EEEvPT_NS1_25CatArrInputTensorMetadataIS5_T0_XT2_EXT3_EEENS1_16TensorSizeStrideIS8_Lj4EEEiS8_
                                        ; -- End function
	.set _ZN2at6native12_GLOBAL__N_126CatArrayBatchedCopy_contigINS1_10OpaqueTypeILj4EEEjLi3ELi128ELi1EEEvPT_NS1_25CatArrInputTensorMetadataIS5_T0_XT2_EXT3_EEENS1_16TensorSizeStrideIS8_Lj4EEEiS8_.num_vgpr, 11
	.set _ZN2at6native12_GLOBAL__N_126CatArrayBatchedCopy_contigINS1_10OpaqueTypeILj4EEEjLi3ELi128ELi1EEEvPT_NS1_25CatArrInputTensorMetadataIS5_T0_XT2_EXT3_EEENS1_16TensorSizeStrideIS8_Lj4EEEiS8_.num_agpr, 0
	.set _ZN2at6native12_GLOBAL__N_126CatArrayBatchedCopy_contigINS1_10OpaqueTypeILj4EEEjLi3ELi128ELi1EEEvPT_NS1_25CatArrInputTensorMetadataIS5_T0_XT2_EXT3_EEENS1_16TensorSizeStrideIS8_Lj4EEEiS8_.numbered_sgpr, 22
	.set _ZN2at6native12_GLOBAL__N_126CatArrayBatchedCopy_contigINS1_10OpaqueTypeILj4EEEjLi3ELi128ELi1EEEvPT_NS1_25CatArrInputTensorMetadataIS5_T0_XT2_EXT3_EEENS1_16TensorSizeStrideIS8_Lj4EEEiS8_.num_named_barrier, 0
	.set _ZN2at6native12_GLOBAL__N_126CatArrayBatchedCopy_contigINS1_10OpaqueTypeILj4EEEjLi3ELi128ELi1EEEvPT_NS1_25CatArrInputTensorMetadataIS5_T0_XT2_EXT3_EEENS1_16TensorSizeStrideIS8_Lj4EEEiS8_.private_seg_size, 0
	.set _ZN2at6native12_GLOBAL__N_126CatArrayBatchedCopy_contigINS1_10OpaqueTypeILj4EEEjLi3ELi128ELi1EEEvPT_NS1_25CatArrInputTensorMetadataIS5_T0_XT2_EXT3_EEENS1_16TensorSizeStrideIS8_Lj4EEEiS8_.uses_vcc, 1
	.set _ZN2at6native12_GLOBAL__N_126CatArrayBatchedCopy_contigINS1_10OpaqueTypeILj4EEEjLi3ELi128ELi1EEEvPT_NS1_25CatArrInputTensorMetadataIS5_T0_XT2_EXT3_EEENS1_16TensorSizeStrideIS8_Lj4EEEiS8_.uses_flat_scratch, 0
	.set _ZN2at6native12_GLOBAL__N_126CatArrayBatchedCopy_contigINS1_10OpaqueTypeILj4EEEjLi3ELi128ELi1EEEvPT_NS1_25CatArrInputTensorMetadataIS5_T0_XT2_EXT3_EEENS1_16TensorSizeStrideIS8_Lj4EEEiS8_.has_dyn_sized_stack, 0
	.set _ZN2at6native12_GLOBAL__N_126CatArrayBatchedCopy_contigINS1_10OpaqueTypeILj4EEEjLi3ELi128ELi1EEEvPT_NS1_25CatArrInputTensorMetadataIS5_T0_XT2_EXT3_EEENS1_16TensorSizeStrideIS8_Lj4EEEiS8_.has_recursion, 0
	.set _ZN2at6native12_GLOBAL__N_126CatArrayBatchedCopy_contigINS1_10OpaqueTypeILj4EEEjLi3ELi128ELi1EEEvPT_NS1_25CatArrInputTensorMetadataIS5_T0_XT2_EXT3_EEENS1_16TensorSizeStrideIS8_Lj4EEEiS8_.has_indirect_call, 0
	.section	.AMDGPU.csdata,"",@progbits
; Kernel info:
; codeLenInByte = 572
; TotalNumSgprs: 24
; NumVgprs: 11
; ScratchSize: 0
; MemoryBound: 0
; FloatMode: 240
; IeeeMode: 1
; LDSByteSize: 0 bytes/workgroup (compile time only)
; SGPRBlocks: 0
; VGPRBlocks: 1
; NumSGPRsForWavesPerEU: 24
; NumVGPRsForWavesPerEU: 11
; Occupancy: 16
; WaveLimiterHint : 1
; COMPUTE_PGM_RSRC2:SCRATCH_EN: 0
; COMPUTE_PGM_RSRC2:USER_SGPR: 6
; COMPUTE_PGM_RSRC2:TRAP_HANDLER: 0
; COMPUTE_PGM_RSRC2:TGID_X_EN: 1
; COMPUTE_PGM_RSRC2:TGID_Y_EN: 1
; COMPUTE_PGM_RSRC2:TGID_Z_EN: 0
; COMPUTE_PGM_RSRC2:TIDIG_COMP_CNT: 0
	.section	.text._ZN2at6native12_GLOBAL__N_119CatArrayBatchedCopyINS1_10OpaqueTypeILj4EEEjLi3ELi128ELi1EEEvPT_NS1_25CatArrInputTensorMetadataIS5_T0_XT2_EXT3_EEENS1_16TensorSizeStrideIS8_Lj4EEEiS8_,"axG",@progbits,_ZN2at6native12_GLOBAL__N_119CatArrayBatchedCopyINS1_10OpaqueTypeILj4EEEjLi3ELi128ELi1EEEvPT_NS1_25CatArrInputTensorMetadataIS5_T0_XT2_EXT3_EEENS1_16TensorSizeStrideIS8_Lj4EEEiS8_,comdat
	.globl	_ZN2at6native12_GLOBAL__N_119CatArrayBatchedCopyINS1_10OpaqueTypeILj4EEEjLi3ELi128ELi1EEEvPT_NS1_25CatArrInputTensorMetadataIS5_T0_XT2_EXT3_EEENS1_16TensorSizeStrideIS8_Lj4EEEiS8_ ; -- Begin function _ZN2at6native12_GLOBAL__N_119CatArrayBatchedCopyINS1_10OpaqueTypeILj4EEEjLi3ELi128ELi1EEEvPT_NS1_25CatArrInputTensorMetadataIS5_T0_XT2_EXT3_EEENS1_16TensorSizeStrideIS8_Lj4EEEiS8_
	.p2align	8
	.type	_ZN2at6native12_GLOBAL__N_119CatArrayBatchedCopyINS1_10OpaqueTypeILj4EEEjLi3ELi128ELi1EEEvPT_NS1_25CatArrInputTensorMetadataIS5_T0_XT2_EXT3_EEENS1_16TensorSizeStrideIS8_Lj4EEEiS8_,@function
_ZN2at6native12_GLOBAL__N_119CatArrayBatchedCopyINS1_10OpaqueTypeILj4EEEjLi3ELi128ELi1EEEvPT_NS1_25CatArrInputTensorMetadataIS5_T0_XT2_EXT3_EEENS1_16TensorSizeStrideIS8_Lj4EEEiS8_: ; @_ZN2at6native12_GLOBAL__N_119CatArrayBatchedCopyINS1_10OpaqueTypeILj4EEEjLi3ELi128ELi1EEEvPT_NS1_25CatArrInputTensorMetadataIS5_T0_XT2_EXT3_EEENS1_16TensorSizeStrideIS8_Lj4EEEiS8_
; %bb.0:
	s_mov_b32 s0, s7
	s_load_dword s7, s[4:5], 0xadc
	s_or_b32 s12, s4, 8
	s_mov_b32 s1, 0
	s_add_u32 s2, s4, 0xad0
	s_addc_u32 s3, s5, 0
	s_lshl_b64 s[8:9], s[0:1], 2
	s_waitcnt lgkmcnt(0)
	s_and_b32 s21, s7, 0xffff
	s_add_u32 s10, s12, s8
	s_addc_u32 s11, s5, s9
	v_mad_u64_u32 v[0:1], null, s6, s21, v[0:1]
	s_load_dword s7, s[10:11], 0x800
	s_mov_b32 s6, exec_lo
	s_waitcnt lgkmcnt(0)
	v_cmpx_gt_u32_e64 s7, v0
	s_cbranch_execz .LBB54_5
; %bb.1:
	v_mov_b32_e32 v1, 0x800
	s_add_u32 s14, s12, s0
	s_addc_u32 s15, s5, 0
	s_mov_b32 s13, s5
	global_load_ubyte v1, v1, s[14:15] offset:512
	s_waitcnt vmcnt(0)
	v_and_b32_e32 v1, 1, v1
	v_cmp_eq_u32_e32 vcc_lo, 1, v1
	s_xor_b32 s6, vcc_lo, -1
	s_add_u32 s22, s10, s8
	s_addc_u32 s23, s11, s9
	s_sub_u32 s0, 0, s8
	s_subb_u32 s8, 0, s9
	s_add_u32 s24, s22, s0
	s_addc_u32 s25, s23, s8
	s_clause 0x4
	s_load_dwordx2 s[26:27], s[4:5], 0xac8
	s_load_dword s0, s[24:25], 0x600
	s_load_dwordx2 s[14:15], s[4:5], 0xaac
	s_load_dwordx2 s[18:19], s[4:5], 0xa8c
	s_load_dwordx4 s[8:11], s[4:5], 0xab8
	s_waitcnt lgkmcnt(0)
	s_cmp_eq_u32 s26, 2
	s_cselect_b32 s11, s0, s15
	s_cselect_b32 s16, s0, s19
	s_cmp_eq_u32 s26, 1
	v_cvt_f32_u32_e32 v1, s11
	s_cselect_b32 s17, s0, s14
	s_cselect_b32 s18, s0, s18
	v_cvt_f32_u32_e32 v2, s16
	v_cvt_f32_u32_e32 v3, s17
	v_cvt_f32_u32_e32 v4, s18
	v_rcp_iflag_f32_e32 v1, v1
	s_clause 0x1
	s_load_dwordx4 s[12:15], s[12:13], 0xa90
	s_load_dword s20, s[24:25], 0x400
	s_load_dword s0, s[2:3], 0x0
	v_rcp_iflag_f32_e32 v2, v2
	v_rcp_iflag_f32_e32 v3, v3
	;; [unrolled: 1-line block ×3, first 2 shown]
	s_waitcnt lgkmcnt(0)
	s_sub_i32 s15, 0, s11
	s_sub_i32 s19, 0, s16
	s_sub_i32 s2, 0, s17
	s_sub_i32 s3, 0, s18
	v_mul_f32_e32 v1, 0x4f7ffffe, v1
	v_mul_f32_e32 v2, 0x4f7ffffe, v2
	v_mul_f32_e32 v3, 0x4f7ffffe, v3
	v_mul_f32_e32 v4, 0x4f7ffffe, v4
	v_cvt_u32_f32_e32 v5, v1
	v_cvt_u32_f32_e32 v2, v2
	;; [unrolled: 1-line block ×4, first 2 shown]
	v_mul_lo_u32 v1, s15, v5
	s_mul_i32 s20, s20, s27
	v_mul_lo_u32 v4, s19, v2
	v_mul_lo_u32 v6, s2, v3
	;; [unrolled: 1-line block ×3, first 2 shown]
	s_clause 0x1
	s_load_dwordx2 s[2:3], s[4:5], 0x0
	s_load_dwordx2 s[4:5], s[22:23], 0x0
	s_mul_i32 s21, s0, s21
	v_mul_hi_u32 v9, v5, v1
	v_mov_b32_e32 v1, 0
	v_mul_hi_u32 v10, v2, v4
	v_mul_hi_u32 v6, v3, v6
	;; [unrolled: 1-line block ×3, first 2 shown]
	v_add_nc_u32_e32 v4, v5, v9
	v_add_nc_u32_e32 v5, v2, v10
	;; [unrolled: 1-line block ×4, first 2 shown]
	s_branch .LBB54_3
.LBB54_2:                               ;   in Loop: Header=BB54_3 Depth=1
	v_lshlrev_b64 v[2:3], 2, v[2:3]
	v_mul_hi_u32 v11, v4, v0
	s_waitcnt lgkmcnt(0)
	v_add_co_u32 v2, vcc_lo, s4, v2
	v_add_co_ci_u32_e64 v3, null, s5, v3, vcc_lo
	v_not_b32_e32 v8, v11
	global_load_dword v10, v[2:3], off
	v_mad_u64_u32 v[2:3], null, s15, v11, v[0:1]
	v_mad_u64_u32 v[8:9], null, s11, v8, v[0:1]
	v_add_nc_u32_e32 v3, 1, v11
	v_cmp_le_u32_e32 vcc_lo, s11, v2
	v_cndmask_b32_e32 v3, v11, v3, vcc_lo
	v_cndmask_b32_e32 v2, v2, v8, vcc_lo
	v_add_nc_u32_e32 v8, 1, v3
	v_cmp_le_u32_e32 vcc_lo, s11, v2
	v_cndmask_b32_e32 v8, v3, v8, vcc_lo
	v_mul_hi_u32 v2, v8, v6
	v_mul_lo_u32 v3, v2, s17
	v_add_nc_u32_e32 v9, 1, v2
	v_sub_nc_u32_e32 v3, v8, v3
	v_subrev_nc_u32_e32 v11, s17, v3
	v_cmp_le_u32_e32 vcc_lo, s17, v3
	v_cndmask_b32_e32 v2, v2, v9, vcc_lo
	v_cndmask_b32_e32 v3, v3, v11, vcc_lo
	v_add_nc_u32_e32 v9, 1, v2
	v_cmp_le_u32_e32 vcc_lo, s17, v3
	v_cndmask_b32_e32 v9, v2, v9, vcc_lo
	v_mad_u64_u32 v[2:3], null, s15, v8, v[0:1]
	v_add_nc_u32_e32 v0, s21, v0
	v_mul_lo_u32 v11, v9, s17
	v_mul_lo_u32 v3, v9, s8
	v_cmp_le_u32_e32 vcc_lo, s7, v0
	v_sub_nc_u32_e32 v8, v8, v11
	v_mad_u64_u32 v[2:3], null, v2, s10, v[3:4]
	v_mov_b32_e32 v3, v1
	s_or_b32 s1, vcc_lo, s1
	v_mul_lo_u32 v8, v8, s9
	v_add3_u32 v2, v2, v8, s20
	v_lshlrev_b64 v[2:3], 2, v[2:3]
	v_add_co_u32 v2, s0, s2, v2
	v_add_co_ci_u32_e64 v3, null, s3, v3, s0
	s_waitcnt vmcnt(0)
	global_store_dword v[2:3], v10, off
	s_andn2_b32 exec_lo, exec_lo, s1
	s_cbranch_execz .LBB54_5
.LBB54_3:                               ; =>This Inner Loop Header: Depth=1
	v_mov_b32_e32 v3, v1
	v_mov_b32_e32 v2, v0
	s_andn2_b32 vcc_lo, exec_lo, s6
	s_cbranch_vccnz .LBB54_2
; %bb.4:                                ;   in Loop: Header=BB54_3 Depth=1
	v_mul_hi_u32 v10, v5, v0
	v_not_b32_e32 v8, v10
	v_mad_u64_u32 v[2:3], null, s19, v10, v[0:1]
	v_add_nc_u32_e32 v3, 1, v10
	v_mad_u64_u32 v[8:9], null, s16, v8, v[0:1]
	v_cmp_le_u32_e32 vcc_lo, s16, v2
	v_cndmask_b32_e32 v3, v10, v3, vcc_lo
	v_cndmask_b32_e32 v2, v2, v8, vcc_lo
	v_add_nc_u32_e32 v8, 1, v3
	v_cmp_le_u32_e32 vcc_lo, s16, v2
	v_cndmask_b32_e32 v8, v3, v8, vcc_lo
	v_mul_hi_u32 v2, v8, v7
	v_mul_lo_u32 v3, v2, s18
	v_add_nc_u32_e32 v9, 1, v2
	v_sub_nc_u32_e32 v3, v8, v3
	v_subrev_nc_u32_e32 v10, s18, v3
	v_cmp_le_u32_e32 vcc_lo, s18, v3
	v_cndmask_b32_e32 v2, v2, v9, vcc_lo
	v_cndmask_b32_e32 v3, v3, v10, vcc_lo
	v_add_nc_u32_e32 v9, 1, v2
	v_cmp_le_u32_e32 vcc_lo, s18, v3
	v_cndmask_b32_e32 v9, v2, v9, vcc_lo
	v_mad_u64_u32 v[2:3], null, s19, v8, v[0:1]
	v_mul_lo_u32 v10, v9, s18
	v_mul_lo_u32 v2, v2, s14
	v_sub_nc_u32_e32 v3, v8, v10
	v_mul_lo_u32 v8, v9, s12
	v_mul_lo_u32 v3, v3, s13
	v_add3_u32 v2, v2, v8, v3
	v_mov_b32_e32 v3, v1
	s_branch .LBB54_2
.LBB54_5:
	s_endpgm
	.section	.rodata,"a",@progbits
	.p2align	6, 0x0
	.amdhsa_kernel _ZN2at6native12_GLOBAL__N_119CatArrayBatchedCopyINS1_10OpaqueTypeILj4EEEjLi3ELi128ELi1EEEvPT_NS1_25CatArrInputTensorMetadataIS5_T0_XT2_EXT3_EEENS1_16TensorSizeStrideIS8_Lj4EEEiS8_
		.amdhsa_group_segment_fixed_size 0
		.amdhsa_private_segment_fixed_size 0
		.amdhsa_kernarg_size 3024
		.amdhsa_user_sgpr_count 6
		.amdhsa_user_sgpr_private_segment_buffer 1
		.amdhsa_user_sgpr_dispatch_ptr 0
		.amdhsa_user_sgpr_queue_ptr 0
		.amdhsa_user_sgpr_kernarg_segment_ptr 1
		.amdhsa_user_sgpr_dispatch_id 0
		.amdhsa_user_sgpr_flat_scratch_init 0
		.amdhsa_user_sgpr_private_segment_size 0
		.amdhsa_wavefront_size32 1
		.amdhsa_uses_dynamic_stack 0
		.amdhsa_system_sgpr_private_segment_wavefront_offset 0
		.amdhsa_system_sgpr_workgroup_id_x 1
		.amdhsa_system_sgpr_workgroup_id_y 1
		.amdhsa_system_sgpr_workgroup_id_z 0
		.amdhsa_system_sgpr_workgroup_info 0
		.amdhsa_system_vgpr_workitem_id 0
		.amdhsa_next_free_vgpr 12
		.amdhsa_next_free_sgpr 28
		.amdhsa_reserve_vcc 1
		.amdhsa_reserve_flat_scratch 0
		.amdhsa_float_round_mode_32 0
		.amdhsa_float_round_mode_16_64 0
		.amdhsa_float_denorm_mode_32 3
		.amdhsa_float_denorm_mode_16_64 3
		.amdhsa_dx10_clamp 1
		.amdhsa_ieee_mode 1
		.amdhsa_fp16_overflow 0
		.amdhsa_workgroup_processor_mode 1
		.amdhsa_memory_ordered 1
		.amdhsa_forward_progress 1
		.amdhsa_shared_vgpr_count 0
		.amdhsa_exception_fp_ieee_invalid_op 0
		.amdhsa_exception_fp_denorm_src 0
		.amdhsa_exception_fp_ieee_div_zero 0
		.amdhsa_exception_fp_ieee_overflow 0
		.amdhsa_exception_fp_ieee_underflow 0
		.amdhsa_exception_fp_ieee_inexact 0
		.amdhsa_exception_int_div_zero 0
	.end_amdhsa_kernel
	.section	.text._ZN2at6native12_GLOBAL__N_119CatArrayBatchedCopyINS1_10OpaqueTypeILj4EEEjLi3ELi128ELi1EEEvPT_NS1_25CatArrInputTensorMetadataIS5_T0_XT2_EXT3_EEENS1_16TensorSizeStrideIS8_Lj4EEEiS8_,"axG",@progbits,_ZN2at6native12_GLOBAL__N_119CatArrayBatchedCopyINS1_10OpaqueTypeILj4EEEjLi3ELi128ELi1EEEvPT_NS1_25CatArrInputTensorMetadataIS5_T0_XT2_EXT3_EEENS1_16TensorSizeStrideIS8_Lj4EEEiS8_,comdat
.Lfunc_end54:
	.size	_ZN2at6native12_GLOBAL__N_119CatArrayBatchedCopyINS1_10OpaqueTypeILj4EEEjLi3ELi128ELi1EEEvPT_NS1_25CatArrInputTensorMetadataIS5_T0_XT2_EXT3_EEENS1_16TensorSizeStrideIS8_Lj4EEEiS8_, .Lfunc_end54-_ZN2at6native12_GLOBAL__N_119CatArrayBatchedCopyINS1_10OpaqueTypeILj4EEEjLi3ELi128ELi1EEEvPT_NS1_25CatArrInputTensorMetadataIS5_T0_XT2_EXT3_EEENS1_16TensorSizeStrideIS8_Lj4EEEiS8_
                                        ; -- End function
	.set _ZN2at6native12_GLOBAL__N_119CatArrayBatchedCopyINS1_10OpaqueTypeILj4EEEjLi3ELi128ELi1EEEvPT_NS1_25CatArrInputTensorMetadataIS5_T0_XT2_EXT3_EEENS1_16TensorSizeStrideIS8_Lj4EEEiS8_.num_vgpr, 12
	.set _ZN2at6native12_GLOBAL__N_119CatArrayBatchedCopyINS1_10OpaqueTypeILj4EEEjLi3ELi128ELi1EEEvPT_NS1_25CatArrInputTensorMetadataIS5_T0_XT2_EXT3_EEENS1_16TensorSizeStrideIS8_Lj4EEEiS8_.num_agpr, 0
	.set _ZN2at6native12_GLOBAL__N_119CatArrayBatchedCopyINS1_10OpaqueTypeILj4EEEjLi3ELi128ELi1EEEvPT_NS1_25CatArrInputTensorMetadataIS5_T0_XT2_EXT3_EEENS1_16TensorSizeStrideIS8_Lj4EEEiS8_.numbered_sgpr, 28
	.set _ZN2at6native12_GLOBAL__N_119CatArrayBatchedCopyINS1_10OpaqueTypeILj4EEEjLi3ELi128ELi1EEEvPT_NS1_25CatArrInputTensorMetadataIS5_T0_XT2_EXT3_EEENS1_16TensorSizeStrideIS8_Lj4EEEiS8_.num_named_barrier, 0
	.set _ZN2at6native12_GLOBAL__N_119CatArrayBatchedCopyINS1_10OpaqueTypeILj4EEEjLi3ELi128ELi1EEEvPT_NS1_25CatArrInputTensorMetadataIS5_T0_XT2_EXT3_EEENS1_16TensorSizeStrideIS8_Lj4EEEiS8_.private_seg_size, 0
	.set _ZN2at6native12_GLOBAL__N_119CatArrayBatchedCopyINS1_10OpaqueTypeILj4EEEjLi3ELi128ELi1EEEvPT_NS1_25CatArrInputTensorMetadataIS5_T0_XT2_EXT3_EEENS1_16TensorSizeStrideIS8_Lj4EEEiS8_.uses_vcc, 1
	.set _ZN2at6native12_GLOBAL__N_119CatArrayBatchedCopyINS1_10OpaqueTypeILj4EEEjLi3ELi128ELi1EEEvPT_NS1_25CatArrInputTensorMetadataIS5_T0_XT2_EXT3_EEENS1_16TensorSizeStrideIS8_Lj4EEEiS8_.uses_flat_scratch, 0
	.set _ZN2at6native12_GLOBAL__N_119CatArrayBatchedCopyINS1_10OpaqueTypeILj4EEEjLi3ELi128ELi1EEEvPT_NS1_25CatArrInputTensorMetadataIS5_T0_XT2_EXT3_EEENS1_16TensorSizeStrideIS8_Lj4EEEiS8_.has_dyn_sized_stack, 0
	.set _ZN2at6native12_GLOBAL__N_119CatArrayBatchedCopyINS1_10OpaqueTypeILj4EEEjLi3ELi128ELi1EEEvPT_NS1_25CatArrInputTensorMetadataIS5_T0_XT2_EXT3_EEENS1_16TensorSizeStrideIS8_Lj4EEEiS8_.has_recursion, 0
	.set _ZN2at6native12_GLOBAL__N_119CatArrayBatchedCopyINS1_10OpaqueTypeILj4EEEjLi3ELi128ELi1EEEvPT_NS1_25CatArrInputTensorMetadataIS5_T0_XT2_EXT3_EEENS1_16TensorSizeStrideIS8_Lj4EEEiS8_.has_indirect_call, 0
	.section	.AMDGPU.csdata,"",@progbits
; Kernel info:
; codeLenInByte = 920
; TotalNumSgprs: 30
; NumVgprs: 12
; ScratchSize: 0
; MemoryBound: 0
; FloatMode: 240
; IeeeMode: 1
; LDSByteSize: 0 bytes/workgroup (compile time only)
; SGPRBlocks: 0
; VGPRBlocks: 1
; NumSGPRsForWavesPerEU: 30
; NumVGPRsForWavesPerEU: 12
; Occupancy: 16
; WaveLimiterHint : 1
; COMPUTE_PGM_RSRC2:SCRATCH_EN: 0
; COMPUTE_PGM_RSRC2:USER_SGPR: 6
; COMPUTE_PGM_RSRC2:TRAP_HANDLER: 0
; COMPUTE_PGM_RSRC2:TGID_X_EN: 1
; COMPUTE_PGM_RSRC2:TGID_Y_EN: 1
; COMPUTE_PGM_RSRC2:TGID_Z_EN: 0
; COMPUTE_PGM_RSRC2:TIDIG_COMP_CNT: 0
	.section	.text._ZN2at6native12_GLOBAL__N_130CatArrayBatchedCopy_vectorizedINS1_10OpaqueTypeILj4EEEjLi4ELi128ELi1ELi16ELi4EEEvPcNS1_25CatArrInputTensorMetadataIT_T0_XT2_EXT3_EEENS1_16TensorSizeStrideIS8_Lj4EEEiS8_,"axG",@progbits,_ZN2at6native12_GLOBAL__N_130CatArrayBatchedCopy_vectorizedINS1_10OpaqueTypeILj4EEEjLi4ELi128ELi1ELi16ELi4EEEvPcNS1_25CatArrInputTensorMetadataIT_T0_XT2_EXT3_EEENS1_16TensorSizeStrideIS8_Lj4EEEiS8_,comdat
	.globl	_ZN2at6native12_GLOBAL__N_130CatArrayBatchedCopy_vectorizedINS1_10OpaqueTypeILj4EEEjLi4ELi128ELi1ELi16ELi4EEEvPcNS1_25CatArrInputTensorMetadataIT_T0_XT2_EXT3_EEENS1_16TensorSizeStrideIS8_Lj4EEEiS8_ ; -- Begin function _ZN2at6native12_GLOBAL__N_130CatArrayBatchedCopy_vectorizedINS1_10OpaqueTypeILj4EEEjLi4ELi128ELi1ELi16ELi4EEEvPcNS1_25CatArrInputTensorMetadataIT_T0_XT2_EXT3_EEENS1_16TensorSizeStrideIS8_Lj4EEEiS8_
	.p2align	8
	.type	_ZN2at6native12_GLOBAL__N_130CatArrayBatchedCopy_vectorizedINS1_10OpaqueTypeILj4EEEjLi4ELi128ELi1ELi16ELi4EEEvPcNS1_25CatArrInputTensorMetadataIT_T0_XT2_EXT3_EEENS1_16TensorSizeStrideIS8_Lj4EEEiS8_,@function
_ZN2at6native12_GLOBAL__N_130CatArrayBatchedCopy_vectorizedINS1_10OpaqueTypeILj4EEEjLi4ELi128ELi1ELi16ELi4EEEvPcNS1_25CatArrInputTensorMetadataIT_T0_XT2_EXT3_EEENS1_16TensorSizeStrideIS8_Lj4EEEiS8_: ; @_ZN2at6native12_GLOBAL__N_130CatArrayBatchedCopy_vectorizedINS1_10OpaqueTypeILj4EEEjLi4ELi128ELi1ELi16ELi4EEEvPcNS1_25CatArrInputTensorMetadataIT_T0_XT2_EXT3_EEENS1_16TensorSizeStrideIS8_Lj4EEEiS8_
; %bb.0:
	s_mov_b32 s0, s7
	s_load_dword s7, s[4:5], 0xadc
	s_mov_b32 s1, 0
	s_add_u32 s2, s4, 0xad0
	s_addc_u32 s3, s5, 0
	s_lshl_b64 s[8:9], s[0:1], 2
	s_waitcnt lgkmcnt(0)
	s_and_b32 s15, s7, 0xffff
	s_add_u32 s10, s4, s8
	s_addc_u32 s11, s5, s9
	v_mad_u64_u32 v[0:1], null, s6, s15, v[0:1]
	s_load_dword s7, s[10:11], 0x808
	s_add_u32 s0, s10, 8
	s_addc_u32 s6, s11, 0
	s_waitcnt lgkmcnt(0)
	s_lshr_b32 s10, s7, 2
	s_mov_b32 s7, exec_lo
	v_cmpx_gt_u32_e64 s10, v0
	s_cbranch_execz .LBB55_3
; %bb.1:
	s_add_u32 s20, s0, s8
	s_addc_u32 s21, s6, s9
	s_sub_u32 s0, 0, s8
	s_subb_u32 s7, 0, s9
	s_add_u32 s6, s20, s0
	s_addc_u32 s7, s21, s7
	s_clause 0x3
	s_load_dwordx2 s[12:13], s[4:5], 0xac8
	s_load_dword s0, s[6:7], 0x400
	s_load_dword s6, s[6:7], 0x600
	s_load_dwordx4 s[16:19], s[4:5], 0xaac
	s_waitcnt lgkmcnt(0)
	s_mul_i32 s0, s0, s13
	s_mul_i32 s6, s6, s13
	s_lshr_b32 s0, s0, 2
	s_lshr_b32 s6, s6, 2
	s_lshl_b64 s[22:23], s[0:1], 4
	s_cmp_eq_u32 s12, 3
	s_load_dword s0, s[2:3], 0x0
	s_cselect_b32 s8, s6, s18
	s_cmp_eq_u32 s12, 2
	v_cvt_f32_u32_e32 v1, s8
	s_cselect_b32 s9, s6, s17
	s_cmp_eq_u32 s12, 1
	v_cvt_f32_u32_e32 v2, s9
	s_cselect_b32 s11, s6, s16
	s_load_dwordx2 s[18:19], s[4:5], 0x0
	v_cvt_f32_u32_e32 v3, s11
	v_rcp_iflag_f32_e32 v1, v1
	v_rcp_iflag_f32_e32 v2, v2
	s_load_dwordx4 s[4:7], s[4:5], 0xab8
	v_rcp_iflag_f32_e32 v3, v3
	v_mul_f32_e32 v1, 0x4f7ffffe, v1
	v_mul_f32_e32 v2, 0x4f7ffffe, v2
	s_waitcnt lgkmcnt(0)
	s_mul_i32 s15, s0, s15
	v_mul_f32_e32 v3, 0x4f7ffffe, v3
	v_cvt_u32_f32_e32 v1, v1
	v_cvt_u32_f32_e32 v4, v2
	s_add_u32 s12, s18, s22
	v_cvt_u32_f32_e32 v5, v3
	s_addc_u32 s13, s19, s23
	s_sub_i32 s14, 0, s8
	s_sub_i32 s2, 0, s9
	;; [unrolled: 1-line block ×3, first 2 shown]
	v_mul_lo_u32 v2, s14, v1
	v_mul_lo_u32 v3, s2, v4
	;; [unrolled: 1-line block ×3, first 2 shown]
	s_load_dwordx2 s[2:3], s[20:21], 0x0
	v_mul_hi_u32 v2, v1, v2
	v_mul_hi_u32 v3, v4, v3
	;; [unrolled: 1-line block ×3, first 2 shown]
	v_add_nc_u32_e32 v2, v1, v2
	v_mov_b32_e32 v1, 0
	v_add_nc_u32_e32 v3, v4, v3
	v_add_nc_u32_e32 v4, v5, v6
.LBB55_2:                               ; =>This Inner Loop Header: Depth=1
	v_lshlrev_b64 v[5:6], 4, v[0:1]
	v_mul_hi_u32 v11, v2, v0
	s_waitcnt lgkmcnt(0)
	v_add_co_u32 v5, vcc_lo, s2, v5
	v_add_co_ci_u32_e64 v6, null, s3, v6, vcc_lo
	v_mul_lo_u32 v12, s8, v11
	v_not_b32_e32 v9, v11
	v_add_nc_u32_e32 v13, 1, v11
	global_load_dwordx4 v[5:8], v[5:6], off
	v_mad_u64_u32 v[9:10], null, s8, v9, v[0:1]
	v_sub_nc_u32_e32 v10, v0, v12
	v_cmp_le_u32_e32 vcc_lo, s8, v10
	v_cndmask_b32_e32 v11, v11, v13, vcc_lo
	v_cndmask_b32_e32 v9, v10, v9, vcc_lo
	v_add_nc_u32_e32 v10, 1, v11
	v_cmp_le_u32_e32 vcc_lo, s8, v9
	v_cndmask_b32_e32 v11, v11, v10, vcc_lo
	v_mul_hi_u32 v12, v11, v3
	v_mad_u64_u32 v[9:10], null, s14, v11, v[0:1]
	v_add_nc_u32_e32 v0, s15, v0
	v_mul_lo_u32 v10, v12, s9
	v_add_nc_u32_e32 v13, 1, v12
	v_mul_lo_u32 v9, v9, s7
	v_sub_nc_u32_e32 v10, v11, v10
	v_subrev_nc_u32_e32 v14, s9, v10
	v_cmp_le_u32_e32 vcc_lo, s9, v10
	v_cndmask_b32_e32 v12, v12, v13, vcc_lo
	v_cndmask_b32_e32 v10, v10, v14, vcc_lo
	v_add_nc_u32_e32 v13, 1, v12
	v_cmp_le_u32_e32 vcc_lo, s9, v10
	v_cndmask_b32_e32 v10, v12, v13, vcc_lo
	v_mul_hi_u32 v12, v10, v4
	v_mul_lo_u32 v13, v12, s11
	v_add_nc_u32_e32 v14, 1, v12
	v_sub_nc_u32_e32 v13, v10, v13
	v_subrev_nc_u32_e32 v15, s11, v13
	v_cmp_le_u32_e32 vcc_lo, s11, v13
	v_cndmask_b32_e32 v12, v12, v14, vcc_lo
	v_cndmask_b32_e32 v13, v13, v15, vcc_lo
	v_add_nc_u32_e32 v14, 1, v12
	v_cmp_le_u32_e32 vcc_lo, s11, v13
	v_mul_lo_u32 v13, v10, s9
	v_cndmask_b32_e32 v12, v12, v14, vcc_lo
	v_cmp_le_u32_e32 vcc_lo, s10, v0
	v_sub_nc_u32_e32 v11, v11, v13
	v_mul_lo_u32 v14, v12, s11
	s_or_b32 s1, vcc_lo, s1
	v_mul_lo_u32 v11, v11, s6
	v_sub_nc_u32_e32 v13, v10, v14
	v_mad_u64_u32 v[9:10], null, v12, s4, v[9:10]
	v_mov_b32_e32 v10, v1
	v_mul_lo_u32 v12, v13, s5
	v_add3_u32 v9, v9, v11, v12
	v_lshlrev_b64 v[9:10], 4, v[9:10]
	v_add_co_u32 v9, s0, s12, v9
	v_add_co_ci_u32_e64 v10, null, s13, v10, s0
	s_waitcnt vmcnt(0)
	global_store_dwordx4 v[9:10], v[5:8], off
	s_andn2_b32 exec_lo, exec_lo, s1
	s_cbranch_execnz .LBB55_2
.LBB55_3:
	s_endpgm
	.section	.rodata,"a",@progbits
	.p2align	6, 0x0
	.amdhsa_kernel _ZN2at6native12_GLOBAL__N_130CatArrayBatchedCopy_vectorizedINS1_10OpaqueTypeILj4EEEjLi4ELi128ELi1ELi16ELi4EEEvPcNS1_25CatArrInputTensorMetadataIT_T0_XT2_EXT3_EEENS1_16TensorSizeStrideIS8_Lj4EEEiS8_
		.amdhsa_group_segment_fixed_size 0
		.amdhsa_private_segment_fixed_size 0
		.amdhsa_kernarg_size 3024
		.amdhsa_user_sgpr_count 6
		.amdhsa_user_sgpr_private_segment_buffer 1
		.amdhsa_user_sgpr_dispatch_ptr 0
		.amdhsa_user_sgpr_queue_ptr 0
		.amdhsa_user_sgpr_kernarg_segment_ptr 1
		.amdhsa_user_sgpr_dispatch_id 0
		.amdhsa_user_sgpr_flat_scratch_init 0
		.amdhsa_user_sgpr_private_segment_size 0
		.amdhsa_wavefront_size32 1
		.amdhsa_uses_dynamic_stack 0
		.amdhsa_system_sgpr_private_segment_wavefront_offset 0
		.amdhsa_system_sgpr_workgroup_id_x 1
		.amdhsa_system_sgpr_workgroup_id_y 1
		.amdhsa_system_sgpr_workgroup_id_z 0
		.amdhsa_system_sgpr_workgroup_info 0
		.amdhsa_system_vgpr_workitem_id 0
		.amdhsa_next_free_vgpr 16
		.amdhsa_next_free_sgpr 24
		.amdhsa_reserve_vcc 1
		.amdhsa_reserve_flat_scratch 0
		.amdhsa_float_round_mode_32 0
		.amdhsa_float_round_mode_16_64 0
		.amdhsa_float_denorm_mode_32 3
		.amdhsa_float_denorm_mode_16_64 3
		.amdhsa_dx10_clamp 1
		.amdhsa_ieee_mode 1
		.amdhsa_fp16_overflow 0
		.amdhsa_workgroup_processor_mode 1
		.amdhsa_memory_ordered 1
		.amdhsa_forward_progress 1
		.amdhsa_shared_vgpr_count 0
		.amdhsa_exception_fp_ieee_invalid_op 0
		.amdhsa_exception_fp_denorm_src 0
		.amdhsa_exception_fp_ieee_div_zero 0
		.amdhsa_exception_fp_ieee_overflow 0
		.amdhsa_exception_fp_ieee_underflow 0
		.amdhsa_exception_fp_ieee_inexact 0
		.amdhsa_exception_int_div_zero 0
	.end_amdhsa_kernel
	.section	.text._ZN2at6native12_GLOBAL__N_130CatArrayBatchedCopy_vectorizedINS1_10OpaqueTypeILj4EEEjLi4ELi128ELi1ELi16ELi4EEEvPcNS1_25CatArrInputTensorMetadataIT_T0_XT2_EXT3_EEENS1_16TensorSizeStrideIS8_Lj4EEEiS8_,"axG",@progbits,_ZN2at6native12_GLOBAL__N_130CatArrayBatchedCopy_vectorizedINS1_10OpaqueTypeILj4EEEjLi4ELi128ELi1ELi16ELi4EEEvPcNS1_25CatArrInputTensorMetadataIT_T0_XT2_EXT3_EEENS1_16TensorSizeStrideIS8_Lj4EEEiS8_,comdat
.Lfunc_end55:
	.size	_ZN2at6native12_GLOBAL__N_130CatArrayBatchedCopy_vectorizedINS1_10OpaqueTypeILj4EEEjLi4ELi128ELi1ELi16ELi4EEEvPcNS1_25CatArrInputTensorMetadataIT_T0_XT2_EXT3_EEENS1_16TensorSizeStrideIS8_Lj4EEEiS8_, .Lfunc_end55-_ZN2at6native12_GLOBAL__N_130CatArrayBatchedCopy_vectorizedINS1_10OpaqueTypeILj4EEEjLi4ELi128ELi1ELi16ELi4EEEvPcNS1_25CatArrInputTensorMetadataIT_T0_XT2_EXT3_EEENS1_16TensorSizeStrideIS8_Lj4EEEiS8_
                                        ; -- End function
	.set _ZN2at6native12_GLOBAL__N_130CatArrayBatchedCopy_vectorizedINS1_10OpaqueTypeILj4EEEjLi4ELi128ELi1ELi16ELi4EEEvPcNS1_25CatArrInputTensorMetadataIT_T0_XT2_EXT3_EEENS1_16TensorSizeStrideIS8_Lj4EEEiS8_.num_vgpr, 16
	.set _ZN2at6native12_GLOBAL__N_130CatArrayBatchedCopy_vectorizedINS1_10OpaqueTypeILj4EEEjLi4ELi128ELi1ELi16ELi4EEEvPcNS1_25CatArrInputTensorMetadataIT_T0_XT2_EXT3_EEENS1_16TensorSizeStrideIS8_Lj4EEEiS8_.num_agpr, 0
	.set _ZN2at6native12_GLOBAL__N_130CatArrayBatchedCopy_vectorizedINS1_10OpaqueTypeILj4EEEjLi4ELi128ELi1ELi16ELi4EEEvPcNS1_25CatArrInputTensorMetadataIT_T0_XT2_EXT3_EEENS1_16TensorSizeStrideIS8_Lj4EEEiS8_.numbered_sgpr, 24
	.set _ZN2at6native12_GLOBAL__N_130CatArrayBatchedCopy_vectorizedINS1_10OpaqueTypeILj4EEEjLi4ELi128ELi1ELi16ELi4EEEvPcNS1_25CatArrInputTensorMetadataIT_T0_XT2_EXT3_EEENS1_16TensorSizeStrideIS8_Lj4EEEiS8_.num_named_barrier, 0
	.set _ZN2at6native12_GLOBAL__N_130CatArrayBatchedCopy_vectorizedINS1_10OpaqueTypeILj4EEEjLi4ELi128ELi1ELi16ELi4EEEvPcNS1_25CatArrInputTensorMetadataIT_T0_XT2_EXT3_EEENS1_16TensorSizeStrideIS8_Lj4EEEiS8_.private_seg_size, 0
	.set _ZN2at6native12_GLOBAL__N_130CatArrayBatchedCopy_vectorizedINS1_10OpaqueTypeILj4EEEjLi4ELi128ELi1ELi16ELi4EEEvPcNS1_25CatArrInputTensorMetadataIT_T0_XT2_EXT3_EEENS1_16TensorSizeStrideIS8_Lj4EEEiS8_.uses_vcc, 1
	.set _ZN2at6native12_GLOBAL__N_130CatArrayBatchedCopy_vectorizedINS1_10OpaqueTypeILj4EEEjLi4ELi128ELi1ELi16ELi4EEEvPcNS1_25CatArrInputTensorMetadataIT_T0_XT2_EXT3_EEENS1_16TensorSizeStrideIS8_Lj4EEEiS8_.uses_flat_scratch, 0
	.set _ZN2at6native12_GLOBAL__N_130CatArrayBatchedCopy_vectorizedINS1_10OpaqueTypeILj4EEEjLi4ELi128ELi1ELi16ELi4EEEvPcNS1_25CatArrInputTensorMetadataIT_T0_XT2_EXT3_EEENS1_16TensorSizeStrideIS8_Lj4EEEiS8_.has_dyn_sized_stack, 0
	.set _ZN2at6native12_GLOBAL__N_130CatArrayBatchedCopy_vectorizedINS1_10OpaqueTypeILj4EEEjLi4ELi128ELi1ELi16ELi4EEEvPcNS1_25CatArrInputTensorMetadataIT_T0_XT2_EXT3_EEENS1_16TensorSizeStrideIS8_Lj4EEEiS8_.has_recursion, 0
	.set _ZN2at6native12_GLOBAL__N_130CatArrayBatchedCopy_vectorizedINS1_10OpaqueTypeILj4EEEjLi4ELi128ELi1ELi16ELi4EEEvPcNS1_25CatArrInputTensorMetadataIT_T0_XT2_EXT3_EEENS1_16TensorSizeStrideIS8_Lj4EEEiS8_.has_indirect_call, 0
	.section	.AMDGPU.csdata,"",@progbits
; Kernel info:
; codeLenInByte = 728
; TotalNumSgprs: 26
; NumVgprs: 16
; ScratchSize: 0
; MemoryBound: 0
; FloatMode: 240
; IeeeMode: 1
; LDSByteSize: 0 bytes/workgroup (compile time only)
; SGPRBlocks: 0
; VGPRBlocks: 1
; NumSGPRsForWavesPerEU: 26
; NumVGPRsForWavesPerEU: 16
; Occupancy: 16
; WaveLimiterHint : 1
; COMPUTE_PGM_RSRC2:SCRATCH_EN: 0
; COMPUTE_PGM_RSRC2:USER_SGPR: 6
; COMPUTE_PGM_RSRC2:TRAP_HANDLER: 0
; COMPUTE_PGM_RSRC2:TGID_X_EN: 1
; COMPUTE_PGM_RSRC2:TGID_Y_EN: 1
; COMPUTE_PGM_RSRC2:TGID_Z_EN: 0
; COMPUTE_PGM_RSRC2:TIDIG_COMP_CNT: 0
	.section	.text._ZN2at6native12_GLOBAL__N_135CatArrayBatchedCopy_alignedK_contigINS1_10OpaqueTypeILj4EEEjLi4ELi128ELi1ELi16EEEvPT_NS1_25CatArrInputTensorMetadataIS5_T0_XT2_EXT3_EEENS1_16TensorSizeStrideIS8_Lj4EEEiS8_,"axG",@progbits,_ZN2at6native12_GLOBAL__N_135CatArrayBatchedCopy_alignedK_contigINS1_10OpaqueTypeILj4EEEjLi4ELi128ELi1ELi16EEEvPT_NS1_25CatArrInputTensorMetadataIS5_T0_XT2_EXT3_EEENS1_16TensorSizeStrideIS8_Lj4EEEiS8_,comdat
	.globl	_ZN2at6native12_GLOBAL__N_135CatArrayBatchedCopy_alignedK_contigINS1_10OpaqueTypeILj4EEEjLi4ELi128ELi1ELi16EEEvPT_NS1_25CatArrInputTensorMetadataIS5_T0_XT2_EXT3_EEENS1_16TensorSizeStrideIS8_Lj4EEEiS8_ ; -- Begin function _ZN2at6native12_GLOBAL__N_135CatArrayBatchedCopy_alignedK_contigINS1_10OpaqueTypeILj4EEEjLi4ELi128ELi1ELi16EEEvPT_NS1_25CatArrInputTensorMetadataIS5_T0_XT2_EXT3_EEENS1_16TensorSizeStrideIS8_Lj4EEEiS8_
	.p2align	8
	.type	_ZN2at6native12_GLOBAL__N_135CatArrayBatchedCopy_alignedK_contigINS1_10OpaqueTypeILj4EEEjLi4ELi128ELi1ELi16EEEvPT_NS1_25CatArrInputTensorMetadataIS5_T0_XT2_EXT3_EEENS1_16TensorSizeStrideIS8_Lj4EEEiS8_,@function
_ZN2at6native12_GLOBAL__N_135CatArrayBatchedCopy_alignedK_contigINS1_10OpaqueTypeILj4EEEjLi4ELi128ELi1ELi16EEEvPT_NS1_25CatArrInputTensorMetadataIS5_T0_XT2_EXT3_EEENS1_16TensorSizeStrideIS8_Lj4EEEiS8_: ; @_ZN2at6native12_GLOBAL__N_135CatArrayBatchedCopy_alignedK_contigINS1_10OpaqueTypeILj4EEEjLi4ELi128ELi1ELi16EEEvPT_NS1_25CatArrInputTensorMetadataIS5_T0_XT2_EXT3_EEENS1_16TensorSizeStrideIS8_Lj4EEEiS8_
; %bb.0:
	s_mov_b32 s2, s7
	s_load_dword s7, s[4:5], 0xadc
	s_mov_b32 s3, 0
	s_add_u32 s0, s4, 0xad0
	s_addc_u32 s1, s5, 0
	s_lshl_b64 s[2:3], s[2:3], 2
	s_waitcnt lgkmcnt(0)
	s_and_b32 s20, s7, 0xffff
	s_add_u32 s8, s4, s2
	s_addc_u32 s9, s5, s3
	s_mul_i32 s6, s6, s20
	s_load_dword s16, s[8:9], 0x808
	v_add_lshl_u32 v0, s6, v0, 2
	s_add_u32 s17, s8, 8
	s_addc_u32 s18, s9, 0
	s_mov_b32 s6, exec_lo
	s_waitcnt lgkmcnt(0)
	v_cmpx_gt_u32_e64 s16, v0
	s_cbranch_execz .LBB56_8
; %bb.1:
	s_add_u32 s22, s17, s2
	s_addc_u32 s23, s18, s3
	s_sub_u32 s2, 0, s2
	s_subb_u32 s3, 0, s3
	s_add_u32 s2, s22, s2
	s_addc_u32 s3, s23, s3
	s_clause 0x5
	s_load_dwordx2 s[6:7], s[4:5], 0x0
	s_load_dwordx8 s[8:15], s[4:5], 0xaac
	s_load_dword s17, s[4:5], 0xacc
	s_load_dword s19, s[2:3], 0x400
	s_load_dwordx2 s[4:5], s[22:23], 0x0
	s_load_dword s18, s[2:3], 0x600
	v_add_nc_u32_e32 v1, 4, v0
	s_waitcnt lgkmcnt(0)
	s_mul_i32 s17, s19, s17
	s_mov_b32 s19, exec_lo
	v_cmpx_ge_u32_e64 s16, v1
	s_cbranch_execz .LBB56_5
; %bb.2:
	s_load_dword s0, s[0:1], 0x0
	s_mov_b32 s25, 0
	s_waitcnt lgkmcnt(0)
	s_mul_i32 s0, s0, s20
	s_lshl_b32 s20, s0, 2
	s_cmp_eq_u32 s15, 3
	s_cselect_b32 s21, s18, s10
	s_cmp_eq_u32 s15, 2
	v_cvt_f32_u32_e32 v1, s21
	s_cselect_b32 s22, s18, s9
	s_cmp_eq_u32 s15, 1
	v_cvt_f32_u32_e32 v2, s22
	s_cselect_b32 s23, s18, s8
	v_rcp_iflag_f32_e32 v1, v1
	v_cvt_f32_u32_e32 v3, s23
	s_sub_i32 s24, 0, s21
	v_rcp_iflag_f32_e32 v2, v2
	s_sub_i32 s0, 0, s22
	s_sub_i32 s1, 0, s23
	v_rcp_iflag_f32_e32 v3, v3
	v_mul_f32_e32 v1, 0x4f7ffffe, v1
	v_mul_f32_e32 v2, 0x4f7ffffe, v2
	v_cvt_u32_f32_e32 v4, v1
	v_mul_f32_e32 v3, 0x4f7ffffe, v3
	v_cvt_u32_f32_e32 v5, v2
	v_mul_lo_u32 v1, s24, v4
	v_cvt_u32_f32_e32 v6, v3
	v_mul_lo_u32 v2, s0, v5
	v_mul_lo_u32 v3, s1, v6
	v_mul_hi_u32 v7, v4, v1
	v_mov_b32_e32 v1, 0
	v_mul_hi_u32 v8, v5, v2
	v_add_nc_u32_e32 v2, 3, v0
	v_mul_hi_u32 v9, v6, v3
	v_add_nc_u32_e32 v3, 2, v0
	v_add_nc_u32_e32 v4, v4, v7
	;; [unrolled: 1-line block ×5, first 2 shown]
.LBB56_3:                               ; =>This Inner Loop Header: Depth=1
	v_lshlrev_b64 v[8:9], 2, v[0:1]
	v_mul_hi_u32 v16, v4, v0
	v_mul_hi_u32 v24, v4, v7
	;; [unrolled: 1-line block ×4, first 2 shown]
	v_add_nc_u32_e32 v12, 1, v0
	v_add_co_u32 v8, vcc_lo, s4, v8
	v_add_co_ci_u32_e64 v9, null, s5, v9, vcc_lo
	v_add_nc_u32_e32 v13, 2, v0
	v_add_nc_u32_e32 v14, 3, v0
	v_mov_b32_e32 v15, v1
	global_load_dwordx4 v[8:11], v[8:9], off
	v_not_b32_e32 v27, v16
	v_mad_u64_u32 v[22:23], null, s24, v16, v[0:1]
	v_not_b32_e32 v28, v24
	v_mad_u64_u32 v[23:24], null, s24, v24, v[12:13]
	v_mad_u64_u32 v[24:25], null, s24, v20, v[13:14]
	;; [unrolled: 1-line block ×3, first 2 shown]
	v_mul_hi_u32 v31, v12, v4
	v_mad_u64_u32 v[26:27], null, s21, v27, v[0:1]
	v_add_nc_u32_e32 v34, 1, v16
	v_cmp_le_u32_e32 vcc_lo, s21, v22
	v_mul_hi_u32 v32, v13, v4
	v_not_b32_e32 v29, v20
	v_mul_hi_u32 v33, v14, v4
	v_not_b32_e32 v30, v18
	v_mad_u64_u32 v[27:28], null, s21, v28, v[12:13]
	v_add_nc_u32_e32 v18, 1, v31
	v_cndmask_b32_e32 v16, v16, v34, vcc_lo
	v_cmp_le_u32_e64 s2, s21, v23
	v_cndmask_b32_e32 v22, v22, v26, vcc_lo
	v_mad_u64_u32 v[28:29], null, s21, v29, v[13:14]
	v_mad_u64_u32 v[29:30], null, s21, v30, v[14:15]
	v_add_nc_u32_e32 v12, 1, v32
	v_cmp_le_u32_e64 s0, s21, v24
	v_add_nc_u32_e32 v20, 1, v33
	v_cmp_le_u32_e64 s1, s21, v25
	v_cndmask_b32_e64 v18, v31, v18, s2
	v_add_nc_u32_e32 v26, 1, v16
	v_cndmask_b32_e64 v23, v23, v27, s2
	v_cmp_le_u32_e32 vcc_lo, s21, v22
	v_cndmask_b32_e64 v12, v32, v12, s0
	v_cndmask_b32_e64 v24, v24, v28, s0
	;; [unrolled: 1-line block ×4, first 2 shown]
	v_add_nc_u32_e32 v27, 1, v18
	v_cndmask_b32_e32 v16, v16, v26, vcc_lo
	v_cmp_le_u32_e64 s1, s21, v23
	v_add_nc_u32_e32 v28, 1, v12
	v_cmp_le_u32_e32 vcc_lo, s21, v24
	v_add_nc_u32_e32 v29, 1, v20
	v_cmp_le_u32_e64 s0, s21, v25
	v_cndmask_b32_e64 v18, v18, v27, s1
	v_mul_hi_u32 v26, v16, v5
	v_cndmask_b32_e32 v25, v12, v28, vcc_lo
	v_mad_u64_u32 v[22:23], null, s24, v16, v[0:1]
	v_cndmask_b32_e64 v20, v20, v29, s0
	v_mul_hi_u32 v27, v18, v5
	v_mad_u64_u32 v[23:24], null, s24, v18, v[0:1]
	v_add_nc_u32_e32 v0, s20, v0
	v_mul_lo_u32 v29, v26, s22
	v_mad_u64_u32 v[12:13], null, s24, v25, v[13:14]
	v_mul_hi_u32 v24, v25, v5
	v_mad_u64_u32 v[13:14], null, s24, v20, v[14:15]
	v_add_nc_u32_e32 v14, 4, v0
	v_mul_lo_u32 v32, v27, s22
	v_mul_lo_u32 v31, v22, s14
	v_mad_u64_u32 v[22:23], null, s14, v23, s[14:15]
	v_cmp_lt_u32_e32 vcc_lo, s16, v14
	v_sub_nc_u32_e32 v14, v16, v29
	v_mul_lo_u32 v23, v24, s22
	v_mul_hi_u32 v28, v20, v5
	v_add_nc_u32_e32 v30, 1, v26
	v_sub_nc_u32_e32 v29, v18, v32
	v_cmp_le_u32_e64 s0, s22, v14
	v_add_nc_u32_e32 v33, 1, v27
	v_add_nc_u32_e32 v34, 1, v24
	v_mul_lo_u32 v13, v13, s14
	v_sub_nc_u32_e32 v23, v25, v23
	v_cndmask_b32_e64 v26, v26, v30, s0
	v_subrev_nc_u32_e32 v30, s22, v14
	v_cmp_le_u32_e64 s1, s22, v29
	v_mul_lo_u32 v35, v28, s22
	v_cmp_le_u32_e64 s2, s22, v23
	v_add_nc_u32_e32 v36, 1, v28
	v_cndmask_b32_e64 v14, v14, v30, s0
	v_cndmask_b32_e64 v27, v27, v33, s1
	v_subrev_nc_u32_e32 v33, s22, v29
	v_cndmask_b32_e64 v24, v24, v34, s2
	v_subrev_nc_u32_e32 v34, s22, v23
	v_sub_nc_u32_e32 v32, v20, v35
	v_add_nc_u32_e32 v30, 1, v26
	v_cndmask_b32_e64 v29, v29, v33, s1
	v_cmp_le_u32_e64 s0, s22, v14
	v_add_nc_u32_e32 v33, 1, v27
	v_cmp_le_u32_e64 s3, s22, v32
	v_subrev_nc_u32_e32 v35, s22, v32
	v_cndmask_b32_e64 v23, v23, v34, s2
	v_cndmask_b32_e64 v14, v26, v30, s0
	v_cmp_le_u32_e64 s0, s22, v29
	v_cndmask_b32_e64 v28, v28, v36, s3
	v_add_nc_u32_e32 v34, 1, v24
	v_cndmask_b32_e64 v32, v32, v35, s3
	v_mul_lo_u32 v12, v12, s14
	v_cndmask_b32_e64 v26, v27, v33, s0
	v_cmp_le_u32_e64 s0, s22, v23
	v_add_nc_u32_e32 v35, 1, v28
	v_mul_lo_u32 v27, v14, s22
	v_mov_b32_e32 v17, v1
	v_mul_lo_u32 v29, v26, s22
	v_cndmask_b32_e64 v23, v24, v34, s0
	v_cmp_le_u32_e64 s0, s22, v32
	v_mul_hi_u32 v30, v26, v6
	v_mov_b32_e32 v19, v1
	v_mov_b32_e32 v21, v1
	v_sub_nc_u32_e32 v16, v16, v27
	v_cndmask_b32_e64 v24, v28, v35, s0
	v_mul_hi_u32 v28, v14, v6
	v_mul_lo_u32 v32, v23, s22
	v_mul_hi_u32 v33, v23, v6
	v_sub_nc_u32_e32 v18, v18, v29
	v_mul_lo_u32 v29, v30, s23
	v_mul_lo_u32 v34, v24, s22
	v_mul_hi_u32 v35, v24, v6
	v_add_nc_u32_e32 v37, 1, v30
	v_mul_lo_u32 v27, v28, s23
	v_sub_nc_u32_e32 v25, v25, v32
	v_mul_lo_u32 v32, v33, s23
	v_add_nc_u32_e32 v36, 1, v28
	v_sub_nc_u32_e32 v29, v26, v29
	v_sub_nc_u32_e32 v20, v20, v34
	v_mul_lo_u32 v34, v35, s23
	v_add_nc_u32_e32 v38, 1, v33
	v_sub_nc_u32_e32 v27, v14, v27
	v_cmp_le_u32_e64 s1, s23, v29
	v_sub_nc_u32_e32 v32, v23, v32
	v_add_nc_u32_e32 v39, 1, v35
	v_mul_lo_u32 v18, v18, s13
	v_cmp_le_u32_e64 s0, s23, v27
	v_sub_nc_u32_e32 v34, v24, v34
	v_cndmask_b32_e64 v30, v30, v37, s1
	v_subrev_nc_u32_e32 v37, s23, v29
	v_cmp_le_u32_e64 s2, s23, v32
	v_cndmask_b32_e64 v28, v28, v36, s0
	v_subrev_nc_u32_e32 v36, s23, v27
	v_cmp_le_u32_e64 s3, s23, v34
	v_cndmask_b32_e64 v29, v29, v37, s1
	v_cndmask_b32_e64 v33, v33, v38, s2
	v_subrev_nc_u32_e32 v38, s23, v32
	v_cndmask_b32_e64 v27, v27, v36, s0
	v_add_nc_u32_e32 v36, 1, v28
	v_cndmask_b32_e64 v35, v35, v39, s3
	v_subrev_nc_u32_e32 v39, s23, v34
	v_add_nc_u32_e32 v37, 1, v30
	v_cmp_le_u32_e64 s0, s23, v27
	v_cndmask_b32_e64 v32, v32, v38, s2
	v_add_nc_u32_e32 v38, 1, v33
	v_cndmask_b32_e64 v34, v34, v39, s3
	v_add_nc_u32_e32 v39, 1, v35
	v_cndmask_b32_e64 v27, v28, v36, s0
	v_cmp_le_u32_e64 s0, s23, v29
	v_mul_lo_u32 v20, v20, s13
	v_mul_lo_u32 v16, v16, s13
	;; [unrolled: 1-line block ×3, first 2 shown]
	v_add_nc_u32_e32 v2, s20, v2
	v_cndmask_b32_e64 v28, v30, v37, s0
	v_cmp_le_u32_e64 s0, s23, v32
	v_mul_lo_u32 v32, v27, s23
	v_mul_lo_u32 v27, v27, s11
	v_add_nc_u32_e32 v3, s20, v3
	v_add_nc_u32_e32 v7, s20, v7
	v_cndmask_b32_e64 v29, v33, v38, s0
	v_cmp_le_u32_e64 s0, s23, v34
	v_mul_lo_u32 v33, v28, s23
	v_mul_lo_u32 v28, v28, s11
	v_sub_nc_u32_e32 v14, v14, v32
	v_mul_lo_u32 v34, v29, s23
	v_cndmask_b32_e64 v30, v35, v39, s0
	v_mul_lo_u32 v29, v29, s11
	v_add3_u32 v16, v27, v31, v16
	v_mul_lo_u32 v14, v14, s12
	v_sub_nc_u32_e32 v26, v26, v33
	v_mul_lo_u32 v35, v30, s23
	v_mul_lo_u32 v30, v30, s11
	v_add3_u32 v18, v28, v22, v18
	v_sub_nc_u32_e32 v22, v23, v34
	v_add3_u32 v12, v29, v12, v25
	s_or_b32 s25, vcc_lo, s25
	v_add3_u32 v14, v16, v14, s17
	v_sub_nc_u32_e32 v23, v24, v35
	v_add3_u32 v13, v30, v13, v20
	v_mul_lo_u32 v20, v26, s12
	v_mul_lo_u32 v22, v22, s12
	;; [unrolled: 1-line block ×3, first 2 shown]
	v_add3_u32 v16, v18, v20, s17
	v_add3_u32 v18, v12, v22, s17
	;; [unrolled: 1-line block ×3, first 2 shown]
	v_lshlrev_b64 v[12:13], 2, v[14:15]
	v_lshlrev_b64 v[14:15], 2, v[16:17]
	;; [unrolled: 1-line block ×4, first 2 shown]
	v_add_co_u32 v12, s0, s6, v12
	v_add_co_ci_u32_e64 v13, null, s7, v13, s0
	v_add_co_u32 v14, s0, s6, v14
	v_add_co_ci_u32_e64 v15, null, s7, v15, s0
	;; [unrolled: 2-line block ×4, first 2 shown]
	s_waitcnt vmcnt(0)
	global_store_dword v[12:13], v8, off
	global_store_dword v[14:15], v9, off
	;; [unrolled: 1-line block ×4, first 2 shown]
	s_andn2_b32 exec_lo, exec_lo, s25
	s_cbranch_execnz .LBB56_3
; %bb.4:
	s_or_b32 exec_lo, exec_lo, s25
.LBB56_5:
	s_or_b32 exec_lo, exec_lo, s19
	v_cmp_gt_u32_e32 vcc_lo, s16, v0
	s_and_b32 exec_lo, exec_lo, vcc_lo
	s_cbranch_execz .LBB56_8
; %bb.6:
	s_cmp_eq_u32 s15, 3
	s_cselect_b32 s2, s18, s10
	s_cmp_eq_u32 s15, 2
	v_cvt_f32_u32_e32 v1, s2
	s_cselect_b32 s3, s18, s9
	s_cmp_eq_u32 s15, 1
	v_cvt_f32_u32_e32 v2, s3
	s_cselect_b32 s8, s18, s8
	v_rcp_iflag_f32_e32 v1, v1
	v_cvt_f32_u32_e32 v3, s8
	s_sub_i32 s9, 0, s2
	v_rcp_iflag_f32_e32 v2, v2
	s_sub_i32 s0, 0, s3
	s_sub_i32 s1, 0, s8
	v_rcp_iflag_f32_e32 v3, v3
	v_mul_f32_e32 v1, 0x4f7ffffe, v1
	v_mul_f32_e32 v2, 0x4f7ffffe, v2
	v_cvt_u32_f32_e32 v4, v1
	v_mul_f32_e32 v3, 0x4f7ffffe, v3
	v_cvt_u32_f32_e32 v8, v2
	v_mov_b32_e32 v2, 0
	v_mul_lo_u32 v1, s9, v4
	v_cvt_u32_f32_e32 v3, v3
	v_mul_lo_u32 v5, s0, v8
	v_mul_lo_u32 v6, s1, v3
	v_mul_hi_u32 v7, v4, v1
	v_mov_b32_e32 v1, v2
	v_mul_hi_u32 v9, v8, v5
	v_mul_hi_u32 v10, v3, v6
	v_lshlrev_b64 v[5:6], 2, v[0:1]
	v_add_nc_u32_e32 v7, v4, v7
	v_add_nc_u32_e32 v8, v8, v9
	v_add_co_u32 v5, vcc_lo, s4, v5
	v_add_nc_u32_e32 v9, v3, v10
	v_mad_u64_u32 v[3:4], null, v0, v7, 0
	v_add_co_ci_u32_e64 v6, null, s5, v6, vcc_lo
	s_mov_b32 s4, 0
.LBB56_7:                               ; =>This Inner Loop Header: Depth=1
	global_load_dword v12, v[5:6], off
	v_mul_lo_u32 v1, s2, v4
	v_not_b32_e32 v10, v4
	v_add_nc_u32_e32 v13, 1, v4
	v_add_co_u32 v3, vcc_lo, v3, v7
	v_mad_u64_u32 v[10:11], null, s2, v10, v[0:1]
	v_sub_nc_u32_e32 v1, v0, v1
	v_cmp_le_u32_e64 s0, s2, v1
	v_cndmask_b32_e64 v11, v4, v13, s0
	v_cndmask_b32_e64 v1, v1, v10, s0
	v_add_co_ci_u32_e64 v4, null, 0, v4, vcc_lo
	v_add_nc_u32_e32 v10, 1, v11
	v_cmp_le_u32_e64 s0, s2, v1
	v_cndmask_b32_e64 v1, v11, v10, s0
	v_mul_hi_u32 v10, v1, v8
	v_mul_lo_u32 v11, v10, s3
	v_add_nc_u32_e32 v13, 1, v10
	v_sub_nc_u32_e32 v11, v1, v11
	v_subrev_nc_u32_e32 v14, s3, v11
	v_cmp_le_u32_e64 s0, s3, v11
	v_cndmask_b32_e64 v10, v10, v13, s0
	v_cndmask_b32_e64 v11, v11, v14, s0
	v_add_nc_u32_e32 v13, 1, v10
	v_cmp_le_u32_e64 s0, s3, v11
	v_cndmask_b32_e64 v13, v10, v13, s0
	v_mad_u64_u32 v[10:11], null, s9, v1, v[0:1]
	v_add_nc_u32_e32 v0, 1, v0
	v_mul_hi_u32 v14, v13, v9
	v_mul_lo_u32 v15, v13, s3
	v_mul_lo_u32 v10, v10, s14
	;; [unrolled: 1-line block ×3, first 2 shown]
	v_add_nc_u32_e32 v16, 1, v14
	v_sub_nc_u32_e32 v1, v1, v15
	v_mul_lo_u32 v1, v1, s13
	v_sub_nc_u32_e32 v11, v13, v11
	v_subrev_nc_u32_e32 v17, s8, v11
	v_cmp_le_u32_e64 s0, s8, v11
	v_cndmask_b32_e64 v14, v14, v16, s0
	v_cndmask_b32_e64 v11, v11, v17, s0
	v_add_nc_u32_e32 v16, 1, v14
	v_cmp_le_u32_e64 s0, s8, v11
	v_cndmask_b32_e64 v11, v14, v16, s0
	v_add_co_u32 v5, s0, v5, 4
	v_add_co_ci_u32_e64 v6, null, 0, v6, s0
	v_mul_lo_u32 v14, v11, s8
	v_mul_lo_u32 v11, v11, s11
	v_cmp_le_u32_e64 s0, s16, v0
	s_or_b32 s4, s0, s4
	v_sub_nc_u32_e32 v13, v13, v14
	v_add3_u32 v1, v11, v10, v1
	v_mul_lo_u32 v13, v13, s12
	v_add3_u32 v1, v1, v13, s17
	v_lshlrev_b64 v[10:11], 2, v[1:2]
	v_add_co_u32 v10, s1, s6, v10
	v_add_co_ci_u32_e64 v11, null, s7, v11, s1
	s_waitcnt vmcnt(0)
	global_store_dword v[10:11], v12, off
	s_andn2_b32 exec_lo, exec_lo, s4
	s_cbranch_execnz .LBB56_7
.LBB56_8:
	s_endpgm
	.section	.rodata,"a",@progbits
	.p2align	6, 0x0
	.amdhsa_kernel _ZN2at6native12_GLOBAL__N_135CatArrayBatchedCopy_alignedK_contigINS1_10OpaqueTypeILj4EEEjLi4ELi128ELi1ELi16EEEvPT_NS1_25CatArrInputTensorMetadataIS5_T0_XT2_EXT3_EEENS1_16TensorSizeStrideIS8_Lj4EEEiS8_
		.amdhsa_group_segment_fixed_size 0
		.amdhsa_private_segment_fixed_size 0
		.amdhsa_kernarg_size 3024
		.amdhsa_user_sgpr_count 6
		.amdhsa_user_sgpr_private_segment_buffer 1
		.amdhsa_user_sgpr_dispatch_ptr 0
		.amdhsa_user_sgpr_queue_ptr 0
		.amdhsa_user_sgpr_kernarg_segment_ptr 1
		.amdhsa_user_sgpr_dispatch_id 0
		.amdhsa_user_sgpr_flat_scratch_init 0
		.amdhsa_user_sgpr_private_segment_size 0
		.amdhsa_wavefront_size32 1
		.amdhsa_uses_dynamic_stack 0
		.amdhsa_system_sgpr_private_segment_wavefront_offset 0
		.amdhsa_system_sgpr_workgroup_id_x 1
		.amdhsa_system_sgpr_workgroup_id_y 1
		.amdhsa_system_sgpr_workgroup_id_z 0
		.amdhsa_system_sgpr_workgroup_info 0
		.amdhsa_system_vgpr_workitem_id 0
		.amdhsa_next_free_vgpr 40
		.amdhsa_next_free_sgpr 26
		.amdhsa_reserve_vcc 1
		.amdhsa_reserve_flat_scratch 0
		.amdhsa_float_round_mode_32 0
		.amdhsa_float_round_mode_16_64 0
		.amdhsa_float_denorm_mode_32 3
		.amdhsa_float_denorm_mode_16_64 3
		.amdhsa_dx10_clamp 1
		.amdhsa_ieee_mode 1
		.amdhsa_fp16_overflow 0
		.amdhsa_workgroup_processor_mode 1
		.amdhsa_memory_ordered 1
		.amdhsa_forward_progress 1
		.amdhsa_shared_vgpr_count 0
		.amdhsa_exception_fp_ieee_invalid_op 0
		.amdhsa_exception_fp_denorm_src 0
		.amdhsa_exception_fp_ieee_div_zero 0
		.amdhsa_exception_fp_ieee_overflow 0
		.amdhsa_exception_fp_ieee_underflow 0
		.amdhsa_exception_fp_ieee_inexact 0
		.amdhsa_exception_int_div_zero 0
	.end_amdhsa_kernel
	.section	.text._ZN2at6native12_GLOBAL__N_135CatArrayBatchedCopy_alignedK_contigINS1_10OpaqueTypeILj4EEEjLi4ELi128ELi1ELi16EEEvPT_NS1_25CatArrInputTensorMetadataIS5_T0_XT2_EXT3_EEENS1_16TensorSizeStrideIS8_Lj4EEEiS8_,"axG",@progbits,_ZN2at6native12_GLOBAL__N_135CatArrayBatchedCopy_alignedK_contigINS1_10OpaqueTypeILj4EEEjLi4ELi128ELi1ELi16EEEvPT_NS1_25CatArrInputTensorMetadataIS5_T0_XT2_EXT3_EEENS1_16TensorSizeStrideIS8_Lj4EEEiS8_,comdat
.Lfunc_end56:
	.size	_ZN2at6native12_GLOBAL__N_135CatArrayBatchedCopy_alignedK_contigINS1_10OpaqueTypeILj4EEEjLi4ELi128ELi1ELi16EEEvPT_NS1_25CatArrInputTensorMetadataIS5_T0_XT2_EXT3_EEENS1_16TensorSizeStrideIS8_Lj4EEEiS8_, .Lfunc_end56-_ZN2at6native12_GLOBAL__N_135CatArrayBatchedCopy_alignedK_contigINS1_10OpaqueTypeILj4EEEjLi4ELi128ELi1ELi16EEEvPT_NS1_25CatArrInputTensorMetadataIS5_T0_XT2_EXT3_EEENS1_16TensorSizeStrideIS8_Lj4EEEiS8_
                                        ; -- End function
	.set _ZN2at6native12_GLOBAL__N_135CatArrayBatchedCopy_alignedK_contigINS1_10OpaqueTypeILj4EEEjLi4ELi128ELi1ELi16EEEvPT_NS1_25CatArrInputTensorMetadataIS5_T0_XT2_EXT3_EEENS1_16TensorSizeStrideIS8_Lj4EEEiS8_.num_vgpr, 40
	.set _ZN2at6native12_GLOBAL__N_135CatArrayBatchedCopy_alignedK_contigINS1_10OpaqueTypeILj4EEEjLi4ELi128ELi1ELi16EEEvPT_NS1_25CatArrInputTensorMetadataIS5_T0_XT2_EXT3_EEENS1_16TensorSizeStrideIS8_Lj4EEEiS8_.num_agpr, 0
	.set _ZN2at6native12_GLOBAL__N_135CatArrayBatchedCopy_alignedK_contigINS1_10OpaqueTypeILj4EEEjLi4ELi128ELi1ELi16EEEvPT_NS1_25CatArrInputTensorMetadataIS5_T0_XT2_EXT3_EEENS1_16TensorSizeStrideIS8_Lj4EEEiS8_.numbered_sgpr, 26
	.set _ZN2at6native12_GLOBAL__N_135CatArrayBatchedCopy_alignedK_contigINS1_10OpaqueTypeILj4EEEjLi4ELi128ELi1ELi16EEEvPT_NS1_25CatArrInputTensorMetadataIS5_T0_XT2_EXT3_EEENS1_16TensorSizeStrideIS8_Lj4EEEiS8_.num_named_barrier, 0
	.set _ZN2at6native12_GLOBAL__N_135CatArrayBatchedCopy_alignedK_contigINS1_10OpaqueTypeILj4EEEjLi4ELi128ELi1ELi16EEEvPT_NS1_25CatArrInputTensorMetadataIS5_T0_XT2_EXT3_EEENS1_16TensorSizeStrideIS8_Lj4EEEiS8_.private_seg_size, 0
	.set _ZN2at6native12_GLOBAL__N_135CatArrayBatchedCopy_alignedK_contigINS1_10OpaqueTypeILj4EEEjLi4ELi128ELi1ELi16EEEvPT_NS1_25CatArrInputTensorMetadataIS5_T0_XT2_EXT3_EEENS1_16TensorSizeStrideIS8_Lj4EEEiS8_.uses_vcc, 1
	.set _ZN2at6native12_GLOBAL__N_135CatArrayBatchedCopy_alignedK_contigINS1_10OpaqueTypeILj4EEEjLi4ELi128ELi1ELi16EEEvPT_NS1_25CatArrInputTensorMetadataIS5_T0_XT2_EXT3_EEENS1_16TensorSizeStrideIS8_Lj4EEEiS8_.uses_flat_scratch, 0
	.set _ZN2at6native12_GLOBAL__N_135CatArrayBatchedCopy_alignedK_contigINS1_10OpaqueTypeILj4EEEjLi4ELi128ELi1ELi16EEEvPT_NS1_25CatArrInputTensorMetadataIS5_T0_XT2_EXT3_EEENS1_16TensorSizeStrideIS8_Lj4EEEiS8_.has_dyn_sized_stack, 0
	.set _ZN2at6native12_GLOBAL__N_135CatArrayBatchedCopy_alignedK_contigINS1_10OpaqueTypeILj4EEEjLi4ELi128ELi1ELi16EEEvPT_NS1_25CatArrInputTensorMetadataIS5_T0_XT2_EXT3_EEENS1_16TensorSizeStrideIS8_Lj4EEEiS8_.has_recursion, 0
	.set _ZN2at6native12_GLOBAL__N_135CatArrayBatchedCopy_alignedK_contigINS1_10OpaqueTypeILj4EEEjLi4ELi128ELi1ELi16EEEvPT_NS1_25CatArrInputTensorMetadataIS5_T0_XT2_EXT3_EEENS1_16TensorSizeStrideIS8_Lj4EEEiS8_.has_indirect_call, 0
	.section	.AMDGPU.csdata,"",@progbits
; Kernel info:
; codeLenInByte = 2444
; TotalNumSgprs: 28
; NumVgprs: 40
; ScratchSize: 0
; MemoryBound: 0
; FloatMode: 240
; IeeeMode: 1
; LDSByteSize: 0 bytes/workgroup (compile time only)
; SGPRBlocks: 0
; VGPRBlocks: 4
; NumSGPRsForWavesPerEU: 28
; NumVGPRsForWavesPerEU: 40
; Occupancy: 16
; WaveLimiterHint : 1
; COMPUTE_PGM_RSRC2:SCRATCH_EN: 0
; COMPUTE_PGM_RSRC2:USER_SGPR: 6
; COMPUTE_PGM_RSRC2:TRAP_HANDLER: 0
; COMPUTE_PGM_RSRC2:TGID_X_EN: 1
; COMPUTE_PGM_RSRC2:TGID_Y_EN: 1
; COMPUTE_PGM_RSRC2:TGID_Z_EN: 0
; COMPUTE_PGM_RSRC2:TIDIG_COMP_CNT: 0
	.section	.text._ZN2at6native12_GLOBAL__N_135CatArrayBatchedCopy_alignedK_contigINS1_10OpaqueTypeILj4EEEjLi4ELi128ELi1ELi8EEEvPT_NS1_25CatArrInputTensorMetadataIS5_T0_XT2_EXT3_EEENS1_16TensorSizeStrideIS8_Lj4EEEiS8_,"axG",@progbits,_ZN2at6native12_GLOBAL__N_135CatArrayBatchedCopy_alignedK_contigINS1_10OpaqueTypeILj4EEEjLi4ELi128ELi1ELi8EEEvPT_NS1_25CatArrInputTensorMetadataIS5_T0_XT2_EXT3_EEENS1_16TensorSizeStrideIS8_Lj4EEEiS8_,comdat
	.globl	_ZN2at6native12_GLOBAL__N_135CatArrayBatchedCopy_alignedK_contigINS1_10OpaqueTypeILj4EEEjLi4ELi128ELi1ELi8EEEvPT_NS1_25CatArrInputTensorMetadataIS5_T0_XT2_EXT3_EEENS1_16TensorSizeStrideIS8_Lj4EEEiS8_ ; -- Begin function _ZN2at6native12_GLOBAL__N_135CatArrayBatchedCopy_alignedK_contigINS1_10OpaqueTypeILj4EEEjLi4ELi128ELi1ELi8EEEvPT_NS1_25CatArrInputTensorMetadataIS5_T0_XT2_EXT3_EEENS1_16TensorSizeStrideIS8_Lj4EEEiS8_
	.p2align	8
	.type	_ZN2at6native12_GLOBAL__N_135CatArrayBatchedCopy_alignedK_contigINS1_10OpaqueTypeILj4EEEjLi4ELi128ELi1ELi8EEEvPT_NS1_25CatArrInputTensorMetadataIS5_T0_XT2_EXT3_EEENS1_16TensorSizeStrideIS8_Lj4EEEiS8_,@function
_ZN2at6native12_GLOBAL__N_135CatArrayBatchedCopy_alignedK_contigINS1_10OpaqueTypeILj4EEEjLi4ELi128ELi1ELi8EEEvPT_NS1_25CatArrInputTensorMetadataIS5_T0_XT2_EXT3_EEENS1_16TensorSizeStrideIS8_Lj4EEEiS8_: ; @_ZN2at6native12_GLOBAL__N_135CatArrayBatchedCopy_alignedK_contigINS1_10OpaqueTypeILj4EEEjLi4ELi128ELi1ELi8EEEvPT_NS1_25CatArrInputTensorMetadataIS5_T0_XT2_EXT3_EEENS1_16TensorSizeStrideIS8_Lj4EEEiS8_
; %bb.0:
	s_mov_b32 s2, s7
	s_load_dword s7, s[4:5], 0xadc
	s_mov_b32 s3, 0
	s_add_u32 s0, s4, 0xad0
	s_addc_u32 s1, s5, 0
	s_lshl_b64 s[16:17], s[2:3], 2
	s_waitcnt lgkmcnt(0)
	s_and_b32 s18, s7, 0xffff
	s_add_u32 s2, s4, s16
	s_addc_u32 s3, s5, s17
	s_mul_i32 s6, s6, s18
	s_load_dword s7, s[2:3], 0x808
	v_add_lshl_u32 v0, s6, v0, 1
	s_add_u32 s6, s2, 8
	s_addc_u32 s19, s3, 0
	s_mov_b32 s2, exec_lo
	s_waitcnt lgkmcnt(0)
	v_cmpx_gt_u32_e64 s7, v0
	s_cbranch_execz .LBB57_8
; %bb.1:
	s_add_u32 s20, s6, s16
	s_addc_u32 s21, s19, s17
	s_sub_u32 s6, 0, s16
	s_subb_u32 s17, 0, s17
	s_add_u32 s16, s20, s6
	s_addc_u32 s17, s21, s17
	s_clause 0x5
	s_load_dwordx2 s[2:3], s[4:5], 0x0
	s_load_dwordx8 s[8:15], s[4:5], 0xaac
	s_load_dword s6, s[4:5], 0xacc
	s_load_dword s19, s[16:17], 0x400
	s_load_dwordx2 s[4:5], s[20:21], 0x0
	s_load_dword s16, s[16:17], 0x600
	v_add_nc_u32_e32 v1, 2, v0
	s_mov_b32 s17, exec_lo
	s_waitcnt lgkmcnt(0)
	s_mul_i32 s6, s19, s6
	v_cmpx_ge_u32_e64 s7, v1
	s_cbranch_execz .LBB57_5
; %bb.2:
	s_load_dword s0, s[0:1], 0x0
	s_mov_b32 s23, 0
	s_waitcnt lgkmcnt(0)
	s_mul_i32 s0, s0, s18
	s_lshl_b32 s18, s0, 1
	s_cmp_eq_u32 s15, 3
	s_cselect_b32 s19, s16, s10
	s_cmp_eq_u32 s15, 2
	v_cvt_f32_u32_e32 v1, s19
	s_cselect_b32 s20, s16, s9
	s_cmp_eq_u32 s15, 1
	v_cvt_f32_u32_e32 v2, s20
	s_cselect_b32 s21, s16, s8
	v_rcp_iflag_f32_e32 v1, v1
	v_cvt_f32_u32_e32 v3, s21
	s_sub_i32 s22, 0, s19
	v_rcp_iflag_f32_e32 v2, v2
	s_sub_i32 s0, 0, s20
	s_sub_i32 s1, 0, s21
	v_rcp_iflag_f32_e32 v3, v3
	v_mul_f32_e32 v1, 0x4f7ffffe, v1
	v_mul_f32_e32 v2, 0x4f7ffffe, v2
	v_cvt_u32_f32_e32 v4, v1
	v_mul_f32_e32 v3, 0x4f7ffffe, v3
	v_cvt_u32_f32_e32 v5, v2
	v_mul_lo_u32 v1, s22, v4
	v_cvt_u32_f32_e32 v6, v3
	v_mul_lo_u32 v2, s0, v5
	v_mul_lo_u32 v3, s1, v6
	v_mul_hi_u32 v7, v4, v1
	v_mov_b32_e32 v1, 0
	v_mul_hi_u32 v8, v5, v2
	v_mul_hi_u32 v9, v6, v3
	v_add_nc_u32_e32 v2, v4, v7
	v_add_nc_u32_e32 v3, v5, v8
	v_add_nc_u32_e32 v5, 1, v0
	v_add_nc_u32_e32 v4, v6, v9
.LBB57_3:                               ; =>This Inner Loop Header: Depth=1
	v_lshlrev_b64 v[6:7], 2, v[0:1]
	v_mul_hi_u32 v10, v2, v0
	v_mul_hi_u32 v14, v2, v5
	v_add_nc_u32_e32 v8, 1, v0
	v_mov_b32_e32 v9, v1
	v_mov_b32_e32 v11, v1
	v_add_co_u32 v6, vcc_lo, s4, v6
	v_add_co_ci_u32_e64 v7, null, s5, v7, vcc_lo
	v_not_b32_e32 v15, v10
	v_mad_u64_u32 v[12:13], null, s22, v10, v[0:1]
	global_load_dwordx2 v[6:7], v[6:7], off
	v_not_b32_e32 v16, v14
	v_mad_u64_u32 v[13:14], null, s22, v14, v[8:9]
	v_mul_hi_u32 v17, v8, v2
	v_mad_u64_u32 v[14:15], null, s19, v15, v[0:1]
	v_add_nc_u32_e32 v18, 1, v10
	v_cmp_le_u32_e32 vcc_lo, s19, v12
	v_mad_u64_u32 v[15:16], null, s19, v16, v[8:9]
	v_cmp_le_u32_e64 s0, s19, v13
	v_add_nc_u32_e32 v19, 1, v17
	v_cndmask_b32_e32 v8, v10, v18, vcc_lo
	v_cndmask_b32_e32 v12, v12, v14, vcc_lo
	v_add_nc_u32_e32 v5, s18, v5
	v_cndmask_b32_e64 v10, v17, v19, s0
	v_add_nc_u32_e32 v14, 1, v8
	v_cndmask_b32_e64 v13, v13, v15, s0
	v_cmp_le_u32_e32 vcc_lo, s19, v12
	v_add_nc_u32_e32 v15, 1, v10
	v_cndmask_b32_e32 v8, v8, v14, vcc_lo
	v_cmp_le_u32_e32 vcc_lo, s19, v13
	v_mad_u64_u32 v[12:13], null, s22, v8, v[0:1]
	v_cndmask_b32_e32 v10, v10, v15, vcc_lo
	v_mul_hi_u32 v15, v8, v3
	v_mad_u64_u32 v[13:14], null, s22, v10, v[0:1]
	v_mul_hi_u32 v14, v10, v3
	v_add_nc_u32_e32 v0, s18, v0
	v_mul_lo_u32 v17, v15, s20
	v_mul_lo_u32 v19, v12, s14
	v_add_nc_u32_e32 v18, 1, v15
	v_mad_u64_u32 v[12:13], null, s14, v13, s[14:15]
	v_mul_lo_u32 v20, v14, s20
	v_add_nc_u32_e32 v16, 2, v0
	v_sub_nc_u32_e32 v13, v8, v17
	v_add_nc_u32_e32 v21, 1, v14
	v_cmp_lt_u32_e32 vcc_lo, s7, v16
	v_subrev_nc_u32_e32 v17, s20, v13
	v_sub_nc_u32_e32 v16, v10, v20
	v_cmp_le_u32_e64 s0, s20, v13
	s_or_b32 s23, vcc_lo, s23
	v_cmp_le_u32_e64 s1, s20, v16
	v_cndmask_b32_e64 v15, v15, v18, s0
	v_subrev_nc_u32_e32 v18, s20, v16
	v_cndmask_b32_e64 v13, v13, v17, s0
	v_cndmask_b32_e64 v14, v14, v21, s1
	v_add_nc_u32_e32 v17, 1, v15
	v_cndmask_b32_e64 v16, v16, v18, s1
	v_cmp_le_u32_e64 s0, s20, v13
	v_add_nc_u32_e32 v18, 1, v14
	v_cndmask_b32_e64 v13, v15, v17, s0
	v_cmp_le_u32_e64 s0, s20, v16
	v_mul_lo_u32 v15, v13, s20
	v_cndmask_b32_e64 v14, v14, v18, s0
	v_mul_hi_u32 v16, v13, v4
	v_mul_lo_u32 v17, v14, s20
	v_mul_hi_u32 v18, v14, v4
	v_sub_nc_u32_e32 v8, v8, v15
	v_mul_lo_u32 v15, v16, s21
	v_add_nc_u32_e32 v20, 1, v16
	v_mul_lo_u32 v8, v8, s13
	v_sub_nc_u32_e32 v10, v10, v17
	v_mul_lo_u32 v17, v18, s21
	v_add_nc_u32_e32 v21, 1, v18
	v_sub_nc_u32_e32 v15, v13, v15
	v_mul_lo_u32 v10, v10, s13
	v_sub_nc_u32_e32 v17, v14, v17
	v_subrev_nc_u32_e32 v22, s21, v15
	v_cmp_le_u32_e64 s0, s21, v15
	v_cmp_le_u32_e64 s1, s21, v17
	v_cndmask_b32_e64 v16, v16, v20, s0
	v_subrev_nc_u32_e32 v20, s21, v17
	v_cndmask_b32_e64 v15, v15, v22, s0
	v_cndmask_b32_e64 v18, v18, v21, s1
	v_add_nc_u32_e32 v21, 1, v16
	v_cndmask_b32_e64 v17, v17, v20, s1
	v_cmp_le_u32_e64 s0, s21, v15
	v_add_nc_u32_e32 v20, 1, v18
	v_cndmask_b32_e64 v15, v16, v21, s0
	v_cmp_le_u32_e64 s0, s21, v17
	v_mul_lo_u32 v17, v15, s21
	v_cndmask_b32_e64 v16, v18, v20, s0
	v_mul_lo_u32 v15, v15, s11
	v_mul_lo_u32 v18, v16, s21
	;; [unrolled: 1-line block ×3, first 2 shown]
	v_sub_nc_u32_e32 v13, v13, v17
	v_add3_u32 v8, v15, v19, v8
	v_mul_lo_u32 v13, v13, s12
	v_sub_nc_u32_e32 v14, v14, v18
	v_add3_u32 v10, v16, v12, v10
	v_mul_lo_u32 v14, v14, s12
	v_add3_u32 v8, v8, v13, s6
	v_lshlrev_b64 v[8:9], 2, v[8:9]
	v_add3_u32 v10, v10, v14, s6
	v_lshlrev_b64 v[10:11], 2, v[10:11]
	v_add_co_u32 v8, s0, s2, v8
	v_add_co_ci_u32_e64 v9, null, s3, v9, s0
	v_add_co_u32 v10, s0, s2, v10
	v_add_co_ci_u32_e64 v11, null, s3, v11, s0
	s_waitcnt vmcnt(0)
	global_store_dword v[8:9], v6, off
	global_store_dword v[10:11], v7, off
	s_andn2_b32 exec_lo, exec_lo, s23
	s_cbranch_execnz .LBB57_3
; %bb.4:
	s_or_b32 exec_lo, exec_lo, s23
.LBB57_5:
	s_or_b32 exec_lo, exec_lo, s17
	v_cmp_gt_u32_e32 vcc_lo, s7, v0
	s_and_b32 exec_lo, exec_lo, vcc_lo
	s_cbranch_execz .LBB57_8
; %bb.6:
	s_cmp_eq_u32 s15, 3
	s_cselect_b32 s10, s16, s10
	s_cmp_eq_u32 s15, 2
	v_cvt_f32_u32_e32 v1, s10
	s_cselect_b32 s9, s16, s9
	s_cmp_eq_u32 s15, 1
	v_cvt_f32_u32_e32 v2, s9
	s_cselect_b32 s8, s16, s8
	v_rcp_iflag_f32_e32 v1, v1
	v_cvt_f32_u32_e32 v3, s8
	s_sub_i32 s15, 0, s10
	v_rcp_iflag_f32_e32 v2, v2
	s_sub_i32 s0, 0, s9
	s_sub_i32 s1, 0, s8
	v_rcp_iflag_f32_e32 v3, v3
	v_mul_f32_e32 v1, 0x4f7ffffe, v1
	v_mul_f32_e32 v2, 0x4f7ffffe, v2
	v_cvt_u32_f32_e32 v4, v1
	v_mul_f32_e32 v3, 0x4f7ffffe, v3
	v_cvt_u32_f32_e32 v8, v2
	v_mov_b32_e32 v2, 0
	v_mul_lo_u32 v1, s15, v4
	v_cvt_u32_f32_e32 v3, v3
	v_mul_lo_u32 v5, s0, v8
	v_mul_lo_u32 v6, s1, v3
	v_mul_hi_u32 v7, v4, v1
	v_mov_b32_e32 v1, v2
	v_mul_hi_u32 v9, v8, v5
	v_mul_hi_u32 v10, v3, v6
	v_lshlrev_b64 v[5:6], 2, v[0:1]
	v_add_nc_u32_e32 v7, v4, v7
	v_add_nc_u32_e32 v8, v8, v9
	v_add_co_u32 v5, vcc_lo, s4, v5
	v_add_nc_u32_e32 v9, v3, v10
	v_mad_u64_u32 v[3:4], null, v0, v7, 0
	v_add_co_ci_u32_e64 v6, null, s5, v6, vcc_lo
	s_mov_b32 s4, 0
.LBB57_7:                               ; =>This Inner Loop Header: Depth=1
	global_load_dword v12, v[5:6], off
	v_mul_lo_u32 v1, s10, v4
	v_not_b32_e32 v10, v4
	v_add_nc_u32_e32 v13, 1, v4
	v_add_co_u32 v3, vcc_lo, v3, v7
	v_mad_u64_u32 v[10:11], null, s10, v10, v[0:1]
	v_sub_nc_u32_e32 v1, v0, v1
	v_cmp_le_u32_e64 s0, s10, v1
	v_cndmask_b32_e64 v11, v4, v13, s0
	v_cndmask_b32_e64 v1, v1, v10, s0
	v_add_co_ci_u32_e64 v4, null, 0, v4, vcc_lo
	v_add_nc_u32_e32 v10, 1, v11
	v_cmp_le_u32_e64 s0, s10, v1
	v_cndmask_b32_e64 v1, v11, v10, s0
	v_mul_hi_u32 v10, v1, v8
	v_mul_lo_u32 v11, v10, s9
	v_add_nc_u32_e32 v13, 1, v10
	v_sub_nc_u32_e32 v11, v1, v11
	v_subrev_nc_u32_e32 v14, s9, v11
	v_cmp_le_u32_e64 s0, s9, v11
	v_cndmask_b32_e64 v10, v10, v13, s0
	v_cndmask_b32_e64 v11, v11, v14, s0
	v_add_nc_u32_e32 v13, 1, v10
	v_cmp_le_u32_e64 s0, s9, v11
	v_cndmask_b32_e64 v13, v10, v13, s0
	v_mad_u64_u32 v[10:11], null, s15, v1, v[0:1]
	v_add_nc_u32_e32 v0, 1, v0
	v_mul_hi_u32 v14, v13, v9
	v_mul_lo_u32 v15, v13, s9
	v_mul_lo_u32 v10, v10, s14
	;; [unrolled: 1-line block ×3, first 2 shown]
	v_add_nc_u32_e32 v16, 1, v14
	v_sub_nc_u32_e32 v1, v1, v15
	v_mul_lo_u32 v1, v1, s13
	v_sub_nc_u32_e32 v11, v13, v11
	v_subrev_nc_u32_e32 v17, s8, v11
	v_cmp_le_u32_e64 s0, s8, v11
	v_cndmask_b32_e64 v14, v14, v16, s0
	v_cndmask_b32_e64 v11, v11, v17, s0
	v_add_nc_u32_e32 v16, 1, v14
	v_cmp_le_u32_e64 s0, s8, v11
	v_cndmask_b32_e64 v11, v14, v16, s0
	v_add_co_u32 v5, s0, v5, 4
	v_add_co_ci_u32_e64 v6, null, 0, v6, s0
	v_mul_lo_u32 v14, v11, s8
	v_mul_lo_u32 v11, v11, s11
	v_cmp_le_u32_e64 s0, s7, v0
	s_or_b32 s4, s0, s4
	v_sub_nc_u32_e32 v13, v13, v14
	v_add3_u32 v1, v11, v10, v1
	v_mul_lo_u32 v13, v13, s12
	v_add3_u32 v1, v1, v13, s6
	v_lshlrev_b64 v[10:11], 2, v[1:2]
	v_add_co_u32 v10, s1, s2, v10
	v_add_co_ci_u32_e64 v11, null, s3, v11, s1
	s_waitcnt vmcnt(0)
	global_store_dword v[10:11], v12, off
	s_andn2_b32 exec_lo, exec_lo, s4
	s_cbranch_execnz .LBB57_7
.LBB57_8:
	s_endpgm
	.section	.rodata,"a",@progbits
	.p2align	6, 0x0
	.amdhsa_kernel _ZN2at6native12_GLOBAL__N_135CatArrayBatchedCopy_alignedK_contigINS1_10OpaqueTypeILj4EEEjLi4ELi128ELi1ELi8EEEvPT_NS1_25CatArrInputTensorMetadataIS5_T0_XT2_EXT3_EEENS1_16TensorSizeStrideIS8_Lj4EEEiS8_
		.amdhsa_group_segment_fixed_size 0
		.amdhsa_private_segment_fixed_size 0
		.amdhsa_kernarg_size 3024
		.amdhsa_user_sgpr_count 6
		.amdhsa_user_sgpr_private_segment_buffer 1
		.amdhsa_user_sgpr_dispatch_ptr 0
		.amdhsa_user_sgpr_queue_ptr 0
		.amdhsa_user_sgpr_kernarg_segment_ptr 1
		.amdhsa_user_sgpr_dispatch_id 0
		.amdhsa_user_sgpr_flat_scratch_init 0
		.amdhsa_user_sgpr_private_segment_size 0
		.amdhsa_wavefront_size32 1
		.amdhsa_uses_dynamic_stack 0
		.amdhsa_system_sgpr_private_segment_wavefront_offset 0
		.amdhsa_system_sgpr_workgroup_id_x 1
		.amdhsa_system_sgpr_workgroup_id_y 1
		.amdhsa_system_sgpr_workgroup_id_z 0
		.amdhsa_system_sgpr_workgroup_info 0
		.amdhsa_system_vgpr_workitem_id 0
		.amdhsa_next_free_vgpr 23
		.amdhsa_next_free_sgpr 24
		.amdhsa_reserve_vcc 1
		.amdhsa_reserve_flat_scratch 0
		.amdhsa_float_round_mode_32 0
		.amdhsa_float_round_mode_16_64 0
		.amdhsa_float_denorm_mode_32 3
		.amdhsa_float_denorm_mode_16_64 3
		.amdhsa_dx10_clamp 1
		.amdhsa_ieee_mode 1
		.amdhsa_fp16_overflow 0
		.amdhsa_workgroup_processor_mode 1
		.amdhsa_memory_ordered 1
		.amdhsa_forward_progress 1
		.amdhsa_shared_vgpr_count 0
		.amdhsa_exception_fp_ieee_invalid_op 0
		.amdhsa_exception_fp_denorm_src 0
		.amdhsa_exception_fp_ieee_div_zero 0
		.amdhsa_exception_fp_ieee_overflow 0
		.amdhsa_exception_fp_ieee_underflow 0
		.amdhsa_exception_fp_ieee_inexact 0
		.amdhsa_exception_int_div_zero 0
	.end_amdhsa_kernel
	.section	.text._ZN2at6native12_GLOBAL__N_135CatArrayBatchedCopy_alignedK_contigINS1_10OpaqueTypeILj4EEEjLi4ELi128ELi1ELi8EEEvPT_NS1_25CatArrInputTensorMetadataIS5_T0_XT2_EXT3_EEENS1_16TensorSizeStrideIS8_Lj4EEEiS8_,"axG",@progbits,_ZN2at6native12_GLOBAL__N_135CatArrayBatchedCopy_alignedK_contigINS1_10OpaqueTypeILj4EEEjLi4ELi128ELi1ELi8EEEvPT_NS1_25CatArrInputTensorMetadataIS5_T0_XT2_EXT3_EEENS1_16TensorSizeStrideIS8_Lj4EEEiS8_,comdat
.Lfunc_end57:
	.size	_ZN2at6native12_GLOBAL__N_135CatArrayBatchedCopy_alignedK_contigINS1_10OpaqueTypeILj4EEEjLi4ELi128ELi1ELi8EEEvPT_NS1_25CatArrInputTensorMetadataIS5_T0_XT2_EXT3_EEENS1_16TensorSizeStrideIS8_Lj4EEEiS8_, .Lfunc_end57-_ZN2at6native12_GLOBAL__N_135CatArrayBatchedCopy_alignedK_contigINS1_10OpaqueTypeILj4EEEjLi4ELi128ELi1ELi8EEEvPT_NS1_25CatArrInputTensorMetadataIS5_T0_XT2_EXT3_EEENS1_16TensorSizeStrideIS8_Lj4EEEiS8_
                                        ; -- End function
	.set _ZN2at6native12_GLOBAL__N_135CatArrayBatchedCopy_alignedK_contigINS1_10OpaqueTypeILj4EEEjLi4ELi128ELi1ELi8EEEvPT_NS1_25CatArrInputTensorMetadataIS5_T0_XT2_EXT3_EEENS1_16TensorSizeStrideIS8_Lj4EEEiS8_.num_vgpr, 23
	.set _ZN2at6native12_GLOBAL__N_135CatArrayBatchedCopy_alignedK_contigINS1_10OpaqueTypeILj4EEEjLi4ELi128ELi1ELi8EEEvPT_NS1_25CatArrInputTensorMetadataIS5_T0_XT2_EXT3_EEENS1_16TensorSizeStrideIS8_Lj4EEEiS8_.num_agpr, 0
	.set _ZN2at6native12_GLOBAL__N_135CatArrayBatchedCopy_alignedK_contigINS1_10OpaqueTypeILj4EEEjLi4ELi128ELi1ELi8EEEvPT_NS1_25CatArrInputTensorMetadataIS5_T0_XT2_EXT3_EEENS1_16TensorSizeStrideIS8_Lj4EEEiS8_.numbered_sgpr, 24
	.set _ZN2at6native12_GLOBAL__N_135CatArrayBatchedCopy_alignedK_contigINS1_10OpaqueTypeILj4EEEjLi4ELi128ELi1ELi8EEEvPT_NS1_25CatArrInputTensorMetadataIS5_T0_XT2_EXT3_EEENS1_16TensorSizeStrideIS8_Lj4EEEiS8_.num_named_barrier, 0
	.set _ZN2at6native12_GLOBAL__N_135CatArrayBatchedCopy_alignedK_contigINS1_10OpaqueTypeILj4EEEjLi4ELi128ELi1ELi8EEEvPT_NS1_25CatArrInputTensorMetadataIS5_T0_XT2_EXT3_EEENS1_16TensorSizeStrideIS8_Lj4EEEiS8_.private_seg_size, 0
	.set _ZN2at6native12_GLOBAL__N_135CatArrayBatchedCopy_alignedK_contigINS1_10OpaqueTypeILj4EEEjLi4ELi128ELi1ELi8EEEvPT_NS1_25CatArrInputTensorMetadataIS5_T0_XT2_EXT3_EEENS1_16TensorSizeStrideIS8_Lj4EEEiS8_.uses_vcc, 1
	.set _ZN2at6native12_GLOBAL__N_135CatArrayBatchedCopy_alignedK_contigINS1_10OpaqueTypeILj4EEEjLi4ELi128ELi1ELi8EEEvPT_NS1_25CatArrInputTensorMetadataIS5_T0_XT2_EXT3_EEENS1_16TensorSizeStrideIS8_Lj4EEEiS8_.uses_flat_scratch, 0
	.set _ZN2at6native12_GLOBAL__N_135CatArrayBatchedCopy_alignedK_contigINS1_10OpaqueTypeILj4EEEjLi4ELi128ELi1ELi8EEEvPT_NS1_25CatArrInputTensorMetadataIS5_T0_XT2_EXT3_EEENS1_16TensorSizeStrideIS8_Lj4EEEiS8_.has_dyn_sized_stack, 0
	.set _ZN2at6native12_GLOBAL__N_135CatArrayBatchedCopy_alignedK_contigINS1_10OpaqueTypeILj4EEEjLi4ELi128ELi1ELi8EEEvPT_NS1_25CatArrInputTensorMetadataIS5_T0_XT2_EXT3_EEENS1_16TensorSizeStrideIS8_Lj4EEEiS8_.has_recursion, 0
	.set _ZN2at6native12_GLOBAL__N_135CatArrayBatchedCopy_alignedK_contigINS1_10OpaqueTypeILj4EEEjLi4ELi128ELi1ELi8EEEvPT_NS1_25CatArrInputTensorMetadataIS5_T0_XT2_EXT3_EEENS1_16TensorSizeStrideIS8_Lj4EEEiS8_.has_indirect_call, 0
	.section	.AMDGPU.csdata,"",@progbits
; Kernel info:
; codeLenInByte = 1732
; TotalNumSgprs: 26
; NumVgprs: 23
; ScratchSize: 0
; MemoryBound: 0
; FloatMode: 240
; IeeeMode: 1
; LDSByteSize: 0 bytes/workgroup (compile time only)
; SGPRBlocks: 0
; VGPRBlocks: 2
; NumSGPRsForWavesPerEU: 26
; NumVGPRsForWavesPerEU: 23
; Occupancy: 16
; WaveLimiterHint : 1
; COMPUTE_PGM_RSRC2:SCRATCH_EN: 0
; COMPUTE_PGM_RSRC2:USER_SGPR: 6
; COMPUTE_PGM_RSRC2:TRAP_HANDLER: 0
; COMPUTE_PGM_RSRC2:TGID_X_EN: 1
; COMPUTE_PGM_RSRC2:TGID_Y_EN: 1
; COMPUTE_PGM_RSRC2:TGID_Z_EN: 0
; COMPUTE_PGM_RSRC2:TIDIG_COMP_CNT: 0
	.section	.text._ZN2at6native12_GLOBAL__N_126CatArrayBatchedCopy_contigINS1_10OpaqueTypeILj4EEEjLi4ELi128ELi1EEEvPT_NS1_25CatArrInputTensorMetadataIS5_T0_XT2_EXT3_EEENS1_16TensorSizeStrideIS8_Lj4EEEiS8_,"axG",@progbits,_ZN2at6native12_GLOBAL__N_126CatArrayBatchedCopy_contigINS1_10OpaqueTypeILj4EEEjLi4ELi128ELi1EEEvPT_NS1_25CatArrInputTensorMetadataIS5_T0_XT2_EXT3_EEENS1_16TensorSizeStrideIS8_Lj4EEEiS8_,comdat
	.globl	_ZN2at6native12_GLOBAL__N_126CatArrayBatchedCopy_contigINS1_10OpaqueTypeILj4EEEjLi4ELi128ELi1EEEvPT_NS1_25CatArrInputTensorMetadataIS5_T0_XT2_EXT3_EEENS1_16TensorSizeStrideIS8_Lj4EEEiS8_ ; -- Begin function _ZN2at6native12_GLOBAL__N_126CatArrayBatchedCopy_contigINS1_10OpaqueTypeILj4EEEjLi4ELi128ELi1EEEvPT_NS1_25CatArrInputTensorMetadataIS5_T0_XT2_EXT3_EEENS1_16TensorSizeStrideIS8_Lj4EEEiS8_
	.p2align	8
	.type	_ZN2at6native12_GLOBAL__N_126CatArrayBatchedCopy_contigINS1_10OpaqueTypeILj4EEEjLi4ELi128ELi1EEEvPT_NS1_25CatArrInputTensorMetadataIS5_T0_XT2_EXT3_EEENS1_16TensorSizeStrideIS8_Lj4EEEiS8_,@function
_ZN2at6native12_GLOBAL__N_126CatArrayBatchedCopy_contigINS1_10OpaqueTypeILj4EEEjLi4ELi128ELi1EEEvPT_NS1_25CatArrInputTensorMetadataIS5_T0_XT2_EXT3_EEENS1_16TensorSizeStrideIS8_Lj4EEEiS8_: ; @_ZN2at6native12_GLOBAL__N_126CatArrayBatchedCopy_contigINS1_10OpaqueTypeILj4EEEjLi4ELi128ELi1EEEvPT_NS1_25CatArrInputTensorMetadataIS5_T0_XT2_EXT3_EEENS1_16TensorSizeStrideIS8_Lj4EEEiS8_
; %bb.0:
	s_mov_b32 s0, s7
	s_load_dword s7, s[4:5], 0xadc
	s_mov_b32 s1, 0
	s_add_u32 s8, s4, 0xad0
	s_addc_u32 s9, s5, 0
	s_lshl_b64 s[2:3], s[0:1], 2
	s_mov_b32 s11, exec_lo
	s_waitcnt lgkmcnt(0)
	s_and_b32 s0, s7, 0xffff
	s_add_u32 s12, s4, s2
	s_addc_u32 s13, s5, s3
	v_mad_u64_u32 v[0:1], null, s6, s0, v[0:1]
	s_load_dword s10, s[12:13], 0x808
	s_add_u32 s6, s12, 8
	s_addc_u32 s7, s13, 0
	s_waitcnt lgkmcnt(0)
	v_cmpx_gt_u32_e64 s10, v0
	s_cbranch_execz .LBB58_3
; %bb.1:
	s_add_u32 s20, s6, s2
	s_addc_u32 s21, s7, s3
	s_sub_u32 s2, 0, s2
	s_subb_u32 s3, 0, s3
	s_load_dwordx2 s[14:15], s[4:5], 0xac8
	s_add_u32 s22, s20, s2
	s_addc_u32 s23, s21, s3
	s_clause 0x1
	s_load_dwordx4 s[16:19], s[4:5], 0xaac
	s_load_dword s2, s[22:23], 0x600
	s_waitcnt lgkmcnt(0)
	s_cmp_eq_u32 s14, 3
	s_cselect_b32 s11, s2, s18
	s_cmp_eq_u32 s14, 2
	v_cvt_f32_u32_e32 v1, s11
	s_cselect_b32 s12, s2, s17
	s_cmp_eq_u32 s14, 1
	v_cvt_f32_u32_e32 v2, s12
	s_cselect_b32 s13, s2, s16
	v_rcp_iflag_f32_e32 v1, v1
	v_cvt_f32_u32_e32 v3, s13
	s_load_dwordx2 s[2:3], s[4:5], 0x0
	v_rcp_iflag_f32_e32 v2, v2
	s_clause 0x1
	s_load_dwordx4 s[4:7], s[4:5], 0xab8
	s_load_dword s16, s[22:23], 0x400
	s_load_dword s17, s[8:9], 0x0
	v_rcp_iflag_f32_e32 v3, v3
	s_sub_i32 s14, 0, s11
	s_sub_i32 s8, 0, s12
	;; [unrolled: 1-line block ×3, first 2 shown]
	v_mul_f32_e32 v1, 0x4f7ffffe, v1
	v_mul_f32_e32 v2, 0x4f7ffffe, v2
	v_cvt_u32_f32_e32 v1, v1
	v_mul_f32_e32 v3, 0x4f7ffffe, v3
	v_cvt_u32_f32_e32 v4, v2
	v_mul_lo_u32 v2, s14, v1
	v_cvt_u32_f32_e32 v5, v3
	v_mul_lo_u32 v3, s8, v4
	s_waitcnt lgkmcnt(0)
	s_mul_i32 s15, s16, s15
	s_mul_i32 s16, s17, s0
	v_mul_lo_u32 v6, s9, v5
	s_load_dwordx2 s[8:9], s[20:21], 0x0
	v_mul_hi_u32 v2, v1, v2
	v_mul_hi_u32 v3, v4, v3
	;; [unrolled: 1-line block ×3, first 2 shown]
	v_add_nc_u32_e32 v2, v1, v2
	v_mov_b32_e32 v1, 0
	v_add_nc_u32_e32 v3, v4, v3
	v_add_nc_u32_e32 v4, v5, v6
.LBB58_2:                               ; =>This Inner Loop Header: Depth=1
	v_lshlrev_b64 v[5:6], 2, v[0:1]
	v_mul_hi_u32 v8, v2, v0
	s_waitcnt lgkmcnt(0)
	v_add_co_u32 v5, vcc_lo, s8, v5
	v_add_co_ci_u32_e64 v6, null, s9, v6, vcc_lo
	v_mul_lo_u32 v9, s11, v8
	v_add_nc_u32_e32 v10, 1, v8
	global_load_dword v7, v[5:6], off
	v_not_b32_e32 v5, v8
	v_mad_u64_u32 v[5:6], null, s11, v5, v[0:1]
	v_sub_nc_u32_e32 v6, v0, v9
	v_cmp_le_u32_e32 vcc_lo, s11, v6
	v_cndmask_b32_e32 v8, v8, v10, vcc_lo
	v_cndmask_b32_e32 v5, v6, v5, vcc_lo
	v_add_nc_u32_e32 v6, 1, v8
	v_cmp_le_u32_e32 vcc_lo, s11, v5
	v_cndmask_b32_e32 v8, v8, v6, vcc_lo
	v_mul_hi_u32 v5, v8, v3
	v_mul_lo_u32 v6, v5, s12
	v_add_nc_u32_e32 v9, 1, v5
	v_sub_nc_u32_e32 v6, v8, v6
	v_subrev_nc_u32_e32 v10, s12, v6
	v_cmp_le_u32_e32 vcc_lo, s12, v6
	v_cndmask_b32_e32 v5, v5, v9, vcc_lo
	v_cndmask_b32_e32 v6, v6, v10, vcc_lo
	v_add_nc_u32_e32 v9, 1, v5
	v_cmp_le_u32_e32 vcc_lo, s12, v6
	v_cndmask_b32_e32 v9, v5, v9, vcc_lo
	v_mul_hi_u32 v5, v9, v4
	v_mul_lo_u32 v6, v5, s13
	v_add_nc_u32_e32 v10, 1, v5
	v_sub_nc_u32_e32 v6, v9, v6
	v_subrev_nc_u32_e32 v11, s13, v6
	v_cmp_le_u32_e32 vcc_lo, s13, v6
	v_cndmask_b32_e32 v10, v5, v10, vcc_lo
	v_cndmask_b32_e32 v11, v6, v11, vcc_lo
	v_mad_u64_u32 v[5:6], null, s14, v8, v[0:1]
	v_add_nc_u32_e32 v0, s16, v0
	v_add_nc_u32_e32 v12, 1, v10
	v_cmp_le_u32_e32 vcc_lo, s13, v11
	v_mul_lo_u32 v5, v5, s7
	v_cndmask_b32_e32 v6, v10, v12, vcc_lo
	v_mul_lo_u32 v10, v9, s12
	v_cmp_le_u32_e32 vcc_lo, s10, v0
	v_mul_lo_u32 v11, v6, s13
	v_mul_lo_u32 v6, v6, s4
	s_or_b32 s1, vcc_lo, s1
	v_sub_nc_u32_e32 v8, v8, v10
	v_sub_nc_u32_e32 v9, v9, v11
	v_mul_lo_u32 v8, v8, s6
	v_add3_u32 v5, v5, s15, v6
	v_mov_b32_e32 v6, v1
	v_mul_lo_u32 v9, v9, s5
	v_add3_u32 v5, v5, v8, v9
	v_lshlrev_b64 v[5:6], 2, v[5:6]
	v_add_co_u32 v5, s0, s2, v5
	v_add_co_ci_u32_e64 v6, null, s3, v6, s0
	s_waitcnt vmcnt(0)
	global_store_dword v[5:6], v7, off
	s_andn2_b32 exec_lo, exec_lo, s1
	s_cbranch_execnz .LBB58_2
.LBB58_3:
	s_endpgm
	.section	.rodata,"a",@progbits
	.p2align	6, 0x0
	.amdhsa_kernel _ZN2at6native12_GLOBAL__N_126CatArrayBatchedCopy_contigINS1_10OpaqueTypeILj4EEEjLi4ELi128ELi1EEEvPT_NS1_25CatArrInputTensorMetadataIS5_T0_XT2_EXT3_EEENS1_16TensorSizeStrideIS8_Lj4EEEiS8_
		.amdhsa_group_segment_fixed_size 0
		.amdhsa_private_segment_fixed_size 0
		.amdhsa_kernarg_size 3024
		.amdhsa_user_sgpr_count 6
		.amdhsa_user_sgpr_private_segment_buffer 1
		.amdhsa_user_sgpr_dispatch_ptr 0
		.amdhsa_user_sgpr_queue_ptr 0
		.amdhsa_user_sgpr_kernarg_segment_ptr 1
		.amdhsa_user_sgpr_dispatch_id 0
		.amdhsa_user_sgpr_flat_scratch_init 0
		.amdhsa_user_sgpr_private_segment_size 0
		.amdhsa_wavefront_size32 1
		.amdhsa_uses_dynamic_stack 0
		.amdhsa_system_sgpr_private_segment_wavefront_offset 0
		.amdhsa_system_sgpr_workgroup_id_x 1
		.amdhsa_system_sgpr_workgroup_id_y 1
		.amdhsa_system_sgpr_workgroup_id_z 0
		.amdhsa_system_sgpr_workgroup_info 0
		.amdhsa_system_vgpr_workitem_id 0
		.amdhsa_next_free_vgpr 13
		.amdhsa_next_free_sgpr 24
		.amdhsa_reserve_vcc 1
		.amdhsa_reserve_flat_scratch 0
		.amdhsa_float_round_mode_32 0
		.amdhsa_float_round_mode_16_64 0
		.amdhsa_float_denorm_mode_32 3
		.amdhsa_float_denorm_mode_16_64 3
		.amdhsa_dx10_clamp 1
		.amdhsa_ieee_mode 1
		.amdhsa_fp16_overflow 0
		.amdhsa_workgroup_processor_mode 1
		.amdhsa_memory_ordered 1
		.amdhsa_forward_progress 1
		.amdhsa_shared_vgpr_count 0
		.amdhsa_exception_fp_ieee_invalid_op 0
		.amdhsa_exception_fp_denorm_src 0
		.amdhsa_exception_fp_ieee_div_zero 0
		.amdhsa_exception_fp_ieee_overflow 0
		.amdhsa_exception_fp_ieee_underflow 0
		.amdhsa_exception_fp_ieee_inexact 0
		.amdhsa_exception_int_div_zero 0
	.end_amdhsa_kernel
	.section	.text._ZN2at6native12_GLOBAL__N_126CatArrayBatchedCopy_contigINS1_10OpaqueTypeILj4EEEjLi4ELi128ELi1EEEvPT_NS1_25CatArrInputTensorMetadataIS5_T0_XT2_EXT3_EEENS1_16TensorSizeStrideIS8_Lj4EEEiS8_,"axG",@progbits,_ZN2at6native12_GLOBAL__N_126CatArrayBatchedCopy_contigINS1_10OpaqueTypeILj4EEEjLi4ELi128ELi1EEEvPT_NS1_25CatArrInputTensorMetadataIS5_T0_XT2_EXT3_EEENS1_16TensorSizeStrideIS8_Lj4EEEiS8_,comdat
.Lfunc_end58:
	.size	_ZN2at6native12_GLOBAL__N_126CatArrayBatchedCopy_contigINS1_10OpaqueTypeILj4EEEjLi4ELi128ELi1EEEvPT_NS1_25CatArrInputTensorMetadataIS5_T0_XT2_EXT3_EEENS1_16TensorSizeStrideIS8_Lj4EEEiS8_, .Lfunc_end58-_ZN2at6native12_GLOBAL__N_126CatArrayBatchedCopy_contigINS1_10OpaqueTypeILj4EEEjLi4ELi128ELi1EEEvPT_NS1_25CatArrInputTensorMetadataIS5_T0_XT2_EXT3_EEENS1_16TensorSizeStrideIS8_Lj4EEEiS8_
                                        ; -- End function
	.set _ZN2at6native12_GLOBAL__N_126CatArrayBatchedCopy_contigINS1_10OpaqueTypeILj4EEEjLi4ELi128ELi1EEEvPT_NS1_25CatArrInputTensorMetadataIS5_T0_XT2_EXT3_EEENS1_16TensorSizeStrideIS8_Lj4EEEiS8_.num_vgpr, 13
	.set _ZN2at6native12_GLOBAL__N_126CatArrayBatchedCopy_contigINS1_10OpaqueTypeILj4EEEjLi4ELi128ELi1EEEvPT_NS1_25CatArrInputTensorMetadataIS5_T0_XT2_EXT3_EEENS1_16TensorSizeStrideIS8_Lj4EEEiS8_.num_agpr, 0
	.set _ZN2at6native12_GLOBAL__N_126CatArrayBatchedCopy_contigINS1_10OpaqueTypeILj4EEEjLi4ELi128ELi1EEEvPT_NS1_25CatArrInputTensorMetadataIS5_T0_XT2_EXT3_EEENS1_16TensorSizeStrideIS8_Lj4EEEiS8_.numbered_sgpr, 24
	.set _ZN2at6native12_GLOBAL__N_126CatArrayBatchedCopy_contigINS1_10OpaqueTypeILj4EEEjLi4ELi128ELi1EEEvPT_NS1_25CatArrInputTensorMetadataIS5_T0_XT2_EXT3_EEENS1_16TensorSizeStrideIS8_Lj4EEEiS8_.num_named_barrier, 0
	.set _ZN2at6native12_GLOBAL__N_126CatArrayBatchedCopy_contigINS1_10OpaqueTypeILj4EEEjLi4ELi128ELi1EEEvPT_NS1_25CatArrInputTensorMetadataIS5_T0_XT2_EXT3_EEENS1_16TensorSizeStrideIS8_Lj4EEEiS8_.private_seg_size, 0
	.set _ZN2at6native12_GLOBAL__N_126CatArrayBatchedCopy_contigINS1_10OpaqueTypeILj4EEEjLi4ELi128ELi1EEEvPT_NS1_25CatArrInputTensorMetadataIS5_T0_XT2_EXT3_EEENS1_16TensorSizeStrideIS8_Lj4EEEiS8_.uses_vcc, 1
	.set _ZN2at6native12_GLOBAL__N_126CatArrayBatchedCopy_contigINS1_10OpaqueTypeILj4EEEjLi4ELi128ELi1EEEvPT_NS1_25CatArrInputTensorMetadataIS5_T0_XT2_EXT3_EEENS1_16TensorSizeStrideIS8_Lj4EEEiS8_.uses_flat_scratch, 0
	.set _ZN2at6native12_GLOBAL__N_126CatArrayBatchedCopy_contigINS1_10OpaqueTypeILj4EEEjLi4ELi128ELi1EEEvPT_NS1_25CatArrInputTensorMetadataIS5_T0_XT2_EXT3_EEENS1_16TensorSizeStrideIS8_Lj4EEEiS8_.has_dyn_sized_stack, 0
	.set _ZN2at6native12_GLOBAL__N_126CatArrayBatchedCopy_contigINS1_10OpaqueTypeILj4EEEjLi4ELi128ELi1EEEvPT_NS1_25CatArrInputTensorMetadataIS5_T0_XT2_EXT3_EEENS1_16TensorSizeStrideIS8_Lj4EEEiS8_.has_recursion, 0
	.set _ZN2at6native12_GLOBAL__N_126CatArrayBatchedCopy_contigINS1_10OpaqueTypeILj4EEEjLi4ELi128ELi1EEEvPT_NS1_25CatArrInputTensorMetadataIS5_T0_XT2_EXT3_EEENS1_16TensorSizeStrideIS8_Lj4EEEiS8_.has_indirect_call, 0
	.section	.AMDGPU.csdata,"",@progbits
; Kernel info:
; codeLenInByte = 712
; TotalNumSgprs: 26
; NumVgprs: 13
; ScratchSize: 0
; MemoryBound: 0
; FloatMode: 240
; IeeeMode: 1
; LDSByteSize: 0 bytes/workgroup (compile time only)
; SGPRBlocks: 0
; VGPRBlocks: 1
; NumSGPRsForWavesPerEU: 26
; NumVGPRsForWavesPerEU: 13
; Occupancy: 16
; WaveLimiterHint : 1
; COMPUTE_PGM_RSRC2:SCRATCH_EN: 0
; COMPUTE_PGM_RSRC2:USER_SGPR: 6
; COMPUTE_PGM_RSRC2:TRAP_HANDLER: 0
; COMPUTE_PGM_RSRC2:TGID_X_EN: 1
; COMPUTE_PGM_RSRC2:TGID_Y_EN: 1
; COMPUTE_PGM_RSRC2:TGID_Z_EN: 0
; COMPUTE_PGM_RSRC2:TIDIG_COMP_CNT: 0
	.section	.text._ZN2at6native12_GLOBAL__N_119CatArrayBatchedCopyINS1_10OpaqueTypeILj4EEEjLi4ELi128ELi1EEEvPT_NS1_25CatArrInputTensorMetadataIS5_T0_XT2_EXT3_EEENS1_16TensorSizeStrideIS8_Lj4EEEiS8_,"axG",@progbits,_ZN2at6native12_GLOBAL__N_119CatArrayBatchedCopyINS1_10OpaqueTypeILj4EEEjLi4ELi128ELi1EEEvPT_NS1_25CatArrInputTensorMetadataIS5_T0_XT2_EXT3_EEENS1_16TensorSizeStrideIS8_Lj4EEEiS8_,comdat
	.globl	_ZN2at6native12_GLOBAL__N_119CatArrayBatchedCopyINS1_10OpaqueTypeILj4EEEjLi4ELi128ELi1EEEvPT_NS1_25CatArrInputTensorMetadataIS5_T0_XT2_EXT3_EEENS1_16TensorSizeStrideIS8_Lj4EEEiS8_ ; -- Begin function _ZN2at6native12_GLOBAL__N_119CatArrayBatchedCopyINS1_10OpaqueTypeILj4EEEjLi4ELi128ELi1EEEvPT_NS1_25CatArrInputTensorMetadataIS5_T0_XT2_EXT3_EEENS1_16TensorSizeStrideIS8_Lj4EEEiS8_
	.p2align	8
	.type	_ZN2at6native12_GLOBAL__N_119CatArrayBatchedCopyINS1_10OpaqueTypeILj4EEEjLi4ELi128ELi1EEEvPT_NS1_25CatArrInputTensorMetadataIS5_T0_XT2_EXT3_EEENS1_16TensorSizeStrideIS8_Lj4EEEiS8_,@function
_ZN2at6native12_GLOBAL__N_119CatArrayBatchedCopyINS1_10OpaqueTypeILj4EEEjLi4ELi128ELi1EEEvPT_NS1_25CatArrInputTensorMetadataIS5_T0_XT2_EXT3_EEENS1_16TensorSizeStrideIS8_Lj4EEEiS8_: ; @_ZN2at6native12_GLOBAL__N_119CatArrayBatchedCopyINS1_10OpaqueTypeILj4EEEjLi4ELi128ELi1EEEvPT_NS1_25CatArrInputTensorMetadataIS5_T0_XT2_EXT3_EEENS1_16TensorSizeStrideIS8_Lj4EEEiS8_
; %bb.0:
	s_mov_b32 s0, s7
	s_load_dword s7, s[4:5], 0xadc
	s_or_b32 s8, s4, 8
	s_mov_b32 s1, 0
	s_add_u32 s16, s4, 0xad0
	s_addc_u32 s17, s5, 0
	s_lshl_b64 s[2:3], s[0:1], 2
	s_waitcnt lgkmcnt(0)
	s_and_b32 s25, s7, 0xffff
	s_add_u32 s10, s8, s2
	s_addc_u32 s11, s5, s3
	v_mad_u64_u32 v[0:1], null, s6, s25, v[0:1]
	s_load_dword s18, s[10:11], 0x800
	s_mov_b32 s6, exec_lo
	s_waitcnt lgkmcnt(0)
	v_cmpx_gt_u32_e64 s18, v0
	s_cbranch_execz .LBB59_5
; %bb.1:
	v_mov_b32_e32 v1, 0x800
	s_add_u32 s6, s8, s0
	s_addc_u32 s7, s5, 0
	s_mov_b32 s9, s5
	s_load_dwordx2 s[14:15], s[4:5], 0xac8
	global_load_ubyte v1, v1, s[6:7] offset:512
	s_waitcnt vmcnt(0)
	v_and_b32_e32 v1, 1, v1
	v_cmp_eq_u32_e32 vcc_lo, 1, v1
	s_xor_b32 s19, vcc_lo, -1
	s_add_u32 s12, s10, s2
	s_addc_u32 s13, s11, s3
	s_sub_u32 s0, 0, s2
	s_subb_u32 s2, 0, s3
	s_add_u32 s6, s12, s0
	s_addc_u32 s7, s13, s2
	s_clause 0x4
	s_load_dwordx4 s[28:31], s[4:5], 0xaac
	s_load_dword s0, s[6:7], 0x600
	s_load_dwordx4 s[36:39], s[4:5], 0xa8c
	s_load_dwordx2 s[2:3], s[4:5], 0x0
	s_load_dwordx4 s[8:11], s[8:9], 0xa90
	s_waitcnt lgkmcnt(0)
	s_cmp_eq_u32 s14, 3
	s_load_dword s27, s[16:17], 0x0
	s_load_dword s26, s[6:7], 0x400
	s_cselect_b32 s20, s0, s30
	s_cselect_b32 s21, s0, s38
	s_cmp_eq_u32 s14, 2
	v_cvt_f32_u32_e32 v1, s20
	s_cselect_b32 s16, s0, s29
	s_cselect_b32 s17, s0, s37
	s_cmp_eq_u32 s14, 1
	v_cvt_f32_u32_e32 v2, s21
	s_cselect_b32 s14, s0, s28
	s_cselect_b32 s22, s0, s36
	v_cvt_f32_u32_e32 v3, s16
	v_cvt_f32_u32_e32 v4, s17
	;; [unrolled: 1-line block ×4, first 2 shown]
	v_rcp_iflag_f32_e32 v1, v1
	v_rcp_iflag_f32_e32 v2, v2
	;; [unrolled: 1-line block ×6, first 2 shown]
	s_sub_i32 s23, 0, s20
	s_sub_i32 s0, 0, s16
	;; [unrolled: 1-line block ×4, first 2 shown]
	v_mul_f32_e32 v1, 0x4f7ffffe, v1
	v_mul_f32_e32 v2, 0x4f7ffffe, v2
	v_mul_f32_e32 v3, 0x4f7ffffe, v3
	v_mul_f32_e32 v4, 0x4f7ffffe, v4
	v_mul_f32_e32 v5, 0x4f7ffffe, v5
	v_mul_f32_e32 v6, 0x4f7ffffe, v6
	v_cvt_u32_f32_e32 v7, v1
	v_cvt_u32_f32_e32 v2, v2
	;; [unrolled: 1-line block ×6, first 2 shown]
	s_sub_i32 s7, 0, s14
	s_sub_i32 s28, 0, s22
	v_mul_lo_u32 v1, s23, v7
	v_mul_lo_u32 v4, s24, v2
	;; [unrolled: 1-line block ×6, first 2 shown]
	s_clause 0x1
	s_load_dwordx4 s[4:7], s[4:5], 0xab8
	s_load_dwordx2 s[12:13], s[12:13], 0x0
	s_waitcnt lgkmcnt(0)
	s_mul_i32 s15, s26, s15
	v_mul_hi_u32 v13, v7, v1
	v_mul_hi_u32 v14, v2, v4
	;; [unrolled: 1-line block ×6, first 2 shown]
	v_mov_b32_e32 v1, 0
	s_mul_i32 s25, s27, s25
	v_add_nc_u32_e32 v4, v7, v13
	v_add_nc_u32_e32 v5, v2, v14
	;; [unrolled: 1-line block ×6, first 2 shown]
	s_branch .LBB59_3
.LBB59_2:                               ;   in Loop: Header=BB59_3 Depth=1
	v_lshlrev_b64 v[2:3], 2, v[2:3]
	v_mul_hi_u32 v13, v4, v0
	v_add_co_u32 v2, vcc_lo, s12, v2
	v_add_co_ci_u32_e64 v3, null, s13, v3, vcc_lo
	v_not_b32_e32 v10, v13
	global_load_dword v12, v[2:3], off
	v_mad_u64_u32 v[2:3], null, s23, v13, v[0:1]
	v_mad_u64_u32 v[10:11], null, s20, v10, v[0:1]
	v_add_nc_u32_e32 v3, 1, v13
	v_cmp_le_u32_e32 vcc_lo, s20, v2
	v_cndmask_b32_e32 v3, v13, v3, vcc_lo
	v_cndmask_b32_e32 v2, v2, v10, vcc_lo
	v_add_nc_u32_e32 v10, 1, v3
	v_cmp_le_u32_e32 vcc_lo, s20, v2
	v_cndmask_b32_e32 v10, v3, v10, vcc_lo
	v_mul_hi_u32 v2, v10, v6
	v_mul_lo_u32 v3, v2, s16
	v_add_nc_u32_e32 v11, 1, v2
	v_sub_nc_u32_e32 v3, v10, v3
	v_subrev_nc_u32_e32 v13, s16, v3
	v_cmp_le_u32_e32 vcc_lo, s16, v3
	v_cndmask_b32_e32 v2, v2, v11, vcc_lo
	v_cndmask_b32_e32 v3, v3, v13, vcc_lo
	v_add_nc_u32_e32 v11, 1, v2
	v_cmp_le_u32_e32 vcc_lo, s16, v3
	v_cndmask_b32_e32 v11, v2, v11, vcc_lo
	v_mul_hi_u32 v2, v11, v8
	v_mul_lo_u32 v3, v2, s14
	v_add_nc_u32_e32 v13, 1, v2
	v_sub_nc_u32_e32 v3, v11, v3
	v_subrev_nc_u32_e32 v14, s14, v3
	v_cmp_le_u32_e32 vcc_lo, s14, v3
	v_cndmask_b32_e32 v2, v2, v13, vcc_lo
	v_cndmask_b32_e32 v3, v3, v14, vcc_lo
	v_mul_lo_u32 v14, v11, s16
	v_add_nc_u32_e32 v13, 1, v2
	v_cmp_le_u32_e32 vcc_lo, s14, v3
	v_cndmask_b32_e32 v13, v2, v13, vcc_lo
	v_mad_u64_u32 v[2:3], null, s23, v10, v[0:1]
	v_sub_nc_u32_e32 v10, v10, v14
	v_add_nc_u32_e32 v0, s25, v0
	v_mul_lo_u32 v3, v13, s14
	v_mul_lo_u32 v10, v10, s6
	;; [unrolled: 1-line block ×3, first 2 shown]
	v_cmp_le_u32_e32 vcc_lo, s18, v0
	v_sub_nc_u32_e32 v3, v11, v3
	v_mul_lo_u32 v11, v13, s4
	s_or_b32 s1, vcc_lo, s1
	v_mul_lo_u32 v3, v3, s5
	v_add3_u32 v2, v11, v2, v10
	v_add3_u32 v2, v2, v3, s15
	v_mov_b32_e32 v3, v1
	v_lshlrev_b64 v[2:3], 2, v[2:3]
	v_add_co_u32 v2, s0, s2, v2
	v_add_co_ci_u32_e64 v3, null, s3, v3, s0
	s_waitcnt vmcnt(0)
	global_store_dword v[2:3], v12, off
	s_andn2_b32 exec_lo, exec_lo, s1
	s_cbranch_execz .LBB59_5
.LBB59_3:                               ; =>This Inner Loop Header: Depth=1
	v_mov_b32_e32 v3, v1
	v_mov_b32_e32 v2, v0
	s_andn2_b32 vcc_lo, exec_lo, s19
	s_cbranch_vccnz .LBB59_2
; %bb.4:                                ;   in Loop: Header=BB59_3 Depth=1
	v_mul_hi_u32 v12, v5, v0
	v_not_b32_e32 v10, v12
	v_mad_u64_u32 v[2:3], null, s24, v12, v[0:1]
	v_add_nc_u32_e32 v3, 1, v12
	v_mad_u64_u32 v[10:11], null, s21, v10, v[0:1]
	v_cmp_le_u32_e32 vcc_lo, s21, v2
	v_cndmask_b32_e32 v3, v12, v3, vcc_lo
	v_cndmask_b32_e32 v2, v2, v10, vcc_lo
	v_add_nc_u32_e32 v10, 1, v3
	v_cmp_le_u32_e32 vcc_lo, s21, v2
	v_cndmask_b32_e32 v10, v3, v10, vcc_lo
	v_mul_hi_u32 v2, v10, v7
	v_mul_lo_u32 v3, v2, s17
	v_add_nc_u32_e32 v11, 1, v2
	v_sub_nc_u32_e32 v3, v10, v3
	v_subrev_nc_u32_e32 v12, s17, v3
	v_cmp_le_u32_e32 vcc_lo, s17, v3
	v_cndmask_b32_e32 v2, v2, v11, vcc_lo
	v_cndmask_b32_e32 v3, v3, v12, vcc_lo
	v_add_nc_u32_e32 v11, 1, v2
	v_cmp_le_u32_e32 vcc_lo, s17, v3
	v_cndmask_b32_e32 v11, v2, v11, vcc_lo
	v_mul_hi_u32 v2, v11, v9
	v_mul_lo_u32 v3, v2, s22
	v_add_nc_u32_e32 v12, 1, v2
	v_sub_nc_u32_e32 v3, v11, v3
	v_subrev_nc_u32_e32 v13, s22, v3
	v_cmp_le_u32_e32 vcc_lo, s22, v3
	v_cndmask_b32_e32 v2, v2, v12, vcc_lo
	v_cndmask_b32_e32 v3, v3, v13, vcc_lo
	v_add_nc_u32_e32 v12, 1, v2
	v_cmp_le_u32_e32 vcc_lo, s22, v3
	v_cndmask_b32_e32 v12, v2, v12, vcc_lo
	v_mad_u64_u32 v[2:3], null, s24, v10, v[0:1]
	v_mul_lo_u32 v3, v11, s17
	v_mul_lo_u32 v13, v12, s22
	;; [unrolled: 1-line block ×3, first 2 shown]
	v_sub_nc_u32_e32 v3, v10, v3
	v_sub_nc_u32_e32 v10, v11, v13
	v_mul_lo_u32 v11, v3, s10
	v_mad_u64_u32 v[2:3], null, v12, s8, v[2:3]
	v_mul_lo_u32 v3, v10, s9
	v_add3_u32 v2, v2, v11, v3
	v_mov_b32_e32 v3, v1
	s_branch .LBB59_2
.LBB59_5:
	s_endpgm
	.section	.rodata,"a",@progbits
	.p2align	6, 0x0
	.amdhsa_kernel _ZN2at6native12_GLOBAL__N_119CatArrayBatchedCopyINS1_10OpaqueTypeILj4EEEjLi4ELi128ELi1EEEvPT_NS1_25CatArrInputTensorMetadataIS5_T0_XT2_EXT3_EEENS1_16TensorSizeStrideIS8_Lj4EEEiS8_
		.amdhsa_group_segment_fixed_size 0
		.amdhsa_private_segment_fixed_size 0
		.amdhsa_kernarg_size 3024
		.amdhsa_user_sgpr_count 6
		.amdhsa_user_sgpr_private_segment_buffer 1
		.amdhsa_user_sgpr_dispatch_ptr 0
		.amdhsa_user_sgpr_queue_ptr 0
		.amdhsa_user_sgpr_kernarg_segment_ptr 1
		.amdhsa_user_sgpr_dispatch_id 0
		.amdhsa_user_sgpr_flat_scratch_init 0
		.amdhsa_user_sgpr_private_segment_size 0
		.amdhsa_wavefront_size32 1
		.amdhsa_uses_dynamic_stack 0
		.amdhsa_system_sgpr_private_segment_wavefront_offset 0
		.amdhsa_system_sgpr_workgroup_id_x 1
		.amdhsa_system_sgpr_workgroup_id_y 1
		.amdhsa_system_sgpr_workgroup_id_z 0
		.amdhsa_system_sgpr_workgroup_info 0
		.amdhsa_system_vgpr_workitem_id 0
		.amdhsa_next_free_vgpr 17
		.amdhsa_next_free_sgpr 40
		.amdhsa_reserve_vcc 1
		.amdhsa_reserve_flat_scratch 0
		.amdhsa_float_round_mode_32 0
		.amdhsa_float_round_mode_16_64 0
		.amdhsa_float_denorm_mode_32 3
		.amdhsa_float_denorm_mode_16_64 3
		.amdhsa_dx10_clamp 1
		.amdhsa_ieee_mode 1
		.amdhsa_fp16_overflow 0
		.amdhsa_workgroup_processor_mode 1
		.amdhsa_memory_ordered 1
		.amdhsa_forward_progress 1
		.amdhsa_shared_vgpr_count 0
		.amdhsa_exception_fp_ieee_invalid_op 0
		.amdhsa_exception_fp_denorm_src 0
		.amdhsa_exception_fp_ieee_div_zero 0
		.amdhsa_exception_fp_ieee_overflow 0
		.amdhsa_exception_fp_ieee_underflow 0
		.amdhsa_exception_fp_ieee_inexact 0
		.amdhsa_exception_int_div_zero 0
	.end_amdhsa_kernel
	.section	.text._ZN2at6native12_GLOBAL__N_119CatArrayBatchedCopyINS1_10OpaqueTypeILj4EEEjLi4ELi128ELi1EEEvPT_NS1_25CatArrInputTensorMetadataIS5_T0_XT2_EXT3_EEENS1_16TensorSizeStrideIS8_Lj4EEEiS8_,"axG",@progbits,_ZN2at6native12_GLOBAL__N_119CatArrayBatchedCopyINS1_10OpaqueTypeILj4EEEjLi4ELi128ELi1EEEvPT_NS1_25CatArrInputTensorMetadataIS5_T0_XT2_EXT3_EEENS1_16TensorSizeStrideIS8_Lj4EEEiS8_,comdat
.Lfunc_end59:
	.size	_ZN2at6native12_GLOBAL__N_119CatArrayBatchedCopyINS1_10OpaqueTypeILj4EEEjLi4ELi128ELi1EEEvPT_NS1_25CatArrInputTensorMetadataIS5_T0_XT2_EXT3_EEENS1_16TensorSizeStrideIS8_Lj4EEEiS8_, .Lfunc_end59-_ZN2at6native12_GLOBAL__N_119CatArrayBatchedCopyINS1_10OpaqueTypeILj4EEEjLi4ELi128ELi1EEEvPT_NS1_25CatArrInputTensorMetadataIS5_T0_XT2_EXT3_EEENS1_16TensorSizeStrideIS8_Lj4EEEiS8_
                                        ; -- End function
	.set _ZN2at6native12_GLOBAL__N_119CatArrayBatchedCopyINS1_10OpaqueTypeILj4EEEjLi4ELi128ELi1EEEvPT_NS1_25CatArrInputTensorMetadataIS5_T0_XT2_EXT3_EEENS1_16TensorSizeStrideIS8_Lj4EEEiS8_.num_vgpr, 17
	.set _ZN2at6native12_GLOBAL__N_119CatArrayBatchedCopyINS1_10OpaqueTypeILj4EEEjLi4ELi128ELi1EEEvPT_NS1_25CatArrInputTensorMetadataIS5_T0_XT2_EXT3_EEENS1_16TensorSizeStrideIS8_Lj4EEEiS8_.num_agpr, 0
	.set _ZN2at6native12_GLOBAL__N_119CatArrayBatchedCopyINS1_10OpaqueTypeILj4EEEjLi4ELi128ELi1EEEvPT_NS1_25CatArrInputTensorMetadataIS5_T0_XT2_EXT3_EEENS1_16TensorSizeStrideIS8_Lj4EEEiS8_.numbered_sgpr, 40
	.set _ZN2at6native12_GLOBAL__N_119CatArrayBatchedCopyINS1_10OpaqueTypeILj4EEEjLi4ELi128ELi1EEEvPT_NS1_25CatArrInputTensorMetadataIS5_T0_XT2_EXT3_EEENS1_16TensorSizeStrideIS8_Lj4EEEiS8_.num_named_barrier, 0
	.set _ZN2at6native12_GLOBAL__N_119CatArrayBatchedCopyINS1_10OpaqueTypeILj4EEEjLi4ELi128ELi1EEEvPT_NS1_25CatArrInputTensorMetadataIS5_T0_XT2_EXT3_EEENS1_16TensorSizeStrideIS8_Lj4EEEiS8_.private_seg_size, 0
	.set _ZN2at6native12_GLOBAL__N_119CatArrayBatchedCopyINS1_10OpaqueTypeILj4EEEjLi4ELi128ELi1EEEvPT_NS1_25CatArrInputTensorMetadataIS5_T0_XT2_EXT3_EEENS1_16TensorSizeStrideIS8_Lj4EEEiS8_.uses_vcc, 1
	.set _ZN2at6native12_GLOBAL__N_119CatArrayBatchedCopyINS1_10OpaqueTypeILj4EEEjLi4ELi128ELi1EEEvPT_NS1_25CatArrInputTensorMetadataIS5_T0_XT2_EXT3_EEENS1_16TensorSizeStrideIS8_Lj4EEEiS8_.uses_flat_scratch, 0
	.set _ZN2at6native12_GLOBAL__N_119CatArrayBatchedCopyINS1_10OpaqueTypeILj4EEEjLi4ELi128ELi1EEEvPT_NS1_25CatArrInputTensorMetadataIS5_T0_XT2_EXT3_EEENS1_16TensorSizeStrideIS8_Lj4EEEiS8_.has_dyn_sized_stack, 0
	.set _ZN2at6native12_GLOBAL__N_119CatArrayBatchedCopyINS1_10OpaqueTypeILj4EEEjLi4ELi128ELi1EEEvPT_NS1_25CatArrInputTensorMetadataIS5_T0_XT2_EXT3_EEENS1_16TensorSizeStrideIS8_Lj4EEEiS8_.has_recursion, 0
	.set _ZN2at6native12_GLOBAL__N_119CatArrayBatchedCopyINS1_10OpaqueTypeILj4EEEjLi4ELi128ELi1EEEvPT_NS1_25CatArrInputTensorMetadataIS5_T0_XT2_EXT3_EEENS1_16TensorSizeStrideIS8_Lj4EEEiS8_.has_indirect_call, 0
	.section	.AMDGPU.csdata,"",@progbits
; Kernel info:
; codeLenInByte = 1164
; TotalNumSgprs: 42
; NumVgprs: 17
; ScratchSize: 0
; MemoryBound: 0
; FloatMode: 240
; IeeeMode: 1
; LDSByteSize: 0 bytes/workgroup (compile time only)
; SGPRBlocks: 0
; VGPRBlocks: 2
; NumSGPRsForWavesPerEU: 42
; NumVGPRsForWavesPerEU: 17
; Occupancy: 16
; WaveLimiterHint : 1
; COMPUTE_PGM_RSRC2:SCRATCH_EN: 0
; COMPUTE_PGM_RSRC2:USER_SGPR: 6
; COMPUTE_PGM_RSRC2:TRAP_HANDLER: 0
; COMPUTE_PGM_RSRC2:TGID_X_EN: 1
; COMPUTE_PGM_RSRC2:TGID_Y_EN: 1
; COMPUTE_PGM_RSRC2:TGID_Z_EN: 0
; COMPUTE_PGM_RSRC2:TIDIG_COMP_CNT: 0
	.section	.text._ZN2at6native12_GLOBAL__N_130CatArrayBatchedCopy_vectorizedINS1_10OpaqueTypeILj8EEEjLi1ELi128ELi1ELi16ELi2EEEvPcNS1_25CatArrInputTensorMetadataIT_T0_XT2_EXT3_EEENS1_16TensorSizeStrideIS8_Lj4EEEiS8_,"axG",@progbits,_ZN2at6native12_GLOBAL__N_130CatArrayBatchedCopy_vectorizedINS1_10OpaqueTypeILj8EEEjLi1ELi128ELi1ELi16ELi2EEEvPcNS1_25CatArrInputTensorMetadataIT_T0_XT2_EXT3_EEENS1_16TensorSizeStrideIS8_Lj4EEEiS8_,comdat
	.globl	_ZN2at6native12_GLOBAL__N_130CatArrayBatchedCopy_vectorizedINS1_10OpaqueTypeILj8EEEjLi1ELi128ELi1ELi16ELi2EEEvPcNS1_25CatArrInputTensorMetadataIT_T0_XT2_EXT3_EEENS1_16TensorSizeStrideIS8_Lj4EEEiS8_ ; -- Begin function _ZN2at6native12_GLOBAL__N_130CatArrayBatchedCopy_vectorizedINS1_10OpaqueTypeILj8EEEjLi1ELi128ELi1ELi16ELi2EEEvPcNS1_25CatArrInputTensorMetadataIT_T0_XT2_EXT3_EEENS1_16TensorSizeStrideIS8_Lj4EEEiS8_
	.p2align	8
	.type	_ZN2at6native12_GLOBAL__N_130CatArrayBatchedCopy_vectorizedINS1_10OpaqueTypeILj8EEEjLi1ELi128ELi1ELi16ELi2EEEvPcNS1_25CatArrInputTensorMetadataIT_T0_XT2_EXT3_EEENS1_16TensorSizeStrideIS8_Lj4EEEiS8_,@function
_ZN2at6native12_GLOBAL__N_130CatArrayBatchedCopy_vectorizedINS1_10OpaqueTypeILj8EEEjLi1ELi128ELi1ELi16ELi2EEEvPcNS1_25CatArrInputTensorMetadataIT_T0_XT2_EXT3_EEENS1_16TensorSizeStrideIS8_Lj4EEEiS8_: ; @_ZN2at6native12_GLOBAL__N_130CatArrayBatchedCopy_vectorizedINS1_10OpaqueTypeILj8EEEjLi1ELi128ELi1ELi16ELi2EEEvPcNS1_25CatArrInputTensorMetadataIT_T0_XT2_EXT3_EEENS1_16TensorSizeStrideIS8_Lj4EEEiS8_
; %bb.0:
	s_mov_b32 s0, s7
	s_load_dword s7, s[4:5], 0xadc
	s_mov_b32 s1, 0
	s_add_u32 s8, s4, 0xad0
	s_addc_u32 s9, s5, 0
	s_lshl_b64 s[2:3], s[0:1], 2
	s_waitcnt lgkmcnt(0)
	s_and_b32 s7, s7, 0xffff
	s_add_u32 s10, s4, s2
	s_addc_u32 s11, s5, s3
	v_mad_u64_u32 v[0:1], null, s6, s7, v[0:1]
	s_load_dword s12, s[10:11], 0x808
	s_add_u32 s0, s10, 8
	s_addc_u32 s10, s11, 0
	s_mov_b32 s11, exec_lo
	s_waitcnt lgkmcnt(0)
	s_lshr_b32 s6, s12, 1
	v_cmpx_gt_u32_e64 s6, v0
	s_cbranch_execz .LBB60_3
; %bb.1:
	s_add_u32 s12, s0, s2
	s_addc_u32 s13, s10, s3
	s_sub_u32 s0, 0, s2
	s_subb_u32 s3, 0, s3
	s_add_u32 s2, s12, s0
	s_addc_u32 s3, s13, s3
	v_mov_b32_e32 v3, 0
	s_clause 0x3
	s_load_dword s0, s[2:3], 0x400
	s_load_dword s10, s[4:5], 0xacc
	s_load_dwordx2 s[2:3], s[12:13], 0x0
	s_load_dword s12, s[4:5], 0xab8
	s_load_dword s13, s[8:9], 0x0
	s_load_dwordx2 s[8:9], s[4:5], 0x0
	s_waitcnt lgkmcnt(0)
	s_mul_i32 s0, s0, s10
	v_mul_lo_u32 v2, s12, v0
	s_lshr_b32 s0, s0, 1
	s_mul_i32 s4, s13, s7
	s_lshl_b64 s[10:11], s[0:1], 4
	s_add_u32 s5, s8, s10
	s_addc_u32 s7, s9, s11
	s_mul_i32 s8, s4, s12
	.p2align	6
.LBB60_2:                               ; =>This Inner Loop Header: Depth=1
	v_mov_b32_e32 v1, v3
	v_lshlrev_b64 v[8:9], 4, v[2:3]
	v_add_nc_u32_e32 v2, s8, v2
	v_lshlrev_b64 v[4:5], 4, v[0:1]
	v_add_nc_u32_e32 v0, s4, v0
	v_cmp_le_u32_e64 s0, s6, v0
	v_add_co_u32 v4, vcc_lo, s2, v4
	v_add_co_ci_u32_e64 v5, null, s3, v5, vcc_lo
	v_add_co_u32 v8, vcc_lo, s5, v8
	v_add_co_ci_u32_e64 v9, null, s7, v9, vcc_lo
	global_load_dwordx4 v[4:7], v[4:5], off
	s_or_b32 s1, s0, s1
	s_waitcnt vmcnt(0)
	global_store_dwordx4 v[8:9], v[4:7], off
	s_andn2_b32 exec_lo, exec_lo, s1
	s_cbranch_execnz .LBB60_2
.LBB60_3:
	s_endpgm
	.section	.rodata,"a",@progbits
	.p2align	6, 0x0
	.amdhsa_kernel _ZN2at6native12_GLOBAL__N_130CatArrayBatchedCopy_vectorizedINS1_10OpaqueTypeILj8EEEjLi1ELi128ELi1ELi16ELi2EEEvPcNS1_25CatArrInputTensorMetadataIT_T0_XT2_EXT3_EEENS1_16TensorSizeStrideIS8_Lj4EEEiS8_
		.amdhsa_group_segment_fixed_size 0
		.amdhsa_private_segment_fixed_size 0
		.amdhsa_kernarg_size 3024
		.amdhsa_user_sgpr_count 6
		.amdhsa_user_sgpr_private_segment_buffer 1
		.amdhsa_user_sgpr_dispatch_ptr 0
		.amdhsa_user_sgpr_queue_ptr 0
		.amdhsa_user_sgpr_kernarg_segment_ptr 1
		.amdhsa_user_sgpr_dispatch_id 0
		.amdhsa_user_sgpr_flat_scratch_init 0
		.amdhsa_user_sgpr_private_segment_size 0
		.amdhsa_wavefront_size32 1
		.amdhsa_uses_dynamic_stack 0
		.amdhsa_system_sgpr_private_segment_wavefront_offset 0
		.amdhsa_system_sgpr_workgroup_id_x 1
		.amdhsa_system_sgpr_workgroup_id_y 1
		.amdhsa_system_sgpr_workgroup_id_z 0
		.amdhsa_system_sgpr_workgroup_info 0
		.amdhsa_system_vgpr_workitem_id 0
		.amdhsa_next_free_vgpr 10
		.amdhsa_next_free_sgpr 14
		.amdhsa_reserve_vcc 1
		.amdhsa_reserve_flat_scratch 0
		.amdhsa_float_round_mode_32 0
		.amdhsa_float_round_mode_16_64 0
		.amdhsa_float_denorm_mode_32 3
		.amdhsa_float_denorm_mode_16_64 3
		.amdhsa_dx10_clamp 1
		.amdhsa_ieee_mode 1
		.amdhsa_fp16_overflow 0
		.amdhsa_workgroup_processor_mode 1
		.amdhsa_memory_ordered 1
		.amdhsa_forward_progress 1
		.amdhsa_shared_vgpr_count 0
		.amdhsa_exception_fp_ieee_invalid_op 0
		.amdhsa_exception_fp_denorm_src 0
		.amdhsa_exception_fp_ieee_div_zero 0
		.amdhsa_exception_fp_ieee_overflow 0
		.amdhsa_exception_fp_ieee_underflow 0
		.amdhsa_exception_fp_ieee_inexact 0
		.amdhsa_exception_int_div_zero 0
	.end_amdhsa_kernel
	.section	.text._ZN2at6native12_GLOBAL__N_130CatArrayBatchedCopy_vectorizedINS1_10OpaqueTypeILj8EEEjLi1ELi128ELi1ELi16ELi2EEEvPcNS1_25CatArrInputTensorMetadataIT_T0_XT2_EXT3_EEENS1_16TensorSizeStrideIS8_Lj4EEEiS8_,"axG",@progbits,_ZN2at6native12_GLOBAL__N_130CatArrayBatchedCopy_vectorizedINS1_10OpaqueTypeILj8EEEjLi1ELi128ELi1ELi16ELi2EEEvPcNS1_25CatArrInputTensorMetadataIT_T0_XT2_EXT3_EEENS1_16TensorSizeStrideIS8_Lj4EEEiS8_,comdat
.Lfunc_end60:
	.size	_ZN2at6native12_GLOBAL__N_130CatArrayBatchedCopy_vectorizedINS1_10OpaqueTypeILj8EEEjLi1ELi128ELi1ELi16ELi2EEEvPcNS1_25CatArrInputTensorMetadataIT_T0_XT2_EXT3_EEENS1_16TensorSizeStrideIS8_Lj4EEEiS8_, .Lfunc_end60-_ZN2at6native12_GLOBAL__N_130CatArrayBatchedCopy_vectorizedINS1_10OpaqueTypeILj8EEEjLi1ELi128ELi1ELi16ELi2EEEvPcNS1_25CatArrInputTensorMetadataIT_T0_XT2_EXT3_EEENS1_16TensorSizeStrideIS8_Lj4EEEiS8_
                                        ; -- End function
	.set _ZN2at6native12_GLOBAL__N_130CatArrayBatchedCopy_vectorizedINS1_10OpaqueTypeILj8EEEjLi1ELi128ELi1ELi16ELi2EEEvPcNS1_25CatArrInputTensorMetadataIT_T0_XT2_EXT3_EEENS1_16TensorSizeStrideIS8_Lj4EEEiS8_.num_vgpr, 10
	.set _ZN2at6native12_GLOBAL__N_130CatArrayBatchedCopy_vectorizedINS1_10OpaqueTypeILj8EEEjLi1ELi128ELi1ELi16ELi2EEEvPcNS1_25CatArrInputTensorMetadataIT_T0_XT2_EXT3_EEENS1_16TensorSizeStrideIS8_Lj4EEEiS8_.num_agpr, 0
	.set _ZN2at6native12_GLOBAL__N_130CatArrayBatchedCopy_vectorizedINS1_10OpaqueTypeILj8EEEjLi1ELi128ELi1ELi16ELi2EEEvPcNS1_25CatArrInputTensorMetadataIT_T0_XT2_EXT3_EEENS1_16TensorSizeStrideIS8_Lj4EEEiS8_.numbered_sgpr, 14
	.set _ZN2at6native12_GLOBAL__N_130CatArrayBatchedCopy_vectorizedINS1_10OpaqueTypeILj8EEEjLi1ELi128ELi1ELi16ELi2EEEvPcNS1_25CatArrInputTensorMetadataIT_T0_XT2_EXT3_EEENS1_16TensorSizeStrideIS8_Lj4EEEiS8_.num_named_barrier, 0
	.set _ZN2at6native12_GLOBAL__N_130CatArrayBatchedCopy_vectorizedINS1_10OpaqueTypeILj8EEEjLi1ELi128ELi1ELi16ELi2EEEvPcNS1_25CatArrInputTensorMetadataIT_T0_XT2_EXT3_EEENS1_16TensorSizeStrideIS8_Lj4EEEiS8_.private_seg_size, 0
	.set _ZN2at6native12_GLOBAL__N_130CatArrayBatchedCopy_vectorizedINS1_10OpaqueTypeILj8EEEjLi1ELi128ELi1ELi16ELi2EEEvPcNS1_25CatArrInputTensorMetadataIT_T0_XT2_EXT3_EEENS1_16TensorSizeStrideIS8_Lj4EEEiS8_.uses_vcc, 1
	.set _ZN2at6native12_GLOBAL__N_130CatArrayBatchedCopy_vectorizedINS1_10OpaqueTypeILj8EEEjLi1ELi128ELi1ELi16ELi2EEEvPcNS1_25CatArrInputTensorMetadataIT_T0_XT2_EXT3_EEENS1_16TensorSizeStrideIS8_Lj4EEEiS8_.uses_flat_scratch, 0
	.set _ZN2at6native12_GLOBAL__N_130CatArrayBatchedCopy_vectorizedINS1_10OpaqueTypeILj8EEEjLi1ELi128ELi1ELi16ELi2EEEvPcNS1_25CatArrInputTensorMetadataIT_T0_XT2_EXT3_EEENS1_16TensorSizeStrideIS8_Lj4EEEiS8_.has_dyn_sized_stack, 0
	.set _ZN2at6native12_GLOBAL__N_130CatArrayBatchedCopy_vectorizedINS1_10OpaqueTypeILj8EEEjLi1ELi128ELi1ELi16ELi2EEEvPcNS1_25CatArrInputTensorMetadataIT_T0_XT2_EXT3_EEENS1_16TensorSizeStrideIS8_Lj4EEEiS8_.has_recursion, 0
	.set _ZN2at6native12_GLOBAL__N_130CatArrayBatchedCopy_vectorizedINS1_10OpaqueTypeILj8EEEjLi1ELi128ELi1ELi16ELi2EEEvPcNS1_25CatArrInputTensorMetadataIT_T0_XT2_EXT3_EEENS1_16TensorSizeStrideIS8_Lj4EEEiS8_.has_indirect_call, 0
	.section	.AMDGPU.csdata,"",@progbits
; Kernel info:
; codeLenInByte = 360
; TotalNumSgprs: 16
; NumVgprs: 10
; ScratchSize: 0
; MemoryBound: 0
; FloatMode: 240
; IeeeMode: 1
; LDSByteSize: 0 bytes/workgroup (compile time only)
; SGPRBlocks: 0
; VGPRBlocks: 1
; NumSGPRsForWavesPerEU: 16
; NumVGPRsForWavesPerEU: 10
; Occupancy: 16
; WaveLimiterHint : 1
; COMPUTE_PGM_RSRC2:SCRATCH_EN: 0
; COMPUTE_PGM_RSRC2:USER_SGPR: 6
; COMPUTE_PGM_RSRC2:TRAP_HANDLER: 0
; COMPUTE_PGM_RSRC2:TGID_X_EN: 1
; COMPUTE_PGM_RSRC2:TGID_Y_EN: 1
; COMPUTE_PGM_RSRC2:TGID_Z_EN: 0
; COMPUTE_PGM_RSRC2:TIDIG_COMP_CNT: 0
	.section	.text._ZN2at6native12_GLOBAL__N_135CatArrayBatchedCopy_alignedK_contigINS1_10OpaqueTypeILj8EEEjLi1ELi128ELi1ELi16EEEvPT_NS1_25CatArrInputTensorMetadataIS5_T0_XT2_EXT3_EEENS1_16TensorSizeStrideIS8_Lj4EEEiS8_,"axG",@progbits,_ZN2at6native12_GLOBAL__N_135CatArrayBatchedCopy_alignedK_contigINS1_10OpaqueTypeILj8EEEjLi1ELi128ELi1ELi16EEEvPT_NS1_25CatArrInputTensorMetadataIS5_T0_XT2_EXT3_EEENS1_16TensorSizeStrideIS8_Lj4EEEiS8_,comdat
	.globl	_ZN2at6native12_GLOBAL__N_135CatArrayBatchedCopy_alignedK_contigINS1_10OpaqueTypeILj8EEEjLi1ELi128ELi1ELi16EEEvPT_NS1_25CatArrInputTensorMetadataIS5_T0_XT2_EXT3_EEENS1_16TensorSizeStrideIS8_Lj4EEEiS8_ ; -- Begin function _ZN2at6native12_GLOBAL__N_135CatArrayBatchedCopy_alignedK_contigINS1_10OpaqueTypeILj8EEEjLi1ELi128ELi1ELi16EEEvPT_NS1_25CatArrInputTensorMetadataIS5_T0_XT2_EXT3_EEENS1_16TensorSizeStrideIS8_Lj4EEEiS8_
	.p2align	8
	.type	_ZN2at6native12_GLOBAL__N_135CatArrayBatchedCopy_alignedK_contigINS1_10OpaqueTypeILj8EEEjLi1ELi128ELi1ELi16EEEvPT_NS1_25CatArrInputTensorMetadataIS5_T0_XT2_EXT3_EEENS1_16TensorSizeStrideIS8_Lj4EEEiS8_,@function
_ZN2at6native12_GLOBAL__N_135CatArrayBatchedCopy_alignedK_contigINS1_10OpaqueTypeILj8EEEjLi1ELi128ELi1ELi16EEEvPT_NS1_25CatArrInputTensorMetadataIS5_T0_XT2_EXT3_EEENS1_16TensorSizeStrideIS8_Lj4EEEiS8_: ; @_ZN2at6native12_GLOBAL__N_135CatArrayBatchedCopy_alignedK_contigINS1_10OpaqueTypeILj8EEEjLi1ELi128ELi1ELi16EEEvPT_NS1_25CatArrInputTensorMetadataIS5_T0_XT2_EXT3_EEENS1_16TensorSizeStrideIS8_Lj4EEEiS8_
; %bb.0:
	s_mov_b32 s2, s7
	s_load_dword s7, s[4:5], 0xadc
	s_mov_b32 s3, 0
	s_add_u32 s0, s4, 0xad0
	s_addc_u32 s1, s5, 0
	s_lshl_b64 s[2:3], s[2:3], 2
	s_mov_b32 s8, exec_lo
	s_waitcnt lgkmcnt(0)
	s_and_b32 s10, s7, 0xffff
	s_add_u32 s12, s4, s2
	s_addc_u32 s13, s5, s3
	v_mad_u64_u32 v[1:2], null, s6, s10, v[0:1]
	s_load_dword s9, s[12:13], 0x808
	s_add_u32 s6, s12, 8
	s_addc_u32 s7, s13, 0
	v_lshlrev_b32_e32 v0, 1, v1
	s_waitcnt lgkmcnt(0)
	v_cmpx_gt_u32_e64 s9, v0
	s_cbranch_execz .LBB61_8
; %bb.1:
	s_add_u32 s6, s6, s2
	s_addc_u32 s7, s7, s3
	s_sub_u32 s2, 0, s2
	s_subb_u32 s3, 0, s3
	s_add_u32 s2, s6, s2
	s_addc_u32 s3, s7, s3
	v_add_nc_u32_e32 v2, 2, v0
	s_clause 0x4
	s_load_dword s8, s[2:3], 0x400
	s_load_dwordx2 s[2:3], s[4:5], 0x0
	s_load_dword s11, s[4:5], 0xacc
	s_load_dwordx2 s[6:7], s[6:7], 0x0
	s_load_dword s4, s[4:5], 0xab8
	s_mov_b32 s5, exec_lo
	s_waitcnt lgkmcnt(0)
	s_mul_i32 s8, s8, s11
	v_cmpx_ge_u32_e64 s9, v2
	s_cbranch_execz .LBB61_5
; %bb.2:
	s_load_dword s0, s[0:1], 0x0
	v_mul_lo_u32 v4, s4, v1
	v_mad_u64_u32 v[2:3], null, s4, v0, s[4:5]
	v_mov_b32_e32 v1, 0
	s_mov_b32 s1, 0
	s_mov_b32 s12, s8
	v_lshlrev_b32_e32 v3, 1, v4
	s_waitcnt lgkmcnt(0)
	s_mul_i32 s0, s0, s10
	s_mul_i32 s11, s0, s4
	s_lshl_b32 s10, s0, 1
	s_lshl_b32 s11, s11, 1
	s_inst_prefetch 0x1
	.p2align	6
.LBB61_3:                               ; =>This Inner Loop Header: Depth=1
	v_lshlrev_b64 v[4:5], 3, v[0:1]
	v_add_nc_u32_e32 v8, s12, v3
	v_mov_b32_e32 v9, v1
	v_add_nc_u32_e32 v0, s10, v0
	v_add_nc_u32_e32 v10, s12, v2
	v_mov_b32_e32 v11, v1
	v_add_co_u32 v4, vcc_lo, s6, v4
	v_add_co_ci_u32_e64 v5, null, s7, v5, vcc_lo
	v_lshlrev_b64 v[8:9], 3, v[8:9]
	v_add_nc_u32_e32 v12, 2, v0
	v_lshlrev_b64 v[10:11], 3, v[10:11]
	global_load_dwordx4 v[4:7], v[4:5], off
	s_add_i32 s12, s12, s11
	v_add_co_u32 v8, s0, s2, v8
	v_cmp_lt_u32_e32 vcc_lo, s9, v12
	v_add_co_ci_u32_e64 v9, null, s3, v9, s0
	v_add_co_u32 v10, s0, s2, v10
	v_add_co_ci_u32_e64 v11, null, s3, v11, s0
	s_or_b32 s1, vcc_lo, s1
	s_waitcnt vmcnt(0)
	global_store_dwordx2 v[8:9], v[4:5], off
	global_store_dwordx2 v[10:11], v[6:7], off
	s_andn2_b32 exec_lo, exec_lo, s1
	s_cbranch_execnz .LBB61_3
; %bb.4:
	s_inst_prefetch 0x2
	s_or_b32 exec_lo, exec_lo, s1
.LBB61_5:
	s_or_b32 exec_lo, exec_lo, s5
	v_cmp_gt_u32_e32 vcc_lo, s9, v0
	s_and_b32 exec_lo, exec_lo, vcc_lo
	s_cbranch_execz .LBB61_8
; %bb.6:
	v_mov_b32_e32 v2, 0
	v_mad_u64_u32 v[5:6], null, v0, s4, s[8:9]
	s_mov_b32 s1, 0
	v_mov_b32_e32 v1, v2
	v_lshlrev_b64 v[3:4], 3, v[0:1]
	v_mov_b32_e32 v1, v5
	v_add_co_u32 v3, vcc_lo, s6, v3
	v_add_co_ci_u32_e64 v4, null, s7, v4, vcc_lo
	.p2align	6
.LBB61_7:                               ; =>This Inner Loop Header: Depth=1
	global_load_dwordx2 v[5:6], v[3:4], off
	v_lshlrev_b64 v[7:8], 3, v[1:2]
	v_add_nc_u32_e32 v0, 1, v0
	v_add_co_u32 v3, vcc_lo, v3, 8
	v_add_co_ci_u32_e64 v4, null, 0, v4, vcc_lo
	v_cmp_le_u32_e32 vcc_lo, s9, v0
	v_add_co_u32 v7, s0, s2, v7
	v_add_co_ci_u32_e64 v8, null, s3, v8, s0
	v_add_nc_u32_e32 v1, s4, v1
	s_or_b32 s1, vcc_lo, s1
	s_waitcnt vmcnt(0)
	global_store_dwordx2 v[7:8], v[5:6], off
	s_andn2_b32 exec_lo, exec_lo, s1
	s_cbranch_execnz .LBB61_7
.LBB61_8:
	s_endpgm
	.section	.rodata,"a",@progbits
	.p2align	6, 0x0
	.amdhsa_kernel _ZN2at6native12_GLOBAL__N_135CatArrayBatchedCopy_alignedK_contigINS1_10OpaqueTypeILj8EEEjLi1ELi128ELi1ELi16EEEvPT_NS1_25CatArrInputTensorMetadataIS5_T0_XT2_EXT3_EEENS1_16TensorSizeStrideIS8_Lj4EEEiS8_
		.amdhsa_group_segment_fixed_size 0
		.amdhsa_private_segment_fixed_size 0
		.amdhsa_kernarg_size 3024
		.amdhsa_user_sgpr_count 6
		.amdhsa_user_sgpr_private_segment_buffer 1
		.amdhsa_user_sgpr_dispatch_ptr 0
		.amdhsa_user_sgpr_queue_ptr 0
		.amdhsa_user_sgpr_kernarg_segment_ptr 1
		.amdhsa_user_sgpr_dispatch_id 0
		.amdhsa_user_sgpr_flat_scratch_init 0
		.amdhsa_user_sgpr_private_segment_size 0
		.amdhsa_wavefront_size32 1
		.amdhsa_uses_dynamic_stack 0
		.amdhsa_system_sgpr_private_segment_wavefront_offset 0
		.amdhsa_system_sgpr_workgroup_id_x 1
		.amdhsa_system_sgpr_workgroup_id_y 1
		.amdhsa_system_sgpr_workgroup_id_z 0
		.amdhsa_system_sgpr_workgroup_info 0
		.amdhsa_system_vgpr_workitem_id 0
		.amdhsa_next_free_vgpr 13
		.amdhsa_next_free_sgpr 14
		.amdhsa_reserve_vcc 1
		.amdhsa_reserve_flat_scratch 0
		.amdhsa_float_round_mode_32 0
		.amdhsa_float_round_mode_16_64 0
		.amdhsa_float_denorm_mode_32 3
		.amdhsa_float_denorm_mode_16_64 3
		.amdhsa_dx10_clamp 1
		.amdhsa_ieee_mode 1
		.amdhsa_fp16_overflow 0
		.amdhsa_workgroup_processor_mode 1
		.amdhsa_memory_ordered 1
		.amdhsa_forward_progress 1
		.amdhsa_shared_vgpr_count 0
		.amdhsa_exception_fp_ieee_invalid_op 0
		.amdhsa_exception_fp_denorm_src 0
		.amdhsa_exception_fp_ieee_div_zero 0
		.amdhsa_exception_fp_ieee_overflow 0
		.amdhsa_exception_fp_ieee_underflow 0
		.amdhsa_exception_fp_ieee_inexact 0
		.amdhsa_exception_int_div_zero 0
	.end_amdhsa_kernel
	.section	.text._ZN2at6native12_GLOBAL__N_135CatArrayBatchedCopy_alignedK_contigINS1_10OpaqueTypeILj8EEEjLi1ELi128ELi1ELi16EEEvPT_NS1_25CatArrInputTensorMetadataIS5_T0_XT2_EXT3_EEENS1_16TensorSizeStrideIS8_Lj4EEEiS8_,"axG",@progbits,_ZN2at6native12_GLOBAL__N_135CatArrayBatchedCopy_alignedK_contigINS1_10OpaqueTypeILj8EEEjLi1ELi128ELi1ELi16EEEvPT_NS1_25CatArrInputTensorMetadataIS5_T0_XT2_EXT3_EEENS1_16TensorSizeStrideIS8_Lj4EEEiS8_,comdat
.Lfunc_end61:
	.size	_ZN2at6native12_GLOBAL__N_135CatArrayBatchedCopy_alignedK_contigINS1_10OpaqueTypeILj8EEEjLi1ELi128ELi1ELi16EEEvPT_NS1_25CatArrInputTensorMetadataIS5_T0_XT2_EXT3_EEENS1_16TensorSizeStrideIS8_Lj4EEEiS8_, .Lfunc_end61-_ZN2at6native12_GLOBAL__N_135CatArrayBatchedCopy_alignedK_contigINS1_10OpaqueTypeILj8EEEjLi1ELi128ELi1ELi16EEEvPT_NS1_25CatArrInputTensorMetadataIS5_T0_XT2_EXT3_EEENS1_16TensorSizeStrideIS8_Lj4EEEiS8_
                                        ; -- End function
	.set _ZN2at6native12_GLOBAL__N_135CatArrayBatchedCopy_alignedK_contigINS1_10OpaqueTypeILj8EEEjLi1ELi128ELi1ELi16EEEvPT_NS1_25CatArrInputTensorMetadataIS5_T0_XT2_EXT3_EEENS1_16TensorSizeStrideIS8_Lj4EEEiS8_.num_vgpr, 13
	.set _ZN2at6native12_GLOBAL__N_135CatArrayBatchedCopy_alignedK_contigINS1_10OpaqueTypeILj8EEEjLi1ELi128ELi1ELi16EEEvPT_NS1_25CatArrInputTensorMetadataIS5_T0_XT2_EXT3_EEENS1_16TensorSizeStrideIS8_Lj4EEEiS8_.num_agpr, 0
	.set _ZN2at6native12_GLOBAL__N_135CatArrayBatchedCopy_alignedK_contigINS1_10OpaqueTypeILj8EEEjLi1ELi128ELi1ELi16EEEvPT_NS1_25CatArrInputTensorMetadataIS5_T0_XT2_EXT3_EEENS1_16TensorSizeStrideIS8_Lj4EEEiS8_.numbered_sgpr, 14
	.set _ZN2at6native12_GLOBAL__N_135CatArrayBatchedCopy_alignedK_contigINS1_10OpaqueTypeILj8EEEjLi1ELi128ELi1ELi16EEEvPT_NS1_25CatArrInputTensorMetadataIS5_T0_XT2_EXT3_EEENS1_16TensorSizeStrideIS8_Lj4EEEiS8_.num_named_barrier, 0
	.set _ZN2at6native12_GLOBAL__N_135CatArrayBatchedCopy_alignedK_contigINS1_10OpaqueTypeILj8EEEjLi1ELi128ELi1ELi16EEEvPT_NS1_25CatArrInputTensorMetadataIS5_T0_XT2_EXT3_EEENS1_16TensorSizeStrideIS8_Lj4EEEiS8_.private_seg_size, 0
	.set _ZN2at6native12_GLOBAL__N_135CatArrayBatchedCopy_alignedK_contigINS1_10OpaqueTypeILj8EEEjLi1ELi128ELi1ELi16EEEvPT_NS1_25CatArrInputTensorMetadataIS5_T0_XT2_EXT3_EEENS1_16TensorSizeStrideIS8_Lj4EEEiS8_.uses_vcc, 1
	.set _ZN2at6native12_GLOBAL__N_135CatArrayBatchedCopy_alignedK_contigINS1_10OpaqueTypeILj8EEEjLi1ELi128ELi1ELi16EEEvPT_NS1_25CatArrInputTensorMetadataIS5_T0_XT2_EXT3_EEENS1_16TensorSizeStrideIS8_Lj4EEEiS8_.uses_flat_scratch, 0
	.set _ZN2at6native12_GLOBAL__N_135CatArrayBatchedCopy_alignedK_contigINS1_10OpaqueTypeILj8EEEjLi1ELi128ELi1ELi16EEEvPT_NS1_25CatArrInputTensorMetadataIS5_T0_XT2_EXT3_EEENS1_16TensorSizeStrideIS8_Lj4EEEiS8_.has_dyn_sized_stack, 0
	.set _ZN2at6native12_GLOBAL__N_135CatArrayBatchedCopy_alignedK_contigINS1_10OpaqueTypeILj8EEEjLi1ELi128ELi1ELi16EEEvPT_NS1_25CatArrInputTensorMetadataIS5_T0_XT2_EXT3_EEENS1_16TensorSizeStrideIS8_Lj4EEEiS8_.has_recursion, 0
	.set _ZN2at6native12_GLOBAL__N_135CatArrayBatchedCopy_alignedK_contigINS1_10OpaqueTypeILj8EEEjLi1ELi128ELi1ELi16EEEvPT_NS1_25CatArrInputTensorMetadataIS5_T0_XT2_EXT3_EEENS1_16TensorSizeStrideIS8_Lj4EEEiS8_.has_indirect_call, 0
	.section	.AMDGPU.csdata,"",@progbits
; Kernel info:
; codeLenInByte = 664
; TotalNumSgprs: 16
; NumVgprs: 13
; ScratchSize: 0
; MemoryBound: 0
; FloatMode: 240
; IeeeMode: 1
; LDSByteSize: 0 bytes/workgroup (compile time only)
; SGPRBlocks: 0
; VGPRBlocks: 1
; NumSGPRsForWavesPerEU: 16
; NumVGPRsForWavesPerEU: 13
; Occupancy: 16
; WaveLimiterHint : 1
; COMPUTE_PGM_RSRC2:SCRATCH_EN: 0
; COMPUTE_PGM_RSRC2:USER_SGPR: 6
; COMPUTE_PGM_RSRC2:TRAP_HANDLER: 0
; COMPUTE_PGM_RSRC2:TGID_X_EN: 1
; COMPUTE_PGM_RSRC2:TGID_Y_EN: 1
; COMPUTE_PGM_RSRC2:TGID_Z_EN: 0
; COMPUTE_PGM_RSRC2:TIDIG_COMP_CNT: 0
	.section	.text._ZN2at6native12_GLOBAL__N_135CatArrayBatchedCopy_alignedK_contigINS1_10OpaqueTypeILj8EEEjLi1ELi128ELi1ELi8EEEvPT_NS1_25CatArrInputTensorMetadataIS5_T0_XT2_EXT3_EEENS1_16TensorSizeStrideIS8_Lj4EEEiS8_,"axG",@progbits,_ZN2at6native12_GLOBAL__N_135CatArrayBatchedCopy_alignedK_contigINS1_10OpaqueTypeILj8EEEjLi1ELi128ELi1ELi8EEEvPT_NS1_25CatArrInputTensorMetadataIS5_T0_XT2_EXT3_EEENS1_16TensorSizeStrideIS8_Lj4EEEiS8_,comdat
	.globl	_ZN2at6native12_GLOBAL__N_135CatArrayBatchedCopy_alignedK_contigINS1_10OpaqueTypeILj8EEEjLi1ELi128ELi1ELi8EEEvPT_NS1_25CatArrInputTensorMetadataIS5_T0_XT2_EXT3_EEENS1_16TensorSizeStrideIS8_Lj4EEEiS8_ ; -- Begin function _ZN2at6native12_GLOBAL__N_135CatArrayBatchedCopy_alignedK_contigINS1_10OpaqueTypeILj8EEEjLi1ELi128ELi1ELi8EEEvPT_NS1_25CatArrInputTensorMetadataIS5_T0_XT2_EXT3_EEENS1_16TensorSizeStrideIS8_Lj4EEEiS8_
	.p2align	8
	.type	_ZN2at6native12_GLOBAL__N_135CatArrayBatchedCopy_alignedK_contigINS1_10OpaqueTypeILj8EEEjLi1ELi128ELi1ELi8EEEvPT_NS1_25CatArrInputTensorMetadataIS5_T0_XT2_EXT3_EEENS1_16TensorSizeStrideIS8_Lj4EEEiS8_,@function
_ZN2at6native12_GLOBAL__N_135CatArrayBatchedCopy_alignedK_contigINS1_10OpaqueTypeILj8EEEjLi1ELi128ELi1ELi8EEEvPT_NS1_25CatArrInputTensorMetadataIS5_T0_XT2_EXT3_EEENS1_16TensorSizeStrideIS8_Lj4EEEiS8_: ; @_ZN2at6native12_GLOBAL__N_135CatArrayBatchedCopy_alignedK_contigINS1_10OpaqueTypeILj8EEEjLi1ELi128ELi1ELi8EEEvPT_NS1_25CatArrInputTensorMetadataIS5_T0_XT2_EXT3_EEENS1_16TensorSizeStrideIS8_Lj4EEEiS8_
; %bb.0:
	s_mov_b32 s0, s7
	s_load_dword s7, s[4:5], 0xadc
	s_mov_b32 s1, 0
	s_add_u32 s2, s4, 0xad0
	s_addc_u32 s3, s5, 0
	s_lshl_b64 s[8:9], s[0:1], 2
	s_mov_b32 s11, exec_lo
	s_waitcnt lgkmcnt(0)
	s_and_b32 s0, s7, 0xffff
	s_add_u32 s12, s4, s8
	s_addc_u32 s13, s5, s9
	v_mad_u64_u32 v[0:1], null, s6, s0, v[0:1]
	s_load_dword s10, s[12:13], 0x808
	s_add_u32 s6, s12, 8
	s_addc_u32 s7, s13, 0
	s_waitcnt lgkmcnt(0)
	v_cmpx_gt_u32_e64 s10, v0
	s_cbranch_execz .LBB62_6
; %bb.1:
	s_add_u32 s12, s6, s8
	s_addc_u32 s13, s7, s9
	s_sub_u32 s8, 0, s8
	s_clause 0x1
	s_load_dwordx2 s[6:7], s[12:13], 0x0
	s_load_dword s11, s[4:5], 0xab8
	s_subb_u32 s9, 0, s9
	s_add_u32 s8, s12, s8
	s_addc_u32 s9, s13, s9
	s_clause 0x1
	s_load_dword s12, s[4:5], 0xacc
	s_load_dword s8, s[8:9], 0x400
	;; [unrolled: 1-line block ×3, first 2 shown]
	s_load_dwordx2 s[2:3], s[4:5], 0x0
	s_waitcnt lgkmcnt(0)
	v_mul_lo_u32 v1, s11, v0
	s_mul_i32 s4, s9, s0
	s_mul_i32 s5, s4, s11
	v_mad_u64_u32 v[2:3], null, s8, s12, v[1:2]
	v_mov_b32_e32 v1, 0
	.p2align	6
.LBB62_2:                               ; =>This Inner Loop Header: Depth=1
	v_lshlrev_b64 v[3:4], 3, v[0:1]
	v_add_nc_u32_e32 v0, s4, v0
	v_add_nc_u32_e32 v8, 1, v0
	v_add_co_u32 v3, vcc_lo, s6, v3
	v_add_co_ci_u32_e64 v4, null, s7, v4, vcc_lo
	v_cmp_lt_u32_e32 vcc_lo, s10, v8
	global_load_dwordx2 v[4:5], v[3:4], off
	v_mov_b32_e32 v3, v1
	s_or_b32 s1, vcc_lo, s1
	v_lshlrev_b64 v[6:7], 3, v[2:3]
	v_add_nc_u32_e32 v2, s5, v2
	v_add_co_u32 v6, s0, s2, v6
	v_add_co_ci_u32_e64 v7, null, s3, v7, s0
	s_waitcnt vmcnt(0)
	global_store_dwordx2 v[6:7], v[4:5], off
	s_andn2_b32 exec_lo, exec_lo, s1
	s_cbranch_execnz .LBB62_2
; %bb.3:
	s_or_b32 exec_lo, exec_lo, s1
	v_cmp_gt_u32_e32 vcc_lo, s10, v0
	s_and_b32 exec_lo, exec_lo, vcc_lo
	s_cbranch_execz .LBB62_6
; %bb.4:
	v_mov_b32_e32 v3, 0
	s_mov_b32 s1, 0
	v_mov_b32_e32 v1, v3
	v_lshlrev_b64 v[4:5], 3, v[0:1]
	v_add_co_u32 v4, vcc_lo, s6, v4
	v_add_co_ci_u32_e64 v5, null, s7, v5, vcc_lo
	.p2align	6
.LBB62_5:                               ; =>This Inner Loop Header: Depth=1
	global_load_dwordx2 v[6:7], v[4:5], off
	v_lshlrev_b64 v[8:9], 3, v[2:3]
	v_add_nc_u32_e32 v0, 1, v0
	v_add_co_u32 v4, vcc_lo, v4, 8
	v_add_co_ci_u32_e64 v5, null, 0, v5, vcc_lo
	v_cmp_le_u32_e32 vcc_lo, s10, v0
	v_add_co_u32 v8, s0, s2, v8
	v_add_co_ci_u32_e64 v9, null, s3, v9, s0
	v_add_nc_u32_e32 v2, s11, v2
	s_or_b32 s1, vcc_lo, s1
	s_waitcnt vmcnt(0)
	global_store_dwordx2 v[8:9], v[6:7], off
	s_andn2_b32 exec_lo, exec_lo, s1
	s_cbranch_execnz .LBB62_5
.LBB62_6:
	s_endpgm
	.section	.rodata,"a",@progbits
	.p2align	6, 0x0
	.amdhsa_kernel _ZN2at6native12_GLOBAL__N_135CatArrayBatchedCopy_alignedK_contigINS1_10OpaqueTypeILj8EEEjLi1ELi128ELi1ELi8EEEvPT_NS1_25CatArrInputTensorMetadataIS5_T0_XT2_EXT3_EEENS1_16TensorSizeStrideIS8_Lj4EEEiS8_
		.amdhsa_group_segment_fixed_size 0
		.amdhsa_private_segment_fixed_size 0
		.amdhsa_kernarg_size 3024
		.amdhsa_user_sgpr_count 6
		.amdhsa_user_sgpr_private_segment_buffer 1
		.amdhsa_user_sgpr_dispatch_ptr 0
		.amdhsa_user_sgpr_queue_ptr 0
		.amdhsa_user_sgpr_kernarg_segment_ptr 1
		.amdhsa_user_sgpr_dispatch_id 0
		.amdhsa_user_sgpr_flat_scratch_init 0
		.amdhsa_user_sgpr_private_segment_size 0
		.amdhsa_wavefront_size32 1
		.amdhsa_uses_dynamic_stack 0
		.amdhsa_system_sgpr_private_segment_wavefront_offset 0
		.amdhsa_system_sgpr_workgroup_id_x 1
		.amdhsa_system_sgpr_workgroup_id_y 1
		.amdhsa_system_sgpr_workgroup_id_z 0
		.amdhsa_system_sgpr_workgroup_info 0
		.amdhsa_system_vgpr_workitem_id 0
		.amdhsa_next_free_vgpr 10
		.amdhsa_next_free_sgpr 14
		.amdhsa_reserve_vcc 1
		.amdhsa_reserve_flat_scratch 0
		.amdhsa_float_round_mode_32 0
		.amdhsa_float_round_mode_16_64 0
		.amdhsa_float_denorm_mode_32 3
		.amdhsa_float_denorm_mode_16_64 3
		.amdhsa_dx10_clamp 1
		.amdhsa_ieee_mode 1
		.amdhsa_fp16_overflow 0
		.amdhsa_workgroup_processor_mode 1
		.amdhsa_memory_ordered 1
		.amdhsa_forward_progress 1
		.amdhsa_shared_vgpr_count 0
		.amdhsa_exception_fp_ieee_invalid_op 0
		.amdhsa_exception_fp_denorm_src 0
		.amdhsa_exception_fp_ieee_div_zero 0
		.amdhsa_exception_fp_ieee_overflow 0
		.amdhsa_exception_fp_ieee_underflow 0
		.amdhsa_exception_fp_ieee_inexact 0
		.amdhsa_exception_int_div_zero 0
	.end_amdhsa_kernel
	.section	.text._ZN2at6native12_GLOBAL__N_135CatArrayBatchedCopy_alignedK_contigINS1_10OpaqueTypeILj8EEEjLi1ELi128ELi1ELi8EEEvPT_NS1_25CatArrInputTensorMetadataIS5_T0_XT2_EXT3_EEENS1_16TensorSizeStrideIS8_Lj4EEEiS8_,"axG",@progbits,_ZN2at6native12_GLOBAL__N_135CatArrayBatchedCopy_alignedK_contigINS1_10OpaqueTypeILj8EEEjLi1ELi128ELi1ELi8EEEvPT_NS1_25CatArrInputTensorMetadataIS5_T0_XT2_EXT3_EEENS1_16TensorSizeStrideIS8_Lj4EEEiS8_,comdat
.Lfunc_end62:
	.size	_ZN2at6native12_GLOBAL__N_135CatArrayBatchedCopy_alignedK_contigINS1_10OpaqueTypeILj8EEEjLi1ELi128ELi1ELi8EEEvPT_NS1_25CatArrInputTensorMetadataIS5_T0_XT2_EXT3_EEENS1_16TensorSizeStrideIS8_Lj4EEEiS8_, .Lfunc_end62-_ZN2at6native12_GLOBAL__N_135CatArrayBatchedCopy_alignedK_contigINS1_10OpaqueTypeILj8EEEjLi1ELi128ELi1ELi8EEEvPT_NS1_25CatArrInputTensorMetadataIS5_T0_XT2_EXT3_EEENS1_16TensorSizeStrideIS8_Lj4EEEiS8_
                                        ; -- End function
	.set _ZN2at6native12_GLOBAL__N_135CatArrayBatchedCopy_alignedK_contigINS1_10OpaqueTypeILj8EEEjLi1ELi128ELi1ELi8EEEvPT_NS1_25CatArrInputTensorMetadataIS5_T0_XT2_EXT3_EEENS1_16TensorSizeStrideIS8_Lj4EEEiS8_.num_vgpr, 10
	.set _ZN2at6native12_GLOBAL__N_135CatArrayBatchedCopy_alignedK_contigINS1_10OpaqueTypeILj8EEEjLi1ELi128ELi1ELi8EEEvPT_NS1_25CatArrInputTensorMetadataIS5_T0_XT2_EXT3_EEENS1_16TensorSizeStrideIS8_Lj4EEEiS8_.num_agpr, 0
	.set _ZN2at6native12_GLOBAL__N_135CatArrayBatchedCopy_alignedK_contigINS1_10OpaqueTypeILj8EEEjLi1ELi128ELi1ELi8EEEvPT_NS1_25CatArrInputTensorMetadataIS5_T0_XT2_EXT3_EEENS1_16TensorSizeStrideIS8_Lj4EEEiS8_.numbered_sgpr, 14
	.set _ZN2at6native12_GLOBAL__N_135CatArrayBatchedCopy_alignedK_contigINS1_10OpaqueTypeILj8EEEjLi1ELi128ELi1ELi8EEEvPT_NS1_25CatArrInputTensorMetadataIS5_T0_XT2_EXT3_EEENS1_16TensorSizeStrideIS8_Lj4EEEiS8_.num_named_barrier, 0
	.set _ZN2at6native12_GLOBAL__N_135CatArrayBatchedCopy_alignedK_contigINS1_10OpaqueTypeILj8EEEjLi1ELi128ELi1ELi8EEEvPT_NS1_25CatArrInputTensorMetadataIS5_T0_XT2_EXT3_EEENS1_16TensorSizeStrideIS8_Lj4EEEiS8_.private_seg_size, 0
	.set _ZN2at6native12_GLOBAL__N_135CatArrayBatchedCopy_alignedK_contigINS1_10OpaqueTypeILj8EEEjLi1ELi128ELi1ELi8EEEvPT_NS1_25CatArrInputTensorMetadataIS5_T0_XT2_EXT3_EEENS1_16TensorSizeStrideIS8_Lj4EEEiS8_.uses_vcc, 1
	.set _ZN2at6native12_GLOBAL__N_135CatArrayBatchedCopy_alignedK_contigINS1_10OpaqueTypeILj8EEEjLi1ELi128ELi1ELi8EEEvPT_NS1_25CatArrInputTensorMetadataIS5_T0_XT2_EXT3_EEENS1_16TensorSizeStrideIS8_Lj4EEEiS8_.uses_flat_scratch, 0
	.set _ZN2at6native12_GLOBAL__N_135CatArrayBatchedCopy_alignedK_contigINS1_10OpaqueTypeILj8EEEjLi1ELi128ELi1ELi8EEEvPT_NS1_25CatArrInputTensorMetadataIS5_T0_XT2_EXT3_EEENS1_16TensorSizeStrideIS8_Lj4EEEiS8_.has_dyn_sized_stack, 0
	.set _ZN2at6native12_GLOBAL__N_135CatArrayBatchedCopy_alignedK_contigINS1_10OpaqueTypeILj8EEEjLi1ELi128ELi1ELi8EEEvPT_NS1_25CatArrInputTensorMetadataIS5_T0_XT2_EXT3_EEENS1_16TensorSizeStrideIS8_Lj4EEEiS8_.has_recursion, 0
	.set _ZN2at6native12_GLOBAL__N_135CatArrayBatchedCopy_alignedK_contigINS1_10OpaqueTypeILj8EEEjLi1ELi128ELi1ELi8EEEvPT_NS1_25CatArrInputTensorMetadataIS5_T0_XT2_EXT3_EEENS1_16TensorSizeStrideIS8_Lj4EEEiS8_.has_indirect_call, 0
	.section	.AMDGPU.csdata,"",@progbits
; Kernel info:
; codeLenInByte = 536
; TotalNumSgprs: 16
; NumVgprs: 10
; ScratchSize: 0
; MemoryBound: 0
; FloatMode: 240
; IeeeMode: 1
; LDSByteSize: 0 bytes/workgroup (compile time only)
; SGPRBlocks: 0
; VGPRBlocks: 1
; NumSGPRsForWavesPerEU: 16
; NumVGPRsForWavesPerEU: 10
; Occupancy: 16
; WaveLimiterHint : 1
; COMPUTE_PGM_RSRC2:SCRATCH_EN: 0
; COMPUTE_PGM_RSRC2:USER_SGPR: 6
; COMPUTE_PGM_RSRC2:TRAP_HANDLER: 0
; COMPUTE_PGM_RSRC2:TGID_X_EN: 1
; COMPUTE_PGM_RSRC2:TGID_Y_EN: 1
; COMPUTE_PGM_RSRC2:TGID_Z_EN: 0
; COMPUTE_PGM_RSRC2:TIDIG_COMP_CNT: 0
	.section	.text._ZN2at6native12_GLOBAL__N_126CatArrayBatchedCopy_contigINS1_10OpaqueTypeILj8EEEjLi1ELi128ELi1EEEvPT_NS1_25CatArrInputTensorMetadataIS5_T0_XT2_EXT3_EEENS1_16TensorSizeStrideIS8_Lj4EEEiS8_,"axG",@progbits,_ZN2at6native12_GLOBAL__N_126CatArrayBatchedCopy_contigINS1_10OpaqueTypeILj8EEEjLi1ELi128ELi1EEEvPT_NS1_25CatArrInputTensorMetadataIS5_T0_XT2_EXT3_EEENS1_16TensorSizeStrideIS8_Lj4EEEiS8_,comdat
	.globl	_ZN2at6native12_GLOBAL__N_126CatArrayBatchedCopy_contigINS1_10OpaqueTypeILj8EEEjLi1ELi128ELi1EEEvPT_NS1_25CatArrInputTensorMetadataIS5_T0_XT2_EXT3_EEENS1_16TensorSizeStrideIS8_Lj4EEEiS8_ ; -- Begin function _ZN2at6native12_GLOBAL__N_126CatArrayBatchedCopy_contigINS1_10OpaqueTypeILj8EEEjLi1ELi128ELi1EEEvPT_NS1_25CatArrInputTensorMetadataIS5_T0_XT2_EXT3_EEENS1_16TensorSizeStrideIS8_Lj4EEEiS8_
	.p2align	8
	.type	_ZN2at6native12_GLOBAL__N_126CatArrayBatchedCopy_contigINS1_10OpaqueTypeILj8EEEjLi1ELi128ELi1EEEvPT_NS1_25CatArrInputTensorMetadataIS5_T0_XT2_EXT3_EEENS1_16TensorSizeStrideIS8_Lj4EEEiS8_,@function
_ZN2at6native12_GLOBAL__N_126CatArrayBatchedCopy_contigINS1_10OpaqueTypeILj8EEEjLi1ELi128ELi1EEEvPT_NS1_25CatArrInputTensorMetadataIS5_T0_XT2_EXT3_EEENS1_16TensorSizeStrideIS8_Lj4EEEiS8_: ; @_ZN2at6native12_GLOBAL__N_126CatArrayBatchedCopy_contigINS1_10OpaqueTypeILj8EEEjLi1ELi128ELi1EEEvPT_NS1_25CatArrInputTensorMetadataIS5_T0_XT2_EXT3_EEENS1_16TensorSizeStrideIS8_Lj4EEEiS8_
; %bb.0:
	s_load_dword s2, s[4:5], 0xadc
	s_mov_b32 s0, s7
	s_mov_b32 s1, 0
	s_add_u32 s8, s4, 0xad0
	s_addc_u32 s9, s5, 0
	s_lshl_b64 s[10:11], s[0:1], 2
	s_waitcnt lgkmcnt(0)
	s_and_b32 s0, s2, 0xffff
	s_add_u32 s2, s4, s10
	s_addc_u32 s3, s5, s11
	v_mad_u64_u32 v[0:1], null, s6, s0, v[0:1]
	s_load_dword s7, s[2:3], 0x808
	s_add_u32 s2, s2, 8
	s_addc_u32 s3, s3, 0
	s_mov_b32 s6, exec_lo
	s_waitcnt lgkmcnt(0)
	v_cmpx_gt_u32_e64 s7, v0
	s_cbranch_execz .LBB63_3
; %bb.1:
	s_add_u32 s12, s2, s10
	s_addc_u32 s13, s3, s11
	s_sub_u32 s6, 0, s10
	s_clause 0x1
	s_load_dwordx2 s[2:3], s[12:13], 0x0
	s_load_dword s14, s[4:5], 0xab8
	s_subb_u32 s11, 0, s11
	s_add_u32 s10, s12, s6
	s_addc_u32 s11, s13, s11
	s_clause 0x1
	s_load_dword s6, s[4:5], 0xacc
	s_load_dword s10, s[10:11], 0x400
	;; [unrolled: 1-line block ×3, first 2 shown]
	s_load_dwordx2 s[4:5], s[4:5], 0x0
	s_waitcnt lgkmcnt(0)
	v_mul_lo_u32 v1, s14, v0
	v_mad_u64_u32 v[2:3], null, s10, s6, v[1:2]
	v_mov_b32_e32 v1, 0
	s_mul_i32 s6, s8, s0
	s_mul_i32 s8, s6, s14
	.p2align	6
.LBB63_2:                               ; =>This Inner Loop Header: Depth=1
	v_lshlrev_b64 v[3:4], 3, v[0:1]
	v_add_nc_u32_e32 v0, s6, v0
	v_add_co_u32 v3, vcc_lo, s2, v3
	v_add_co_ci_u32_e64 v4, null, s3, v4, vcc_lo
	v_cmp_le_u32_e32 vcc_lo, s7, v0
	global_load_dwordx2 v[4:5], v[3:4], off
	v_mov_b32_e32 v3, v1
	s_or_b32 s1, vcc_lo, s1
	v_lshlrev_b64 v[6:7], 3, v[2:3]
	v_add_nc_u32_e32 v2, s8, v2
	v_add_co_u32 v6, s0, s4, v6
	v_add_co_ci_u32_e64 v7, null, s5, v7, s0
	s_waitcnt vmcnt(0)
	global_store_dwordx2 v[6:7], v[4:5], off
	s_andn2_b32 exec_lo, exec_lo, s1
	s_cbranch_execnz .LBB63_2
.LBB63_3:
	s_endpgm
	.section	.rodata,"a",@progbits
	.p2align	6, 0x0
	.amdhsa_kernel _ZN2at6native12_GLOBAL__N_126CatArrayBatchedCopy_contigINS1_10OpaqueTypeILj8EEEjLi1ELi128ELi1EEEvPT_NS1_25CatArrInputTensorMetadataIS5_T0_XT2_EXT3_EEENS1_16TensorSizeStrideIS8_Lj4EEEiS8_
		.amdhsa_group_segment_fixed_size 0
		.amdhsa_private_segment_fixed_size 0
		.amdhsa_kernarg_size 3024
		.amdhsa_user_sgpr_count 6
		.amdhsa_user_sgpr_private_segment_buffer 1
		.amdhsa_user_sgpr_dispatch_ptr 0
		.amdhsa_user_sgpr_queue_ptr 0
		.amdhsa_user_sgpr_kernarg_segment_ptr 1
		.amdhsa_user_sgpr_dispatch_id 0
		.amdhsa_user_sgpr_flat_scratch_init 0
		.amdhsa_user_sgpr_private_segment_size 0
		.amdhsa_wavefront_size32 1
		.amdhsa_uses_dynamic_stack 0
		.amdhsa_system_sgpr_private_segment_wavefront_offset 0
		.amdhsa_system_sgpr_workgroup_id_x 1
		.amdhsa_system_sgpr_workgroup_id_y 1
		.amdhsa_system_sgpr_workgroup_id_z 0
		.amdhsa_system_sgpr_workgroup_info 0
		.amdhsa_system_vgpr_workitem_id 0
		.amdhsa_next_free_vgpr 8
		.amdhsa_next_free_sgpr 15
		.amdhsa_reserve_vcc 1
		.amdhsa_reserve_flat_scratch 0
		.amdhsa_float_round_mode_32 0
		.amdhsa_float_round_mode_16_64 0
		.amdhsa_float_denorm_mode_32 3
		.amdhsa_float_denorm_mode_16_64 3
		.amdhsa_dx10_clamp 1
		.amdhsa_ieee_mode 1
		.amdhsa_fp16_overflow 0
		.amdhsa_workgroup_processor_mode 1
		.amdhsa_memory_ordered 1
		.amdhsa_forward_progress 1
		.amdhsa_shared_vgpr_count 0
		.amdhsa_exception_fp_ieee_invalid_op 0
		.amdhsa_exception_fp_denorm_src 0
		.amdhsa_exception_fp_ieee_div_zero 0
		.amdhsa_exception_fp_ieee_overflow 0
		.amdhsa_exception_fp_ieee_underflow 0
		.amdhsa_exception_fp_ieee_inexact 0
		.amdhsa_exception_int_div_zero 0
	.end_amdhsa_kernel
	.section	.text._ZN2at6native12_GLOBAL__N_126CatArrayBatchedCopy_contigINS1_10OpaqueTypeILj8EEEjLi1ELi128ELi1EEEvPT_NS1_25CatArrInputTensorMetadataIS5_T0_XT2_EXT3_EEENS1_16TensorSizeStrideIS8_Lj4EEEiS8_,"axG",@progbits,_ZN2at6native12_GLOBAL__N_126CatArrayBatchedCopy_contigINS1_10OpaqueTypeILj8EEEjLi1ELi128ELi1EEEvPT_NS1_25CatArrInputTensorMetadataIS5_T0_XT2_EXT3_EEENS1_16TensorSizeStrideIS8_Lj4EEEiS8_,comdat
.Lfunc_end63:
	.size	_ZN2at6native12_GLOBAL__N_126CatArrayBatchedCopy_contigINS1_10OpaqueTypeILj8EEEjLi1ELi128ELi1EEEvPT_NS1_25CatArrInputTensorMetadataIS5_T0_XT2_EXT3_EEENS1_16TensorSizeStrideIS8_Lj4EEEiS8_, .Lfunc_end63-_ZN2at6native12_GLOBAL__N_126CatArrayBatchedCopy_contigINS1_10OpaqueTypeILj8EEEjLi1ELi128ELi1EEEvPT_NS1_25CatArrInputTensorMetadataIS5_T0_XT2_EXT3_EEENS1_16TensorSizeStrideIS8_Lj4EEEiS8_
                                        ; -- End function
	.set _ZN2at6native12_GLOBAL__N_126CatArrayBatchedCopy_contigINS1_10OpaqueTypeILj8EEEjLi1ELi128ELi1EEEvPT_NS1_25CatArrInputTensorMetadataIS5_T0_XT2_EXT3_EEENS1_16TensorSizeStrideIS8_Lj4EEEiS8_.num_vgpr, 8
	.set _ZN2at6native12_GLOBAL__N_126CatArrayBatchedCopy_contigINS1_10OpaqueTypeILj8EEEjLi1ELi128ELi1EEEvPT_NS1_25CatArrInputTensorMetadataIS5_T0_XT2_EXT3_EEENS1_16TensorSizeStrideIS8_Lj4EEEiS8_.num_agpr, 0
	.set _ZN2at6native12_GLOBAL__N_126CatArrayBatchedCopy_contigINS1_10OpaqueTypeILj8EEEjLi1ELi128ELi1EEEvPT_NS1_25CatArrInputTensorMetadataIS5_T0_XT2_EXT3_EEENS1_16TensorSizeStrideIS8_Lj4EEEiS8_.numbered_sgpr, 15
	.set _ZN2at6native12_GLOBAL__N_126CatArrayBatchedCopy_contigINS1_10OpaqueTypeILj8EEEjLi1ELi128ELi1EEEvPT_NS1_25CatArrInputTensorMetadataIS5_T0_XT2_EXT3_EEENS1_16TensorSizeStrideIS8_Lj4EEEiS8_.num_named_barrier, 0
	.set _ZN2at6native12_GLOBAL__N_126CatArrayBatchedCopy_contigINS1_10OpaqueTypeILj8EEEjLi1ELi128ELi1EEEvPT_NS1_25CatArrInputTensorMetadataIS5_T0_XT2_EXT3_EEENS1_16TensorSizeStrideIS8_Lj4EEEiS8_.private_seg_size, 0
	.set _ZN2at6native12_GLOBAL__N_126CatArrayBatchedCopy_contigINS1_10OpaqueTypeILj8EEEjLi1ELi128ELi1EEEvPT_NS1_25CatArrInputTensorMetadataIS5_T0_XT2_EXT3_EEENS1_16TensorSizeStrideIS8_Lj4EEEiS8_.uses_vcc, 1
	.set _ZN2at6native12_GLOBAL__N_126CatArrayBatchedCopy_contigINS1_10OpaqueTypeILj8EEEjLi1ELi128ELi1EEEvPT_NS1_25CatArrInputTensorMetadataIS5_T0_XT2_EXT3_EEENS1_16TensorSizeStrideIS8_Lj4EEEiS8_.uses_flat_scratch, 0
	.set _ZN2at6native12_GLOBAL__N_126CatArrayBatchedCopy_contigINS1_10OpaqueTypeILj8EEEjLi1ELi128ELi1EEEvPT_NS1_25CatArrInputTensorMetadataIS5_T0_XT2_EXT3_EEENS1_16TensorSizeStrideIS8_Lj4EEEiS8_.has_dyn_sized_stack, 0
	.set _ZN2at6native12_GLOBAL__N_126CatArrayBatchedCopy_contigINS1_10OpaqueTypeILj8EEEjLi1ELi128ELi1EEEvPT_NS1_25CatArrInputTensorMetadataIS5_T0_XT2_EXT3_EEENS1_16TensorSizeStrideIS8_Lj4EEEiS8_.has_recursion, 0
	.set _ZN2at6native12_GLOBAL__N_126CatArrayBatchedCopy_contigINS1_10OpaqueTypeILj8EEEjLi1ELi128ELi1EEEvPT_NS1_25CatArrInputTensorMetadataIS5_T0_XT2_EXT3_EEENS1_16TensorSizeStrideIS8_Lj4EEEiS8_.has_indirect_call, 0
	.section	.AMDGPU.csdata,"",@progbits
; Kernel info:
; codeLenInByte = 356
; TotalNumSgprs: 17
; NumVgprs: 8
; ScratchSize: 0
; MemoryBound: 0
; FloatMode: 240
; IeeeMode: 1
; LDSByteSize: 0 bytes/workgroup (compile time only)
; SGPRBlocks: 0
; VGPRBlocks: 0
; NumSGPRsForWavesPerEU: 17
; NumVGPRsForWavesPerEU: 8
; Occupancy: 16
; WaveLimiterHint : 1
; COMPUTE_PGM_RSRC2:SCRATCH_EN: 0
; COMPUTE_PGM_RSRC2:USER_SGPR: 6
; COMPUTE_PGM_RSRC2:TRAP_HANDLER: 0
; COMPUTE_PGM_RSRC2:TGID_X_EN: 1
; COMPUTE_PGM_RSRC2:TGID_Y_EN: 1
; COMPUTE_PGM_RSRC2:TGID_Z_EN: 0
; COMPUTE_PGM_RSRC2:TIDIG_COMP_CNT: 0
	.section	.text._ZN2at6native12_GLOBAL__N_119CatArrayBatchedCopyINS1_10OpaqueTypeILj8EEEjLi1ELi128ELi1EEEvPT_NS1_25CatArrInputTensorMetadataIS5_T0_XT2_EXT3_EEENS1_16TensorSizeStrideIS8_Lj4EEEiS8_,"axG",@progbits,_ZN2at6native12_GLOBAL__N_119CatArrayBatchedCopyINS1_10OpaqueTypeILj8EEEjLi1ELi128ELi1EEEvPT_NS1_25CatArrInputTensorMetadataIS5_T0_XT2_EXT3_EEENS1_16TensorSizeStrideIS8_Lj4EEEiS8_,comdat
	.globl	_ZN2at6native12_GLOBAL__N_119CatArrayBatchedCopyINS1_10OpaqueTypeILj8EEEjLi1ELi128ELi1EEEvPT_NS1_25CatArrInputTensorMetadataIS5_T0_XT2_EXT3_EEENS1_16TensorSizeStrideIS8_Lj4EEEiS8_ ; -- Begin function _ZN2at6native12_GLOBAL__N_119CatArrayBatchedCopyINS1_10OpaqueTypeILj8EEEjLi1ELi128ELi1EEEvPT_NS1_25CatArrInputTensorMetadataIS5_T0_XT2_EXT3_EEENS1_16TensorSizeStrideIS8_Lj4EEEiS8_
	.p2align	8
	.type	_ZN2at6native12_GLOBAL__N_119CatArrayBatchedCopyINS1_10OpaqueTypeILj8EEEjLi1ELi128ELi1EEEvPT_NS1_25CatArrInputTensorMetadataIS5_T0_XT2_EXT3_EEENS1_16TensorSizeStrideIS8_Lj4EEEiS8_,@function
_ZN2at6native12_GLOBAL__N_119CatArrayBatchedCopyINS1_10OpaqueTypeILj8EEEjLi1ELi128ELi1EEEvPT_NS1_25CatArrInputTensorMetadataIS5_T0_XT2_EXT3_EEENS1_16TensorSizeStrideIS8_Lj4EEEiS8_: ; @_ZN2at6native12_GLOBAL__N_119CatArrayBatchedCopyINS1_10OpaqueTypeILj8EEEjLi1ELi128ELi1EEEvPT_NS1_25CatArrInputTensorMetadataIS5_T0_XT2_EXT3_EEENS1_16TensorSizeStrideIS8_Lj4EEEiS8_
; %bb.0:
	s_mov_b32 s0, s7
	s_load_dword s7, s[4:5], 0xadc
	s_or_b32 s8, s4, 8
	s_mov_b32 s1, 0
	s_add_u32 s2, s4, 0xad0
	s_addc_u32 s3, s5, 0
	s_lshl_b64 s[10:11], s[0:1], 2
	s_waitcnt lgkmcnt(0)
	s_and_b32 s14, s7, 0xffff
	s_add_u32 s12, s8, s10
	s_addc_u32 s13, s5, s11
	v_mad_u64_u32 v[0:1], null, s6, s14, v[0:1]
	s_load_dword s7, s[12:13], 0x800
	s_mov_b32 s6, exec_lo
	s_waitcnt lgkmcnt(0)
	v_cmpx_gt_u32_e64 s7, v0
	s_cbranch_execz .LBB64_3
; %bb.1:
	v_mov_b32_e32 v1, 0x800
	s_add_u32 s16, s8, s0
	s_addc_u32 s17, s5, 0
	s_mov_b32 s9, s5
	global_load_ubyte v1, v1, s[16:17] offset:512
	s_clause 0x1
	s_load_dword s6, s[8:9], 0xa90
	s_load_dword s15, s[4:5], 0xab8
	s_waitcnt lgkmcnt(0)
	v_mul_lo_u32 v2, s15, v0
	s_waitcnt vmcnt(0)
	v_readfirstlane_b32 s0, v1
	s_and_b32 s0, 1, s0
	s_add_u32 s8, s12, s10
	s_addc_u32 s9, s13, s11
	s_sub_u32 s10, 0, s10
	s_subb_u32 s11, 0, s11
	s_add_u32 s10, s8, s10
	s_addc_u32 s11, s9, s11
	s_clause 0x1
	s_load_dword s12, s[4:5], 0xacc
	s_load_dword s10, s[10:11], 0x400
	;; [unrolled: 1-line block ×3, first 2 shown]
	s_clause 0x1
	s_load_dwordx2 s[2:3], s[4:5], 0x0
	s_load_dwordx2 s[4:5], s[8:9], 0x0
	s_cmp_eq_u32 s0, 1
	s_cselect_b32 s0, 1, s6
	v_mul_lo_u32 v1, s0, v0
	s_waitcnt lgkmcnt(0)
	v_mad_u64_u32 v[3:4], null, s10, s12, v[2:3]
	v_mov_b32_e32 v2, 0
	s_mul_i32 s6, s11, s14
	s_mul_i32 s8, s6, s0
	;; [unrolled: 1-line block ×3, first 2 shown]
	.p2align	6
.LBB64_2:                               ; =>This Inner Loop Header: Depth=1
	v_lshlrev_b64 v[4:5], 3, v[1:2]
	v_add_nc_u32_e32 v0, s6, v0
	v_add_nc_u32_e32 v1, s8, v1
	v_add_co_u32 v4, vcc_lo, s4, v4
	v_add_co_ci_u32_e64 v5, null, s5, v5, vcc_lo
	v_cmp_le_u32_e32 vcc_lo, s7, v0
	global_load_dwordx2 v[5:6], v[4:5], off
	v_mov_b32_e32 v4, v2
	s_or_b32 s1, vcc_lo, s1
	v_lshlrev_b64 v[7:8], 3, v[3:4]
	v_add_nc_u32_e32 v3, s9, v3
	v_add_co_u32 v7, s0, s2, v7
	v_add_co_ci_u32_e64 v8, null, s3, v8, s0
	s_waitcnt vmcnt(0)
	global_store_dwordx2 v[7:8], v[5:6], off
	s_andn2_b32 exec_lo, exec_lo, s1
	s_cbranch_execnz .LBB64_2
.LBB64_3:
	s_endpgm
	.section	.rodata,"a",@progbits
	.p2align	6, 0x0
	.amdhsa_kernel _ZN2at6native12_GLOBAL__N_119CatArrayBatchedCopyINS1_10OpaqueTypeILj8EEEjLi1ELi128ELi1EEEvPT_NS1_25CatArrInputTensorMetadataIS5_T0_XT2_EXT3_EEENS1_16TensorSizeStrideIS8_Lj4EEEiS8_
		.amdhsa_group_segment_fixed_size 0
		.amdhsa_private_segment_fixed_size 0
		.amdhsa_kernarg_size 3024
		.amdhsa_user_sgpr_count 6
		.amdhsa_user_sgpr_private_segment_buffer 1
		.amdhsa_user_sgpr_dispatch_ptr 0
		.amdhsa_user_sgpr_queue_ptr 0
		.amdhsa_user_sgpr_kernarg_segment_ptr 1
		.amdhsa_user_sgpr_dispatch_id 0
		.amdhsa_user_sgpr_flat_scratch_init 0
		.amdhsa_user_sgpr_private_segment_size 0
		.amdhsa_wavefront_size32 1
		.amdhsa_uses_dynamic_stack 0
		.amdhsa_system_sgpr_private_segment_wavefront_offset 0
		.amdhsa_system_sgpr_workgroup_id_x 1
		.amdhsa_system_sgpr_workgroup_id_y 1
		.amdhsa_system_sgpr_workgroup_id_z 0
		.amdhsa_system_sgpr_workgroup_info 0
		.amdhsa_system_vgpr_workitem_id 0
		.amdhsa_next_free_vgpr 9
		.amdhsa_next_free_sgpr 18
		.amdhsa_reserve_vcc 1
		.amdhsa_reserve_flat_scratch 0
		.amdhsa_float_round_mode_32 0
		.amdhsa_float_round_mode_16_64 0
		.amdhsa_float_denorm_mode_32 3
		.amdhsa_float_denorm_mode_16_64 3
		.amdhsa_dx10_clamp 1
		.amdhsa_ieee_mode 1
		.amdhsa_fp16_overflow 0
		.amdhsa_workgroup_processor_mode 1
		.amdhsa_memory_ordered 1
		.amdhsa_forward_progress 1
		.amdhsa_shared_vgpr_count 0
		.amdhsa_exception_fp_ieee_invalid_op 0
		.amdhsa_exception_fp_denorm_src 0
		.amdhsa_exception_fp_ieee_div_zero 0
		.amdhsa_exception_fp_ieee_overflow 0
		.amdhsa_exception_fp_ieee_underflow 0
		.amdhsa_exception_fp_ieee_inexact 0
		.amdhsa_exception_int_div_zero 0
	.end_amdhsa_kernel
	.section	.text._ZN2at6native12_GLOBAL__N_119CatArrayBatchedCopyINS1_10OpaqueTypeILj8EEEjLi1ELi128ELi1EEEvPT_NS1_25CatArrInputTensorMetadataIS5_T0_XT2_EXT3_EEENS1_16TensorSizeStrideIS8_Lj4EEEiS8_,"axG",@progbits,_ZN2at6native12_GLOBAL__N_119CatArrayBatchedCopyINS1_10OpaqueTypeILj8EEEjLi1ELi128ELi1EEEvPT_NS1_25CatArrInputTensorMetadataIS5_T0_XT2_EXT3_EEENS1_16TensorSizeStrideIS8_Lj4EEEiS8_,comdat
.Lfunc_end64:
	.size	_ZN2at6native12_GLOBAL__N_119CatArrayBatchedCopyINS1_10OpaqueTypeILj8EEEjLi1ELi128ELi1EEEvPT_NS1_25CatArrInputTensorMetadataIS5_T0_XT2_EXT3_EEENS1_16TensorSizeStrideIS8_Lj4EEEiS8_, .Lfunc_end64-_ZN2at6native12_GLOBAL__N_119CatArrayBatchedCopyINS1_10OpaqueTypeILj8EEEjLi1ELi128ELi1EEEvPT_NS1_25CatArrInputTensorMetadataIS5_T0_XT2_EXT3_EEENS1_16TensorSizeStrideIS8_Lj4EEEiS8_
                                        ; -- End function
	.set _ZN2at6native12_GLOBAL__N_119CatArrayBatchedCopyINS1_10OpaqueTypeILj8EEEjLi1ELi128ELi1EEEvPT_NS1_25CatArrInputTensorMetadataIS5_T0_XT2_EXT3_EEENS1_16TensorSizeStrideIS8_Lj4EEEiS8_.num_vgpr, 9
	.set _ZN2at6native12_GLOBAL__N_119CatArrayBatchedCopyINS1_10OpaqueTypeILj8EEEjLi1ELi128ELi1EEEvPT_NS1_25CatArrInputTensorMetadataIS5_T0_XT2_EXT3_EEENS1_16TensorSizeStrideIS8_Lj4EEEiS8_.num_agpr, 0
	.set _ZN2at6native12_GLOBAL__N_119CatArrayBatchedCopyINS1_10OpaqueTypeILj8EEEjLi1ELi128ELi1EEEvPT_NS1_25CatArrInputTensorMetadataIS5_T0_XT2_EXT3_EEENS1_16TensorSizeStrideIS8_Lj4EEEiS8_.numbered_sgpr, 18
	.set _ZN2at6native12_GLOBAL__N_119CatArrayBatchedCopyINS1_10OpaqueTypeILj8EEEjLi1ELi128ELi1EEEvPT_NS1_25CatArrInputTensorMetadataIS5_T0_XT2_EXT3_EEENS1_16TensorSizeStrideIS8_Lj4EEEiS8_.num_named_barrier, 0
	.set _ZN2at6native12_GLOBAL__N_119CatArrayBatchedCopyINS1_10OpaqueTypeILj8EEEjLi1ELi128ELi1EEEvPT_NS1_25CatArrInputTensorMetadataIS5_T0_XT2_EXT3_EEENS1_16TensorSizeStrideIS8_Lj4EEEiS8_.private_seg_size, 0
	.set _ZN2at6native12_GLOBAL__N_119CatArrayBatchedCopyINS1_10OpaqueTypeILj8EEEjLi1ELi128ELi1EEEvPT_NS1_25CatArrInputTensorMetadataIS5_T0_XT2_EXT3_EEENS1_16TensorSizeStrideIS8_Lj4EEEiS8_.uses_vcc, 1
	.set _ZN2at6native12_GLOBAL__N_119CatArrayBatchedCopyINS1_10OpaqueTypeILj8EEEjLi1ELi128ELi1EEEvPT_NS1_25CatArrInputTensorMetadataIS5_T0_XT2_EXT3_EEENS1_16TensorSizeStrideIS8_Lj4EEEiS8_.uses_flat_scratch, 0
	.set _ZN2at6native12_GLOBAL__N_119CatArrayBatchedCopyINS1_10OpaqueTypeILj8EEEjLi1ELi128ELi1EEEvPT_NS1_25CatArrInputTensorMetadataIS5_T0_XT2_EXT3_EEENS1_16TensorSizeStrideIS8_Lj4EEEiS8_.has_dyn_sized_stack, 0
	.set _ZN2at6native12_GLOBAL__N_119CatArrayBatchedCopyINS1_10OpaqueTypeILj8EEEjLi1ELi128ELi1EEEvPT_NS1_25CatArrInputTensorMetadataIS5_T0_XT2_EXT3_EEENS1_16TensorSizeStrideIS8_Lj4EEEiS8_.has_recursion, 0
	.set _ZN2at6native12_GLOBAL__N_119CatArrayBatchedCopyINS1_10OpaqueTypeILj8EEEjLi1ELi128ELi1EEEvPT_NS1_25CatArrInputTensorMetadataIS5_T0_XT2_EXT3_EEENS1_16TensorSizeStrideIS8_Lj4EEEiS8_.has_indirect_call, 0
	.section	.AMDGPU.csdata,"",@progbits
; Kernel info:
; codeLenInByte = 424
; TotalNumSgprs: 20
; NumVgprs: 9
; ScratchSize: 0
; MemoryBound: 0
; FloatMode: 240
; IeeeMode: 1
; LDSByteSize: 0 bytes/workgroup (compile time only)
; SGPRBlocks: 0
; VGPRBlocks: 1
; NumSGPRsForWavesPerEU: 20
; NumVGPRsForWavesPerEU: 9
; Occupancy: 16
; WaveLimiterHint : 1
; COMPUTE_PGM_RSRC2:SCRATCH_EN: 0
; COMPUTE_PGM_RSRC2:USER_SGPR: 6
; COMPUTE_PGM_RSRC2:TRAP_HANDLER: 0
; COMPUTE_PGM_RSRC2:TGID_X_EN: 1
; COMPUTE_PGM_RSRC2:TGID_Y_EN: 1
; COMPUTE_PGM_RSRC2:TGID_Z_EN: 0
; COMPUTE_PGM_RSRC2:TIDIG_COMP_CNT: 0
	.section	.text._ZN2at6native12_GLOBAL__N_130CatArrayBatchedCopy_vectorizedINS1_10OpaqueTypeILj8EEEjLi2ELi128ELi1ELi16ELi2EEEvPcNS1_25CatArrInputTensorMetadataIT_T0_XT2_EXT3_EEENS1_16TensorSizeStrideIS8_Lj4EEEiS8_,"axG",@progbits,_ZN2at6native12_GLOBAL__N_130CatArrayBatchedCopy_vectorizedINS1_10OpaqueTypeILj8EEEjLi2ELi128ELi1ELi16ELi2EEEvPcNS1_25CatArrInputTensorMetadataIT_T0_XT2_EXT3_EEENS1_16TensorSizeStrideIS8_Lj4EEEiS8_,comdat
	.globl	_ZN2at6native12_GLOBAL__N_130CatArrayBatchedCopy_vectorizedINS1_10OpaqueTypeILj8EEEjLi2ELi128ELi1ELi16ELi2EEEvPcNS1_25CatArrInputTensorMetadataIT_T0_XT2_EXT3_EEENS1_16TensorSizeStrideIS8_Lj4EEEiS8_ ; -- Begin function _ZN2at6native12_GLOBAL__N_130CatArrayBatchedCopy_vectorizedINS1_10OpaqueTypeILj8EEEjLi2ELi128ELi1ELi16ELi2EEEvPcNS1_25CatArrInputTensorMetadataIT_T0_XT2_EXT3_EEENS1_16TensorSizeStrideIS8_Lj4EEEiS8_
	.p2align	8
	.type	_ZN2at6native12_GLOBAL__N_130CatArrayBatchedCopy_vectorizedINS1_10OpaqueTypeILj8EEEjLi2ELi128ELi1ELi16ELi2EEEvPcNS1_25CatArrInputTensorMetadataIT_T0_XT2_EXT3_EEENS1_16TensorSizeStrideIS8_Lj4EEEiS8_,@function
_ZN2at6native12_GLOBAL__N_130CatArrayBatchedCopy_vectorizedINS1_10OpaqueTypeILj8EEEjLi2ELi128ELi1ELi16ELi2EEEvPcNS1_25CatArrInputTensorMetadataIT_T0_XT2_EXT3_EEENS1_16TensorSizeStrideIS8_Lj4EEEiS8_: ; @_ZN2at6native12_GLOBAL__N_130CatArrayBatchedCopy_vectorizedINS1_10OpaqueTypeILj8EEEjLi2ELi128ELi1ELi16ELi2EEEvPcNS1_25CatArrInputTensorMetadataIT_T0_XT2_EXT3_EEENS1_16TensorSizeStrideIS8_Lj4EEEiS8_
; %bb.0:
	s_mov_b32 s0, s7
	s_load_dword s7, s[4:5], 0xadc
	s_mov_b32 s1, 0
	s_add_u32 s8, s4, 0xad0
	s_addc_u32 s9, s5, 0
	s_lshl_b64 s[2:3], s[0:1], 2
	s_waitcnt lgkmcnt(0)
	s_and_b32 s13, s7, 0xffff
	s_add_u32 s10, s4, s2
	s_addc_u32 s11, s5, s3
	v_mad_u64_u32 v[0:1], null, s6, s13, v[0:1]
	s_load_dword s12, s[10:11], 0x808
	s_add_u32 s0, s10, 8
	s_addc_u32 s7, s11, 0
	s_mov_b32 s10, exec_lo
	s_waitcnt lgkmcnt(0)
	s_lshr_b32 s6, s12, 1
	v_cmpx_gt_u32_e64 s6, v0
	s_cbranch_execz .LBB65_3
; %bb.1:
	s_add_u32 s14, s0, s2
	s_addc_u32 s15, s7, s3
	s_sub_u32 s0, 0, s2
	s_subb_u32 s3, 0, s3
	s_add_u32 s2, s14, s0
	s_addc_u32 s3, s15, s3
	s_clause 0x5
	s_load_dwordx2 s[10:11], s[4:5], 0xac8
	s_load_dword s0, s[2:3], 0x400
	s_load_dword s7, s[2:3], 0x600
	;; [unrolled: 1-line block ×3, first 2 shown]
	s_load_dwordx2 s[2:3], s[4:5], 0xab8
	s_load_dwordx2 s[4:5], s[4:5], 0x0
	s_load_dword s8, s[8:9], 0x0
	s_waitcnt lgkmcnt(0)
	s_mul_i32 s0, s0, s11
	s_mul_i32 s7, s7, s11
	s_lshr_b32 s0, s0, 1
	s_lshr_b32 s7, s7, 1
	s_lshl_b64 s[16:17], s[0:1], 4
	s_cmp_eq_u32 s10, 1
	s_mul_i32 s8, s8, s13
	s_cselect_b32 s7, s7, s12
	s_add_u32 s10, s4, s16
	v_cvt_f32_u32_e32 v1, s7
	s_addc_u32 s11, s5, s17
	s_sub_i32 s12, 0, s7
	s_load_dwordx2 s[4:5], s[14:15], 0x0
	v_rcp_iflag_f32_e32 v1, v1
	v_mul_f32_e32 v1, 0x4f7ffffe, v1
	v_cvt_u32_f32_e32 v1, v1
	v_mul_lo_u32 v2, s12, v1
	v_mul_hi_u32 v2, v1, v2
	v_add_nc_u32_e32 v2, v1, v2
	v_mov_b32_e32 v1, 0
	s_inst_prefetch 0x1
	.p2align	6
.LBB65_2:                               ; =>This Inner Loop Header: Depth=1
	v_lshlrev_b64 v[3:4], 4, v[0:1]
	v_mul_hi_u32 v9, v2, v0
	s_waitcnt lgkmcnt(0)
	v_add_co_u32 v3, vcc_lo, s4, v3
	v_add_co_ci_u32_e64 v4, null, s5, v4, vcc_lo
	v_mul_lo_u32 v10, s7, v9
	v_not_b32_e32 v7, v9
	v_add_nc_u32_e32 v11, 1, v9
	global_load_dwordx4 v[3:6], v[3:4], off
	v_mad_u64_u32 v[7:8], null, s7, v7, v[0:1]
	v_sub_nc_u32_e32 v8, v0, v10
	v_cmp_le_u32_e32 vcc_lo, s7, v8
	v_cndmask_b32_e32 v9, v9, v11, vcc_lo
	v_cndmask_b32_e32 v7, v8, v7, vcc_lo
	v_add_nc_u32_e32 v8, 1, v9
	v_cmp_le_u32_e32 vcc_lo, s7, v7
	v_cndmask_b32_e32 v9, v9, v8, vcc_lo
	v_mad_u64_u32 v[7:8], null, s12, v9, v[0:1]
	v_mul_lo_u32 v8, v9, s2
	v_add_nc_u32_e32 v0, s8, v0
	v_cmp_le_u32_e32 vcc_lo, s6, v0
	v_mad_u64_u32 v[7:8], null, v7, s3, v[8:9]
	v_mov_b32_e32 v8, v1
	s_or_b32 s1, vcc_lo, s1
	v_lshlrev_b64 v[7:8], 4, v[7:8]
	v_add_co_u32 v7, s0, s10, v7
	v_add_co_ci_u32_e64 v8, null, s11, v8, s0
	s_waitcnt vmcnt(0)
	global_store_dwordx4 v[7:8], v[3:6], off
	s_andn2_b32 exec_lo, exec_lo, s1
	s_cbranch_execnz .LBB65_2
.LBB65_3:
	s_inst_prefetch 0x2
	s_endpgm
	.section	.rodata,"a",@progbits
	.p2align	6, 0x0
	.amdhsa_kernel _ZN2at6native12_GLOBAL__N_130CatArrayBatchedCopy_vectorizedINS1_10OpaqueTypeILj8EEEjLi2ELi128ELi1ELi16ELi2EEEvPcNS1_25CatArrInputTensorMetadataIT_T0_XT2_EXT3_EEENS1_16TensorSizeStrideIS8_Lj4EEEiS8_
		.amdhsa_group_segment_fixed_size 0
		.amdhsa_private_segment_fixed_size 0
		.amdhsa_kernarg_size 3024
		.amdhsa_user_sgpr_count 6
		.amdhsa_user_sgpr_private_segment_buffer 1
		.amdhsa_user_sgpr_dispatch_ptr 0
		.amdhsa_user_sgpr_queue_ptr 0
		.amdhsa_user_sgpr_kernarg_segment_ptr 1
		.amdhsa_user_sgpr_dispatch_id 0
		.amdhsa_user_sgpr_flat_scratch_init 0
		.amdhsa_user_sgpr_private_segment_size 0
		.amdhsa_wavefront_size32 1
		.amdhsa_uses_dynamic_stack 0
		.amdhsa_system_sgpr_private_segment_wavefront_offset 0
		.amdhsa_system_sgpr_workgroup_id_x 1
		.amdhsa_system_sgpr_workgroup_id_y 1
		.amdhsa_system_sgpr_workgroup_id_z 0
		.amdhsa_system_sgpr_workgroup_info 0
		.amdhsa_system_vgpr_workitem_id 0
		.amdhsa_next_free_vgpr 12
		.amdhsa_next_free_sgpr 18
		.amdhsa_reserve_vcc 1
		.amdhsa_reserve_flat_scratch 0
		.amdhsa_float_round_mode_32 0
		.amdhsa_float_round_mode_16_64 0
		.amdhsa_float_denorm_mode_32 3
		.amdhsa_float_denorm_mode_16_64 3
		.amdhsa_dx10_clamp 1
		.amdhsa_ieee_mode 1
		.amdhsa_fp16_overflow 0
		.amdhsa_workgroup_processor_mode 1
		.amdhsa_memory_ordered 1
		.amdhsa_forward_progress 1
		.amdhsa_shared_vgpr_count 0
		.amdhsa_exception_fp_ieee_invalid_op 0
		.amdhsa_exception_fp_denorm_src 0
		.amdhsa_exception_fp_ieee_div_zero 0
		.amdhsa_exception_fp_ieee_overflow 0
		.amdhsa_exception_fp_ieee_underflow 0
		.amdhsa_exception_fp_ieee_inexact 0
		.amdhsa_exception_int_div_zero 0
	.end_amdhsa_kernel
	.section	.text._ZN2at6native12_GLOBAL__N_130CatArrayBatchedCopy_vectorizedINS1_10OpaqueTypeILj8EEEjLi2ELi128ELi1ELi16ELi2EEEvPcNS1_25CatArrInputTensorMetadataIT_T0_XT2_EXT3_EEENS1_16TensorSizeStrideIS8_Lj4EEEiS8_,"axG",@progbits,_ZN2at6native12_GLOBAL__N_130CatArrayBatchedCopy_vectorizedINS1_10OpaqueTypeILj8EEEjLi2ELi128ELi1ELi16ELi2EEEvPcNS1_25CatArrInputTensorMetadataIT_T0_XT2_EXT3_EEENS1_16TensorSizeStrideIS8_Lj4EEEiS8_,comdat
.Lfunc_end65:
	.size	_ZN2at6native12_GLOBAL__N_130CatArrayBatchedCopy_vectorizedINS1_10OpaqueTypeILj8EEEjLi2ELi128ELi1ELi16ELi2EEEvPcNS1_25CatArrInputTensorMetadataIT_T0_XT2_EXT3_EEENS1_16TensorSizeStrideIS8_Lj4EEEiS8_, .Lfunc_end65-_ZN2at6native12_GLOBAL__N_130CatArrayBatchedCopy_vectorizedINS1_10OpaqueTypeILj8EEEjLi2ELi128ELi1ELi16ELi2EEEvPcNS1_25CatArrInputTensorMetadataIT_T0_XT2_EXT3_EEENS1_16TensorSizeStrideIS8_Lj4EEEiS8_
                                        ; -- End function
	.set _ZN2at6native12_GLOBAL__N_130CatArrayBatchedCopy_vectorizedINS1_10OpaqueTypeILj8EEEjLi2ELi128ELi1ELi16ELi2EEEvPcNS1_25CatArrInputTensorMetadataIT_T0_XT2_EXT3_EEENS1_16TensorSizeStrideIS8_Lj4EEEiS8_.num_vgpr, 12
	.set _ZN2at6native12_GLOBAL__N_130CatArrayBatchedCopy_vectorizedINS1_10OpaqueTypeILj8EEEjLi2ELi128ELi1ELi16ELi2EEEvPcNS1_25CatArrInputTensorMetadataIT_T0_XT2_EXT3_EEENS1_16TensorSizeStrideIS8_Lj4EEEiS8_.num_agpr, 0
	.set _ZN2at6native12_GLOBAL__N_130CatArrayBatchedCopy_vectorizedINS1_10OpaqueTypeILj8EEEjLi2ELi128ELi1ELi16ELi2EEEvPcNS1_25CatArrInputTensorMetadataIT_T0_XT2_EXT3_EEENS1_16TensorSizeStrideIS8_Lj4EEEiS8_.numbered_sgpr, 18
	.set _ZN2at6native12_GLOBAL__N_130CatArrayBatchedCopy_vectorizedINS1_10OpaqueTypeILj8EEEjLi2ELi128ELi1ELi16ELi2EEEvPcNS1_25CatArrInputTensorMetadataIT_T0_XT2_EXT3_EEENS1_16TensorSizeStrideIS8_Lj4EEEiS8_.num_named_barrier, 0
	.set _ZN2at6native12_GLOBAL__N_130CatArrayBatchedCopy_vectorizedINS1_10OpaqueTypeILj8EEEjLi2ELi128ELi1ELi16ELi2EEEvPcNS1_25CatArrInputTensorMetadataIT_T0_XT2_EXT3_EEENS1_16TensorSizeStrideIS8_Lj4EEEiS8_.private_seg_size, 0
	.set _ZN2at6native12_GLOBAL__N_130CatArrayBatchedCopy_vectorizedINS1_10OpaqueTypeILj8EEEjLi2ELi128ELi1ELi16ELi2EEEvPcNS1_25CatArrInputTensorMetadataIT_T0_XT2_EXT3_EEENS1_16TensorSizeStrideIS8_Lj4EEEiS8_.uses_vcc, 1
	.set _ZN2at6native12_GLOBAL__N_130CatArrayBatchedCopy_vectorizedINS1_10OpaqueTypeILj8EEEjLi2ELi128ELi1ELi16ELi2EEEvPcNS1_25CatArrInputTensorMetadataIT_T0_XT2_EXT3_EEENS1_16TensorSizeStrideIS8_Lj4EEEiS8_.uses_flat_scratch, 0
	.set _ZN2at6native12_GLOBAL__N_130CatArrayBatchedCopy_vectorizedINS1_10OpaqueTypeILj8EEEjLi2ELi128ELi1ELi16ELi2EEEvPcNS1_25CatArrInputTensorMetadataIT_T0_XT2_EXT3_EEENS1_16TensorSizeStrideIS8_Lj4EEEiS8_.has_dyn_sized_stack, 0
	.set _ZN2at6native12_GLOBAL__N_130CatArrayBatchedCopy_vectorizedINS1_10OpaqueTypeILj8EEEjLi2ELi128ELi1ELi16ELi2EEEvPcNS1_25CatArrInputTensorMetadataIT_T0_XT2_EXT3_EEENS1_16TensorSizeStrideIS8_Lj4EEEiS8_.has_recursion, 0
	.set _ZN2at6native12_GLOBAL__N_130CatArrayBatchedCopy_vectorizedINS1_10OpaqueTypeILj8EEEjLi2ELi128ELi1ELi16ELi2EEEvPcNS1_25CatArrInputTensorMetadataIT_T0_XT2_EXT3_EEENS1_16TensorSizeStrideIS8_Lj4EEEiS8_.has_indirect_call, 0
	.section	.AMDGPU.csdata,"",@progbits
; Kernel info:
; codeLenInByte = 508
; TotalNumSgprs: 20
; NumVgprs: 12
; ScratchSize: 0
; MemoryBound: 0
; FloatMode: 240
; IeeeMode: 1
; LDSByteSize: 0 bytes/workgroup (compile time only)
; SGPRBlocks: 0
; VGPRBlocks: 1
; NumSGPRsForWavesPerEU: 20
; NumVGPRsForWavesPerEU: 12
; Occupancy: 16
; WaveLimiterHint : 1
; COMPUTE_PGM_RSRC2:SCRATCH_EN: 0
; COMPUTE_PGM_RSRC2:USER_SGPR: 6
; COMPUTE_PGM_RSRC2:TRAP_HANDLER: 0
; COMPUTE_PGM_RSRC2:TGID_X_EN: 1
; COMPUTE_PGM_RSRC2:TGID_Y_EN: 1
; COMPUTE_PGM_RSRC2:TGID_Z_EN: 0
; COMPUTE_PGM_RSRC2:TIDIG_COMP_CNT: 0
	.section	.text._ZN2at6native12_GLOBAL__N_135CatArrayBatchedCopy_alignedK_contigINS1_10OpaqueTypeILj8EEEjLi2ELi128ELi1ELi16EEEvPT_NS1_25CatArrInputTensorMetadataIS5_T0_XT2_EXT3_EEENS1_16TensorSizeStrideIS8_Lj4EEEiS8_,"axG",@progbits,_ZN2at6native12_GLOBAL__N_135CatArrayBatchedCopy_alignedK_contigINS1_10OpaqueTypeILj8EEEjLi2ELi128ELi1ELi16EEEvPT_NS1_25CatArrInputTensorMetadataIS5_T0_XT2_EXT3_EEENS1_16TensorSizeStrideIS8_Lj4EEEiS8_,comdat
	.globl	_ZN2at6native12_GLOBAL__N_135CatArrayBatchedCopy_alignedK_contigINS1_10OpaqueTypeILj8EEEjLi2ELi128ELi1ELi16EEEvPT_NS1_25CatArrInputTensorMetadataIS5_T0_XT2_EXT3_EEENS1_16TensorSizeStrideIS8_Lj4EEEiS8_ ; -- Begin function _ZN2at6native12_GLOBAL__N_135CatArrayBatchedCopy_alignedK_contigINS1_10OpaqueTypeILj8EEEjLi2ELi128ELi1ELi16EEEvPT_NS1_25CatArrInputTensorMetadataIS5_T0_XT2_EXT3_EEENS1_16TensorSizeStrideIS8_Lj4EEEiS8_
	.p2align	8
	.type	_ZN2at6native12_GLOBAL__N_135CatArrayBatchedCopy_alignedK_contigINS1_10OpaqueTypeILj8EEEjLi2ELi128ELi1ELi16EEEvPT_NS1_25CatArrInputTensorMetadataIS5_T0_XT2_EXT3_EEENS1_16TensorSizeStrideIS8_Lj4EEEiS8_,@function
_ZN2at6native12_GLOBAL__N_135CatArrayBatchedCopy_alignedK_contigINS1_10OpaqueTypeILj8EEEjLi2ELi128ELi1ELi16EEEvPT_NS1_25CatArrInputTensorMetadataIS5_T0_XT2_EXT3_EEENS1_16TensorSizeStrideIS8_Lj4EEEiS8_: ; @_ZN2at6native12_GLOBAL__N_135CatArrayBatchedCopy_alignedK_contigINS1_10OpaqueTypeILj8EEEjLi2ELi128ELi1ELi16EEEvPT_NS1_25CatArrInputTensorMetadataIS5_T0_XT2_EXT3_EEENS1_16TensorSizeStrideIS8_Lj4EEEiS8_
; %bb.0:
	s_mov_b32 s2, s7
	s_load_dword s7, s[4:5], 0xadc
	s_mov_b32 s3, 0
	s_add_u32 s0, s4, 0xad0
	s_addc_u32 s1, s5, 0
	s_lshl_b64 s[2:3], s[2:3], 2
	s_waitcnt lgkmcnt(0)
	s_and_b32 s10, s7, 0xffff
	s_add_u32 s8, s4, s2
	s_addc_u32 s9, s5, s3
	s_mul_i32 s6, s6, s10
	s_load_dword s11, s[8:9], 0x808
	v_add_lshl_u32 v0, s6, v0, 1
	s_add_u32 s6, s8, 8
	s_addc_u32 s7, s9, 0
	s_mov_b32 s8, exec_lo
	s_waitcnt lgkmcnt(0)
	v_cmpx_gt_u32_e64 s11, v0
	s_cbranch_execz .LBB66_8
; %bb.1:
	s_add_u32 s6, s6, s2
	s_addc_u32 s7, s7, s3
	s_sub_u32 s2, 0, s2
	s_subb_u32 s3, 0, s3
	s_add_u32 s14, s6, s2
	s_addc_u32 s15, s7, s3
	s_clause 0x6
	s_load_dwordx2 s[2:3], s[4:5], 0x0
	s_load_dwordx2 s[8:9], s[4:5], 0xac8
	s_load_dword s12, s[4:5], 0xaac
	s_load_dwordx2 s[4:5], s[4:5], 0xab8
	s_load_dword s16, s[14:15], 0x400
	;; [unrolled: 2-line block ×3, first 2 shown]
	v_add_nc_u32_e32 v1, 2, v0
	s_mov_b32 s14, exec_lo
	s_waitcnt lgkmcnt(0)
	s_mul_i32 s9, s16, s9
	v_cmpx_ge_u32_e64 s11, v1
	s_cbranch_execz .LBB66_5
; %bb.2:
	s_load_dword s0, s[0:1], 0x0
	s_mov_b32 s17, 0
	s_waitcnt lgkmcnt(0)
	s_mul_i32 s0, s0, s10
	s_mov_b32 s10, s5
	s_lshl_b32 s1, s0, 1
	s_cmp_eq_u32 s8, 1
	s_cselect_b32 s15, s13, s12
	v_cvt_f32_u32_e32 v1, s15
	s_sub_i32 s16, 0, s15
	v_rcp_iflag_f32_e32 v1, v1
	v_mul_f32_e32 v1, 0x4f7ffffe, v1
	v_cvt_u32_f32_e32 v2, v1
	v_mul_lo_u32 v1, s16, v2
	v_mul_hi_u32 v3, v2, v1
	v_mov_b32_e32 v1, 0
	v_add_nc_u32_e32 v2, v2, v3
	v_add_nc_u32_e32 v3, 1, v0
.LBB66_3:                               ; =>This Inner Loop Header: Depth=1
	v_lshlrev_b64 v[4:5], 3, v[0:1]
	v_mul_hi_u32 v10, v2, v0
	v_mul_hi_u32 v14, v2, v3
	v_add_nc_u32_e32 v8, 1, v0
	v_mov_b32_e32 v9, v1
	v_mov_b32_e32 v11, v1
	v_add_co_u32 v4, vcc_lo, s6, v4
	v_add_co_ci_u32_e64 v5, null, s7, v5, vcc_lo
	v_not_b32_e32 v15, v10
	v_mad_u64_u32 v[12:13], null, s16, v10, v[0:1]
	global_load_dwordx4 v[4:7], v[4:5], off
	v_not_b32_e32 v16, v14
	v_mad_u64_u32 v[13:14], null, s16, v14, v[8:9]
	v_mul_hi_u32 v17, v8, v2
	v_mad_u64_u32 v[14:15], null, s15, v15, v[0:1]
	v_add_nc_u32_e32 v18, 1, v10
	v_cmp_le_u32_e32 vcc_lo, s15, v12
	v_mad_u64_u32 v[15:16], null, s15, v16, v[8:9]
	v_cmp_le_u32_e64 s0, s15, v13
	v_add_nc_u32_e32 v19, 1, v17
	v_cndmask_b32_e32 v8, v10, v18, vcc_lo
	v_cndmask_b32_e32 v12, v12, v14, vcc_lo
	v_add_nc_u32_e32 v3, s1, v3
	v_cndmask_b32_e64 v10, v17, v19, s0
	v_add_nc_u32_e32 v14, 1, v8
	v_cndmask_b32_e64 v13, v13, v15, s0
	v_cmp_le_u32_e32 vcc_lo, s15, v12
	v_add_nc_u32_e32 v15, 1, v10
	v_cndmask_b32_e32 v8, v8, v14, vcc_lo
	v_cmp_le_u32_e32 vcc_lo, s15, v13
	v_mad_u64_u32 v[12:13], null, s16, v8, v[0:1]
	v_cndmask_b32_e32 v10, v10, v15, vcc_lo
	v_mul_lo_u32 v8, v8, s4
	v_mad_u64_u32 v[13:14], null, s16, v10, v[0:1]
	v_mul_lo_u32 v15, v12, s5
	v_mul_lo_u32 v10, v10, s4
	v_add_nc_u32_e32 v0, s1, v0
	v_mad_u64_u32 v[12:13], null, s5, v13, s[10:11]
	v_add3_u32 v8, v15, v8, s9
	v_add_nc_u32_e32 v14, 2, v0
	v_lshlrev_b64 v[8:9], 3, v[8:9]
	v_add3_u32 v10, v12, v10, s9
	v_cmp_lt_u32_e32 vcc_lo, s11, v14
	v_lshlrev_b64 v[10:11], 3, v[10:11]
	v_add_co_u32 v8, s0, s2, v8
	v_add_co_ci_u32_e64 v9, null, s3, v9, s0
	s_or_b32 s17, vcc_lo, s17
	v_add_co_u32 v10, s0, s2, v10
	v_add_co_ci_u32_e64 v11, null, s3, v11, s0
	s_waitcnt vmcnt(0)
	global_store_dwordx2 v[8:9], v[4:5], off
	global_store_dwordx2 v[10:11], v[6:7], off
	s_andn2_b32 exec_lo, exec_lo, s17
	s_cbranch_execnz .LBB66_3
; %bb.4:
	s_or_b32 exec_lo, exec_lo, s17
.LBB66_5:
	s_or_b32 exec_lo, exec_lo, s14
	v_cmp_gt_u32_e32 vcc_lo, s11, v0
	s_and_b32 exec_lo, exec_lo, vcc_lo
	s_cbranch_execz .LBB66_8
; %bb.6:
	s_cmp_eq_u32 s8, 1
	v_mov_b32_e32 v2, 0
	s_cselect_b32 s8, s13, s12
	v_cvt_f32_u32_e32 v1, s8
	s_sub_i32 s10, 0, s8
	v_rcp_iflag_f32_e32 v1, v1
	v_mul_f32_e32 v1, 0x4f7ffffe, v1
	v_cvt_u32_f32_e32 v3, v1
	v_mul_lo_u32 v1, s10, v3
	v_mul_hi_u32 v4, v3, v1
	v_mov_b32_e32 v1, v2
	v_lshlrev_b64 v[5:6], 3, v[0:1]
	v_add_nc_u32_e32 v7, v3, v4
	v_add_co_u32 v5, vcc_lo, s6, v5
	v_mad_u64_u32 v[3:4], null, v0, v7, 0
	v_add_co_ci_u32_e64 v6, null, s7, v6, vcc_lo
	s_mov_b32 s6, 0
	s_inst_prefetch 0x1
	.p2align	6
.LBB66_7:                               ; =>This Inner Loop Header: Depth=1
	global_load_dwordx2 v[8:9], v[5:6], off
	v_mul_lo_u32 v1, s8, v4
	v_not_b32_e32 v10, v4
	v_add_nc_u32_e32 v12, 1, v4
	v_add_co_u32 v5, s0, v5, 8
	v_add_co_ci_u32_e64 v6, null, 0, v6, s0
	v_mad_u64_u32 v[10:11], null, s8, v10, v[0:1]
	v_sub_nc_u32_e32 v1, v0, v1
	v_cmp_le_u32_e32 vcc_lo, s8, v1
	v_cndmask_b32_e32 v11, v4, v12, vcc_lo
	v_cndmask_b32_e32 v1, v1, v10, vcc_lo
	v_add_nc_u32_e32 v10, 1, v11
	v_cmp_le_u32_e32 vcc_lo, s8, v1
	v_cndmask_b32_e32 v1, v11, v10, vcc_lo
	v_add_co_u32 v3, vcc_lo, v3, v7
	v_add_co_ci_u32_e64 v4, null, 0, v4, vcc_lo
	v_mad_u64_u32 v[10:11], null, s10, v1, v[0:1]
	v_mul_lo_u32 v1, v1, s4
	v_add_nc_u32_e32 v0, 1, v0
	v_mul_lo_u32 v10, v10, s5
	v_cmp_le_u32_e64 s0, s11, v0
	s_or_b32 s6, s0, s6
	v_add3_u32 v1, v10, v1, s9
	v_lshlrev_b64 v[10:11], 3, v[1:2]
	v_add_co_u32 v10, s1, s2, v10
	v_add_co_ci_u32_e64 v11, null, s3, v11, s1
	s_waitcnt vmcnt(0)
	global_store_dwordx2 v[10:11], v[8:9], off
	s_andn2_b32 exec_lo, exec_lo, s6
	s_cbranch_execnz .LBB66_7
.LBB66_8:
	s_inst_prefetch 0x2
	s_endpgm
	.section	.rodata,"a",@progbits
	.p2align	6, 0x0
	.amdhsa_kernel _ZN2at6native12_GLOBAL__N_135CatArrayBatchedCopy_alignedK_contigINS1_10OpaqueTypeILj8EEEjLi2ELi128ELi1ELi16EEEvPT_NS1_25CatArrInputTensorMetadataIS5_T0_XT2_EXT3_EEENS1_16TensorSizeStrideIS8_Lj4EEEiS8_
		.amdhsa_group_segment_fixed_size 0
		.amdhsa_private_segment_fixed_size 0
		.amdhsa_kernarg_size 3024
		.amdhsa_user_sgpr_count 6
		.amdhsa_user_sgpr_private_segment_buffer 1
		.amdhsa_user_sgpr_dispatch_ptr 0
		.amdhsa_user_sgpr_queue_ptr 0
		.amdhsa_user_sgpr_kernarg_segment_ptr 1
		.amdhsa_user_sgpr_dispatch_id 0
		.amdhsa_user_sgpr_flat_scratch_init 0
		.amdhsa_user_sgpr_private_segment_size 0
		.amdhsa_wavefront_size32 1
		.amdhsa_uses_dynamic_stack 0
		.amdhsa_system_sgpr_private_segment_wavefront_offset 0
		.amdhsa_system_sgpr_workgroup_id_x 1
		.amdhsa_system_sgpr_workgroup_id_y 1
		.amdhsa_system_sgpr_workgroup_id_z 0
		.amdhsa_system_sgpr_workgroup_info 0
		.amdhsa_system_vgpr_workitem_id 0
		.amdhsa_next_free_vgpr 20
		.amdhsa_next_free_sgpr 18
		.amdhsa_reserve_vcc 1
		.amdhsa_reserve_flat_scratch 0
		.amdhsa_float_round_mode_32 0
		.amdhsa_float_round_mode_16_64 0
		.amdhsa_float_denorm_mode_32 3
		.amdhsa_float_denorm_mode_16_64 3
		.amdhsa_dx10_clamp 1
		.amdhsa_ieee_mode 1
		.amdhsa_fp16_overflow 0
		.amdhsa_workgroup_processor_mode 1
		.amdhsa_memory_ordered 1
		.amdhsa_forward_progress 1
		.amdhsa_shared_vgpr_count 0
		.amdhsa_exception_fp_ieee_invalid_op 0
		.amdhsa_exception_fp_denorm_src 0
		.amdhsa_exception_fp_ieee_div_zero 0
		.amdhsa_exception_fp_ieee_overflow 0
		.amdhsa_exception_fp_ieee_underflow 0
		.amdhsa_exception_fp_ieee_inexact 0
		.amdhsa_exception_int_div_zero 0
	.end_amdhsa_kernel
	.section	.text._ZN2at6native12_GLOBAL__N_135CatArrayBatchedCopy_alignedK_contigINS1_10OpaqueTypeILj8EEEjLi2ELi128ELi1ELi16EEEvPT_NS1_25CatArrInputTensorMetadataIS5_T0_XT2_EXT3_EEENS1_16TensorSizeStrideIS8_Lj4EEEiS8_,"axG",@progbits,_ZN2at6native12_GLOBAL__N_135CatArrayBatchedCopy_alignedK_contigINS1_10OpaqueTypeILj8EEEjLi2ELi128ELi1ELi16EEEvPT_NS1_25CatArrInputTensorMetadataIS5_T0_XT2_EXT3_EEENS1_16TensorSizeStrideIS8_Lj4EEEiS8_,comdat
.Lfunc_end66:
	.size	_ZN2at6native12_GLOBAL__N_135CatArrayBatchedCopy_alignedK_contigINS1_10OpaqueTypeILj8EEEjLi2ELi128ELi1ELi16EEEvPT_NS1_25CatArrInputTensorMetadataIS5_T0_XT2_EXT3_EEENS1_16TensorSizeStrideIS8_Lj4EEEiS8_, .Lfunc_end66-_ZN2at6native12_GLOBAL__N_135CatArrayBatchedCopy_alignedK_contigINS1_10OpaqueTypeILj8EEEjLi2ELi128ELi1ELi16EEEvPT_NS1_25CatArrInputTensorMetadataIS5_T0_XT2_EXT3_EEENS1_16TensorSizeStrideIS8_Lj4EEEiS8_
                                        ; -- End function
	.set _ZN2at6native12_GLOBAL__N_135CatArrayBatchedCopy_alignedK_contigINS1_10OpaqueTypeILj8EEEjLi2ELi128ELi1ELi16EEEvPT_NS1_25CatArrInputTensorMetadataIS5_T0_XT2_EXT3_EEENS1_16TensorSizeStrideIS8_Lj4EEEiS8_.num_vgpr, 20
	.set _ZN2at6native12_GLOBAL__N_135CatArrayBatchedCopy_alignedK_contigINS1_10OpaqueTypeILj8EEEjLi2ELi128ELi1ELi16EEEvPT_NS1_25CatArrInputTensorMetadataIS5_T0_XT2_EXT3_EEENS1_16TensorSizeStrideIS8_Lj4EEEiS8_.num_agpr, 0
	.set _ZN2at6native12_GLOBAL__N_135CatArrayBatchedCopy_alignedK_contigINS1_10OpaqueTypeILj8EEEjLi2ELi128ELi1ELi16EEEvPT_NS1_25CatArrInputTensorMetadataIS5_T0_XT2_EXT3_EEENS1_16TensorSizeStrideIS8_Lj4EEEiS8_.numbered_sgpr, 18
	.set _ZN2at6native12_GLOBAL__N_135CatArrayBatchedCopy_alignedK_contigINS1_10OpaqueTypeILj8EEEjLi2ELi128ELi1ELi16EEEvPT_NS1_25CatArrInputTensorMetadataIS5_T0_XT2_EXT3_EEENS1_16TensorSizeStrideIS8_Lj4EEEiS8_.num_named_barrier, 0
	.set _ZN2at6native12_GLOBAL__N_135CatArrayBatchedCopy_alignedK_contigINS1_10OpaqueTypeILj8EEEjLi2ELi128ELi1ELi16EEEvPT_NS1_25CatArrInputTensorMetadataIS5_T0_XT2_EXT3_EEENS1_16TensorSizeStrideIS8_Lj4EEEiS8_.private_seg_size, 0
	.set _ZN2at6native12_GLOBAL__N_135CatArrayBatchedCopy_alignedK_contigINS1_10OpaqueTypeILj8EEEjLi2ELi128ELi1ELi16EEEvPT_NS1_25CatArrInputTensorMetadataIS5_T0_XT2_EXT3_EEENS1_16TensorSizeStrideIS8_Lj4EEEiS8_.uses_vcc, 1
	.set _ZN2at6native12_GLOBAL__N_135CatArrayBatchedCopy_alignedK_contigINS1_10OpaqueTypeILj8EEEjLi2ELi128ELi1ELi16EEEvPT_NS1_25CatArrInputTensorMetadataIS5_T0_XT2_EXT3_EEENS1_16TensorSizeStrideIS8_Lj4EEEiS8_.uses_flat_scratch, 0
	.set _ZN2at6native12_GLOBAL__N_135CatArrayBatchedCopy_alignedK_contigINS1_10OpaqueTypeILj8EEEjLi2ELi128ELi1ELi16EEEvPT_NS1_25CatArrInputTensorMetadataIS5_T0_XT2_EXT3_EEENS1_16TensorSizeStrideIS8_Lj4EEEiS8_.has_dyn_sized_stack, 0
	.set _ZN2at6native12_GLOBAL__N_135CatArrayBatchedCopy_alignedK_contigINS1_10OpaqueTypeILj8EEEjLi2ELi128ELi1ELi16EEEvPT_NS1_25CatArrInputTensorMetadataIS5_T0_XT2_EXT3_EEENS1_16TensorSizeStrideIS8_Lj4EEEiS8_.has_recursion, 0
	.set _ZN2at6native12_GLOBAL__N_135CatArrayBatchedCopy_alignedK_contigINS1_10OpaqueTypeILj8EEEjLi2ELi128ELi1ELi16EEEvPT_NS1_25CatArrInputTensorMetadataIS5_T0_XT2_EXT3_EEENS1_16TensorSizeStrideIS8_Lj4EEEiS8_.has_indirect_call, 0
	.section	.AMDGPU.csdata,"",@progbits
; Kernel info:
; codeLenInByte = 960
; TotalNumSgprs: 20
; NumVgprs: 20
; ScratchSize: 0
; MemoryBound: 0
; FloatMode: 240
; IeeeMode: 1
; LDSByteSize: 0 bytes/workgroup (compile time only)
; SGPRBlocks: 0
; VGPRBlocks: 2
; NumSGPRsForWavesPerEU: 20
; NumVGPRsForWavesPerEU: 20
; Occupancy: 16
; WaveLimiterHint : 1
; COMPUTE_PGM_RSRC2:SCRATCH_EN: 0
; COMPUTE_PGM_RSRC2:USER_SGPR: 6
; COMPUTE_PGM_RSRC2:TRAP_HANDLER: 0
; COMPUTE_PGM_RSRC2:TGID_X_EN: 1
; COMPUTE_PGM_RSRC2:TGID_Y_EN: 1
; COMPUTE_PGM_RSRC2:TGID_Z_EN: 0
; COMPUTE_PGM_RSRC2:TIDIG_COMP_CNT: 0
	.section	.text._ZN2at6native12_GLOBAL__N_135CatArrayBatchedCopy_alignedK_contigINS1_10OpaqueTypeILj8EEEjLi2ELi128ELi1ELi8EEEvPT_NS1_25CatArrInputTensorMetadataIS5_T0_XT2_EXT3_EEENS1_16TensorSizeStrideIS8_Lj4EEEiS8_,"axG",@progbits,_ZN2at6native12_GLOBAL__N_135CatArrayBatchedCopy_alignedK_contigINS1_10OpaqueTypeILj8EEEjLi2ELi128ELi1ELi8EEEvPT_NS1_25CatArrInputTensorMetadataIS5_T0_XT2_EXT3_EEENS1_16TensorSizeStrideIS8_Lj4EEEiS8_,comdat
	.globl	_ZN2at6native12_GLOBAL__N_135CatArrayBatchedCopy_alignedK_contigINS1_10OpaqueTypeILj8EEEjLi2ELi128ELi1ELi8EEEvPT_NS1_25CatArrInputTensorMetadataIS5_T0_XT2_EXT3_EEENS1_16TensorSizeStrideIS8_Lj4EEEiS8_ ; -- Begin function _ZN2at6native12_GLOBAL__N_135CatArrayBatchedCopy_alignedK_contigINS1_10OpaqueTypeILj8EEEjLi2ELi128ELi1ELi8EEEvPT_NS1_25CatArrInputTensorMetadataIS5_T0_XT2_EXT3_EEENS1_16TensorSizeStrideIS8_Lj4EEEiS8_
	.p2align	8
	.type	_ZN2at6native12_GLOBAL__N_135CatArrayBatchedCopy_alignedK_contigINS1_10OpaqueTypeILj8EEEjLi2ELi128ELi1ELi8EEEvPT_NS1_25CatArrInputTensorMetadataIS5_T0_XT2_EXT3_EEENS1_16TensorSizeStrideIS8_Lj4EEEiS8_,@function
_ZN2at6native12_GLOBAL__N_135CatArrayBatchedCopy_alignedK_contigINS1_10OpaqueTypeILj8EEEjLi2ELi128ELi1ELi8EEEvPT_NS1_25CatArrInputTensorMetadataIS5_T0_XT2_EXT3_EEENS1_16TensorSizeStrideIS8_Lj4EEEiS8_: ; @_ZN2at6native12_GLOBAL__N_135CatArrayBatchedCopy_alignedK_contigINS1_10OpaqueTypeILj8EEEjLi2ELi128ELi1ELi8EEEvPT_NS1_25CatArrInputTensorMetadataIS5_T0_XT2_EXT3_EEENS1_16TensorSizeStrideIS8_Lj4EEEiS8_
; %bb.0:
	s_mov_b32 s0, s7
	s_load_dword s7, s[4:5], 0xadc
	s_mov_b32 s1, 0
	s_add_u32 s8, s4, 0xad0
	s_addc_u32 s9, s5, 0
	s_lshl_b64 s[2:3], s[0:1], 2
	s_mov_b32 s11, exec_lo
	s_waitcnt lgkmcnt(0)
	s_and_b32 s0, s7, 0xffff
	s_add_u32 s12, s4, s2
	s_addc_u32 s13, s5, s3
	v_mad_u64_u32 v[0:1], null, s6, s0, v[0:1]
	s_load_dword s10, s[12:13], 0x808
	s_add_u32 s6, s12, 8
	s_addc_u32 s7, s13, 0
	s_waitcnt lgkmcnt(0)
	v_cmpx_gt_u32_e64 s10, v0
	s_cbranch_execz .LBB67_6
; %bb.1:
	s_add_u32 s6, s6, s2
	s_addc_u32 s7, s7, s3
	s_sub_u32 s2, 0, s2
	s_subb_u32 s3, 0, s3
	s_add_u32 s12, s6, s2
	s_addc_u32 s13, s7, s3
	s_clause 0x4
	s_load_dwordx2 s[14:15], s[4:5], 0xac8
	s_load_dword s11, s[12:13], 0x600
	s_load_dword s16, s[4:5], 0xaac
	s_load_dwordx2 s[2:3], s[4:5], 0xab8
	s_load_dword s13, s[12:13], 0x400
	s_load_dword s9, s[8:9], 0x0
	s_clause 0x1
	s_load_dwordx2 s[4:5], s[4:5], 0x0
	s_load_dwordx2 s[6:7], s[6:7], 0x0
	s_waitcnt lgkmcnt(0)
	s_cmp_eq_u32 s14, 1
	s_cselect_b32 s11, s11, s16
	v_cvt_f32_u32_e32 v1, s11
	s_sub_i32 s12, 0, s11
	s_mul_i32 s9, s9, s0
	s_mul_i32 s8, s13, s15
	v_rcp_iflag_f32_e32 v1, v1
	v_mul_f32_e32 v1, 0x4f7ffffe, v1
	v_cvt_u32_f32_e32 v1, v1
	v_mul_lo_u32 v2, s12, v1
	v_mul_hi_u32 v3, v1, v2
	v_mov_b32_e32 v2, 0
	v_add_nc_u32_e32 v7, v1, v3
	v_add_nc_u32_e32 v3, 1, v0
	s_inst_prefetch 0x1
	.p2align	6
.LBB67_2:                               ; =>This Inner Loop Header: Depth=1
	v_add_nc_u32_e32 v1, -1, v3
	v_mul_hi_u32 v6, v7, v0
	v_add_nc_u32_e32 v3, s9, v3
	v_lshlrev_b64 v[4:5], 3, v[1:2]
	v_mul_hi_u32 v10, v1, v7
	v_mul_lo_u32 v8, s11, v6
	v_not_b32_e32 v6, v6
	v_add_co_u32 v4, vcc_lo, s6, v4
	v_add_co_ci_u32_e64 v5, null, s7, v5, vcc_lo
	v_add_nc_u32_e32 v11, 1, v10
	v_sub_nc_u32_e32 v12, v0, v8
	global_load_dwordx2 v[4:5], v[4:5], off
	v_mad_u64_u32 v[8:9], null, s11, v6, v[0:1]
	v_add_nc_u32_e32 v0, s9, v0
	v_cmp_le_u32_e32 vcc_lo, s11, v12
	v_cndmask_b32_e32 v6, v10, v11, vcc_lo
	v_cndmask_b32_e32 v8, v12, v8, vcc_lo
	v_add_nc_u32_e32 v9, 1, v6
	v_cmp_le_u32_e32 vcc_lo, s11, v8
	v_cndmask_b32_e32 v6, v6, v9, vcc_lo
	v_cmp_lt_u32_e32 vcc_lo, s10, v3
	v_mad_u64_u32 v[8:9], null, s12, v6, v[1:2]
	v_mul_lo_u32 v1, v6, s2
	s_or_b32 s1, vcc_lo, s1
	v_mul_lo_u32 v6, v8, s3
	v_add3_u32 v1, v6, v1, s8
	v_lshlrev_b64 v[8:9], 3, v[1:2]
	v_add_co_u32 v8, s0, s4, v8
	v_add_co_ci_u32_e64 v9, null, s5, v9, s0
	s_waitcnt vmcnt(0)
	global_store_dwordx2 v[8:9], v[4:5], off
	s_andn2_b32 exec_lo, exec_lo, s1
	s_cbranch_execnz .LBB67_2
; %bb.3:
	s_inst_prefetch 0x2
	s_or_b32 exec_lo, exec_lo, s1
	v_add_nc_u32_e32 v0, -1, v3
	v_cmp_gt_u32_e32 vcc_lo, s10, v0
	s_and_b32 exec_lo, exec_lo, vcc_lo
	s_cbranch_execz .LBB67_6
; %bb.4:
	v_mov_b32_e32 v2, 0
	v_mad_u64_u32 v[3:4], null, v7, v0, 0
	v_mov_b32_e32 v1, v2
	v_lshlrev_b64 v[5:6], 3, v[0:1]
	v_add_co_u32 v5, vcc_lo, s6, v5
	v_add_co_ci_u32_e64 v6, null, s7, v6, vcc_lo
	s_mov_b32 s6, 0
	s_inst_prefetch 0x1
	.p2align	6
.LBB67_5:                               ; =>This Inner Loop Header: Depth=1
	global_load_dwordx2 v[8:9], v[5:6], off
	v_mul_lo_u32 v1, s11, v4
	v_not_b32_e32 v10, v4
	v_add_nc_u32_e32 v12, 1, v4
	v_add_co_u32 v5, s0, v5, 8
	v_add_co_ci_u32_e64 v6, null, 0, v6, s0
	v_mad_u64_u32 v[10:11], null, s11, v10, v[0:1]
	v_sub_nc_u32_e32 v1, v0, v1
	v_cmp_le_u32_e32 vcc_lo, s11, v1
	v_cndmask_b32_e32 v11, v4, v12, vcc_lo
	v_cndmask_b32_e32 v1, v1, v10, vcc_lo
	v_add_nc_u32_e32 v10, 1, v11
	v_cmp_le_u32_e32 vcc_lo, s11, v1
	v_cndmask_b32_e32 v1, v11, v10, vcc_lo
	v_add_co_u32 v3, vcc_lo, v3, v7
	v_add_co_ci_u32_e64 v4, null, 0, v4, vcc_lo
	v_mad_u64_u32 v[10:11], null, s12, v1, v[0:1]
	v_mul_lo_u32 v1, v1, s2
	v_add_nc_u32_e32 v0, 1, v0
	v_mul_lo_u32 v10, v10, s3
	v_cmp_le_u32_e64 s0, s10, v0
	s_or_b32 s6, s0, s6
	v_add3_u32 v1, v1, s8, v10
	v_lshlrev_b64 v[10:11], 3, v[1:2]
	v_add_co_u32 v10, s1, s4, v10
	v_add_co_ci_u32_e64 v11, null, s5, v11, s1
	s_waitcnt vmcnt(0)
	global_store_dwordx2 v[10:11], v[8:9], off
	s_andn2_b32 exec_lo, exec_lo, s6
	s_cbranch_execnz .LBB67_5
.LBB67_6:
	s_inst_prefetch 0x2
	s_endpgm
	.section	.rodata,"a",@progbits
	.p2align	6, 0x0
	.amdhsa_kernel _ZN2at6native12_GLOBAL__N_135CatArrayBatchedCopy_alignedK_contigINS1_10OpaqueTypeILj8EEEjLi2ELi128ELi1ELi8EEEvPT_NS1_25CatArrInputTensorMetadataIS5_T0_XT2_EXT3_EEENS1_16TensorSizeStrideIS8_Lj4EEEiS8_
		.amdhsa_group_segment_fixed_size 0
		.amdhsa_private_segment_fixed_size 0
		.amdhsa_kernarg_size 3024
		.amdhsa_user_sgpr_count 6
		.amdhsa_user_sgpr_private_segment_buffer 1
		.amdhsa_user_sgpr_dispatch_ptr 0
		.amdhsa_user_sgpr_queue_ptr 0
		.amdhsa_user_sgpr_kernarg_segment_ptr 1
		.amdhsa_user_sgpr_dispatch_id 0
		.amdhsa_user_sgpr_flat_scratch_init 0
		.amdhsa_user_sgpr_private_segment_size 0
		.amdhsa_wavefront_size32 1
		.amdhsa_uses_dynamic_stack 0
		.amdhsa_system_sgpr_private_segment_wavefront_offset 0
		.amdhsa_system_sgpr_workgroup_id_x 1
		.amdhsa_system_sgpr_workgroup_id_y 1
		.amdhsa_system_sgpr_workgroup_id_z 0
		.amdhsa_system_sgpr_workgroup_info 0
		.amdhsa_system_vgpr_workitem_id 0
		.amdhsa_next_free_vgpr 13
		.amdhsa_next_free_sgpr 17
		.amdhsa_reserve_vcc 1
		.amdhsa_reserve_flat_scratch 0
		.amdhsa_float_round_mode_32 0
		.amdhsa_float_round_mode_16_64 0
		.amdhsa_float_denorm_mode_32 3
		.amdhsa_float_denorm_mode_16_64 3
		.amdhsa_dx10_clamp 1
		.amdhsa_ieee_mode 1
		.amdhsa_fp16_overflow 0
		.amdhsa_workgroup_processor_mode 1
		.amdhsa_memory_ordered 1
		.amdhsa_forward_progress 1
		.amdhsa_shared_vgpr_count 0
		.amdhsa_exception_fp_ieee_invalid_op 0
		.amdhsa_exception_fp_denorm_src 0
		.amdhsa_exception_fp_ieee_div_zero 0
		.amdhsa_exception_fp_ieee_overflow 0
		.amdhsa_exception_fp_ieee_underflow 0
		.amdhsa_exception_fp_ieee_inexact 0
		.amdhsa_exception_int_div_zero 0
	.end_amdhsa_kernel
	.section	.text._ZN2at6native12_GLOBAL__N_135CatArrayBatchedCopy_alignedK_contigINS1_10OpaqueTypeILj8EEEjLi2ELi128ELi1ELi8EEEvPT_NS1_25CatArrInputTensorMetadataIS5_T0_XT2_EXT3_EEENS1_16TensorSizeStrideIS8_Lj4EEEiS8_,"axG",@progbits,_ZN2at6native12_GLOBAL__N_135CatArrayBatchedCopy_alignedK_contigINS1_10OpaqueTypeILj8EEEjLi2ELi128ELi1ELi8EEEvPT_NS1_25CatArrInputTensorMetadataIS5_T0_XT2_EXT3_EEENS1_16TensorSizeStrideIS8_Lj4EEEiS8_,comdat
.Lfunc_end67:
	.size	_ZN2at6native12_GLOBAL__N_135CatArrayBatchedCopy_alignedK_contigINS1_10OpaqueTypeILj8EEEjLi2ELi128ELi1ELi8EEEvPT_NS1_25CatArrInputTensorMetadataIS5_T0_XT2_EXT3_EEENS1_16TensorSizeStrideIS8_Lj4EEEiS8_, .Lfunc_end67-_ZN2at6native12_GLOBAL__N_135CatArrayBatchedCopy_alignedK_contigINS1_10OpaqueTypeILj8EEEjLi2ELi128ELi1ELi8EEEvPT_NS1_25CatArrInputTensorMetadataIS5_T0_XT2_EXT3_EEENS1_16TensorSizeStrideIS8_Lj4EEEiS8_
                                        ; -- End function
	.set _ZN2at6native12_GLOBAL__N_135CatArrayBatchedCopy_alignedK_contigINS1_10OpaqueTypeILj8EEEjLi2ELi128ELi1ELi8EEEvPT_NS1_25CatArrInputTensorMetadataIS5_T0_XT2_EXT3_EEENS1_16TensorSizeStrideIS8_Lj4EEEiS8_.num_vgpr, 13
	.set _ZN2at6native12_GLOBAL__N_135CatArrayBatchedCopy_alignedK_contigINS1_10OpaqueTypeILj8EEEjLi2ELi128ELi1ELi8EEEvPT_NS1_25CatArrInputTensorMetadataIS5_T0_XT2_EXT3_EEENS1_16TensorSizeStrideIS8_Lj4EEEiS8_.num_agpr, 0
	.set _ZN2at6native12_GLOBAL__N_135CatArrayBatchedCopy_alignedK_contigINS1_10OpaqueTypeILj8EEEjLi2ELi128ELi1ELi8EEEvPT_NS1_25CatArrInputTensorMetadataIS5_T0_XT2_EXT3_EEENS1_16TensorSizeStrideIS8_Lj4EEEiS8_.numbered_sgpr, 17
	.set _ZN2at6native12_GLOBAL__N_135CatArrayBatchedCopy_alignedK_contigINS1_10OpaqueTypeILj8EEEjLi2ELi128ELi1ELi8EEEvPT_NS1_25CatArrInputTensorMetadataIS5_T0_XT2_EXT3_EEENS1_16TensorSizeStrideIS8_Lj4EEEiS8_.num_named_barrier, 0
	.set _ZN2at6native12_GLOBAL__N_135CatArrayBatchedCopy_alignedK_contigINS1_10OpaqueTypeILj8EEEjLi2ELi128ELi1ELi8EEEvPT_NS1_25CatArrInputTensorMetadataIS5_T0_XT2_EXT3_EEENS1_16TensorSizeStrideIS8_Lj4EEEiS8_.private_seg_size, 0
	.set _ZN2at6native12_GLOBAL__N_135CatArrayBatchedCopy_alignedK_contigINS1_10OpaqueTypeILj8EEEjLi2ELi128ELi1ELi8EEEvPT_NS1_25CatArrInputTensorMetadataIS5_T0_XT2_EXT3_EEENS1_16TensorSizeStrideIS8_Lj4EEEiS8_.uses_vcc, 1
	.set _ZN2at6native12_GLOBAL__N_135CatArrayBatchedCopy_alignedK_contigINS1_10OpaqueTypeILj8EEEjLi2ELi128ELi1ELi8EEEvPT_NS1_25CatArrInputTensorMetadataIS5_T0_XT2_EXT3_EEENS1_16TensorSizeStrideIS8_Lj4EEEiS8_.uses_flat_scratch, 0
	.set _ZN2at6native12_GLOBAL__N_135CatArrayBatchedCopy_alignedK_contigINS1_10OpaqueTypeILj8EEEjLi2ELi128ELi1ELi8EEEvPT_NS1_25CatArrInputTensorMetadataIS5_T0_XT2_EXT3_EEENS1_16TensorSizeStrideIS8_Lj4EEEiS8_.has_dyn_sized_stack, 0
	.set _ZN2at6native12_GLOBAL__N_135CatArrayBatchedCopy_alignedK_contigINS1_10OpaqueTypeILj8EEEjLi2ELi128ELi1ELi8EEEvPT_NS1_25CatArrInputTensorMetadataIS5_T0_XT2_EXT3_EEENS1_16TensorSizeStrideIS8_Lj4EEEiS8_.has_recursion, 0
	.set _ZN2at6native12_GLOBAL__N_135CatArrayBatchedCopy_alignedK_contigINS1_10OpaqueTypeILj8EEEjLi2ELi128ELi1ELi8EEEvPT_NS1_25CatArrInputTensorMetadataIS5_T0_XT2_EXT3_EEENS1_16TensorSizeStrideIS8_Lj4EEEiS8_.has_indirect_call, 0
	.section	.AMDGPU.csdata,"",@progbits
; Kernel info:
; codeLenInByte = 832
; TotalNumSgprs: 19
; NumVgprs: 13
; ScratchSize: 0
; MemoryBound: 0
; FloatMode: 240
; IeeeMode: 1
; LDSByteSize: 0 bytes/workgroup (compile time only)
; SGPRBlocks: 0
; VGPRBlocks: 1
; NumSGPRsForWavesPerEU: 19
; NumVGPRsForWavesPerEU: 13
; Occupancy: 16
; WaveLimiterHint : 1
; COMPUTE_PGM_RSRC2:SCRATCH_EN: 0
; COMPUTE_PGM_RSRC2:USER_SGPR: 6
; COMPUTE_PGM_RSRC2:TRAP_HANDLER: 0
; COMPUTE_PGM_RSRC2:TGID_X_EN: 1
; COMPUTE_PGM_RSRC2:TGID_Y_EN: 1
; COMPUTE_PGM_RSRC2:TGID_Z_EN: 0
; COMPUTE_PGM_RSRC2:TIDIG_COMP_CNT: 0
	.section	.text._ZN2at6native12_GLOBAL__N_126CatArrayBatchedCopy_contigINS1_10OpaqueTypeILj8EEEjLi2ELi128ELi1EEEvPT_NS1_25CatArrInputTensorMetadataIS5_T0_XT2_EXT3_EEENS1_16TensorSizeStrideIS8_Lj4EEEiS8_,"axG",@progbits,_ZN2at6native12_GLOBAL__N_126CatArrayBatchedCopy_contigINS1_10OpaqueTypeILj8EEEjLi2ELi128ELi1EEEvPT_NS1_25CatArrInputTensorMetadataIS5_T0_XT2_EXT3_EEENS1_16TensorSizeStrideIS8_Lj4EEEiS8_,comdat
	.globl	_ZN2at6native12_GLOBAL__N_126CatArrayBatchedCopy_contigINS1_10OpaqueTypeILj8EEEjLi2ELi128ELi1EEEvPT_NS1_25CatArrInputTensorMetadataIS5_T0_XT2_EXT3_EEENS1_16TensorSizeStrideIS8_Lj4EEEiS8_ ; -- Begin function _ZN2at6native12_GLOBAL__N_126CatArrayBatchedCopy_contigINS1_10OpaqueTypeILj8EEEjLi2ELi128ELi1EEEvPT_NS1_25CatArrInputTensorMetadataIS5_T0_XT2_EXT3_EEENS1_16TensorSizeStrideIS8_Lj4EEEiS8_
	.p2align	8
	.type	_ZN2at6native12_GLOBAL__N_126CatArrayBatchedCopy_contigINS1_10OpaqueTypeILj8EEEjLi2ELi128ELi1EEEvPT_NS1_25CatArrInputTensorMetadataIS5_T0_XT2_EXT3_EEENS1_16TensorSizeStrideIS8_Lj4EEEiS8_,@function
_ZN2at6native12_GLOBAL__N_126CatArrayBatchedCopy_contigINS1_10OpaqueTypeILj8EEEjLi2ELi128ELi1EEEvPT_NS1_25CatArrInputTensorMetadataIS5_T0_XT2_EXT3_EEENS1_16TensorSizeStrideIS8_Lj4EEEiS8_: ; @_ZN2at6native12_GLOBAL__N_126CatArrayBatchedCopy_contigINS1_10OpaqueTypeILj8EEEjLi2ELi128ELi1EEEvPT_NS1_25CatArrInputTensorMetadataIS5_T0_XT2_EXT3_EEENS1_16TensorSizeStrideIS8_Lj4EEEiS8_
; %bb.0:
	s_mov_b32 s0, s7
	s_load_dword s7, s[4:5], 0xadc
	s_mov_b32 s1, 0
	s_add_u32 s8, s4, 0xad0
	s_addc_u32 s9, s5, 0
	s_lshl_b64 s[2:3], s[0:1], 2
	s_mov_b32 s11, exec_lo
	s_waitcnt lgkmcnt(0)
	s_and_b32 s0, s7, 0xffff
	s_add_u32 s12, s4, s2
	s_addc_u32 s13, s5, s3
	v_mad_u64_u32 v[0:1], null, s6, s0, v[0:1]
	s_load_dword s10, s[12:13], 0x808
	s_add_u32 s6, s12, 8
	s_addc_u32 s7, s13, 0
	s_waitcnt lgkmcnt(0)
	v_cmpx_gt_u32_e64 s10, v0
	s_cbranch_execz .LBB68_3
; %bb.1:
	s_add_u32 s6, s6, s2
	s_addc_u32 s7, s7, s3
	s_sub_u32 s2, 0, s2
	s_subb_u32 s3, 0, s3
	s_add_u32 s12, s6, s2
	s_addc_u32 s13, s7, s3
	s_clause 0x4
	s_load_dwordx2 s[14:15], s[4:5], 0xac8
	s_load_dword s11, s[12:13], 0x600
	s_load_dword s16, s[4:5], 0xaac
	s_load_dwordx2 s[2:3], s[4:5], 0xab8
	s_load_dword s13, s[12:13], 0x400
	s_load_dword s9, s[8:9], 0x0
	s_clause 0x1
	s_load_dwordx2 s[4:5], s[4:5], 0x0
	s_load_dwordx2 s[6:7], s[6:7], 0x0
	s_waitcnt lgkmcnt(0)
	s_cmp_eq_u32 s14, 1
	s_cselect_b32 s11, s11, s16
	v_cvt_f32_u32_e32 v1, s11
	s_sub_i32 s12, 0, s11
	s_mul_i32 s8, s13, s15
	s_mul_i32 s9, s9, s0
	v_rcp_iflag_f32_e32 v1, v1
	v_mul_f32_e32 v1, 0x4f7ffffe, v1
	v_cvt_u32_f32_e32 v1, v1
	v_mul_lo_u32 v2, s12, v1
	v_mul_hi_u32 v2, v1, v2
	v_add_nc_u32_e32 v2, v1, v2
	v_mov_b32_e32 v1, 0
	s_inst_prefetch 0x1
	.p2align	6
.LBB68_2:                               ; =>This Inner Loop Header: Depth=1
	v_lshlrev_b64 v[3:4], 3, v[0:1]
	v_mul_hi_u32 v7, v2, v0
	v_add_co_u32 v3, vcc_lo, s6, v3
	v_add_co_ci_u32_e64 v4, null, s7, v4, vcc_lo
	v_mul_lo_u32 v5, s11, v7
	v_not_b32_e32 v6, v7
	v_add_nc_u32_e32 v8, 1, v7
	global_load_dwordx2 v[3:4], v[3:4], off
	v_sub_nc_u32_e32 v9, v0, v5
	v_mad_u64_u32 v[5:6], null, s11, v6, v[0:1]
	v_cmp_le_u32_e32 vcc_lo, s11, v9
	v_cndmask_b32_e32 v6, v7, v8, vcc_lo
	v_cndmask_b32_e32 v5, v9, v5, vcc_lo
	v_add_nc_u32_e32 v7, 1, v6
	v_cmp_le_u32_e32 vcc_lo, s11, v5
	v_cndmask_b32_e32 v7, v6, v7, vcc_lo
	v_mad_u64_u32 v[5:6], null, s12, v7, v[0:1]
	v_mul_lo_u32 v7, v7, s2
	v_mov_b32_e32 v6, v1
	v_add_nc_u32_e32 v0, s9, v0
	v_mul_lo_u32 v5, v5, s3
	v_cmp_le_u32_e32 vcc_lo, s10, v0
	s_or_b32 s1, vcc_lo, s1
	v_add3_u32 v5, v7, s8, v5
	v_lshlrev_b64 v[5:6], 3, v[5:6]
	v_add_co_u32 v5, s0, s4, v5
	v_add_co_ci_u32_e64 v6, null, s5, v6, s0
	s_waitcnt vmcnt(0)
	global_store_dwordx2 v[5:6], v[3:4], off
	s_andn2_b32 exec_lo, exec_lo, s1
	s_cbranch_execnz .LBB68_2
.LBB68_3:
	s_inst_prefetch 0x2
	s_endpgm
	.section	.rodata,"a",@progbits
	.p2align	6, 0x0
	.amdhsa_kernel _ZN2at6native12_GLOBAL__N_126CatArrayBatchedCopy_contigINS1_10OpaqueTypeILj8EEEjLi2ELi128ELi1EEEvPT_NS1_25CatArrInputTensorMetadataIS5_T0_XT2_EXT3_EEENS1_16TensorSizeStrideIS8_Lj4EEEiS8_
		.amdhsa_group_segment_fixed_size 0
		.amdhsa_private_segment_fixed_size 0
		.amdhsa_kernarg_size 3024
		.amdhsa_user_sgpr_count 6
		.amdhsa_user_sgpr_private_segment_buffer 1
		.amdhsa_user_sgpr_dispatch_ptr 0
		.amdhsa_user_sgpr_queue_ptr 0
		.amdhsa_user_sgpr_kernarg_segment_ptr 1
		.amdhsa_user_sgpr_dispatch_id 0
		.amdhsa_user_sgpr_flat_scratch_init 0
		.amdhsa_user_sgpr_private_segment_size 0
		.amdhsa_wavefront_size32 1
		.amdhsa_uses_dynamic_stack 0
		.amdhsa_system_sgpr_private_segment_wavefront_offset 0
		.amdhsa_system_sgpr_workgroup_id_x 1
		.amdhsa_system_sgpr_workgroup_id_y 1
		.amdhsa_system_sgpr_workgroup_id_z 0
		.amdhsa_system_sgpr_workgroup_info 0
		.amdhsa_system_vgpr_workitem_id 0
		.amdhsa_next_free_vgpr 10
		.amdhsa_next_free_sgpr 17
		.amdhsa_reserve_vcc 1
		.amdhsa_reserve_flat_scratch 0
		.amdhsa_float_round_mode_32 0
		.amdhsa_float_round_mode_16_64 0
		.amdhsa_float_denorm_mode_32 3
		.amdhsa_float_denorm_mode_16_64 3
		.amdhsa_dx10_clamp 1
		.amdhsa_ieee_mode 1
		.amdhsa_fp16_overflow 0
		.amdhsa_workgroup_processor_mode 1
		.amdhsa_memory_ordered 1
		.amdhsa_forward_progress 1
		.amdhsa_shared_vgpr_count 0
		.amdhsa_exception_fp_ieee_invalid_op 0
		.amdhsa_exception_fp_denorm_src 0
		.amdhsa_exception_fp_ieee_div_zero 0
		.amdhsa_exception_fp_ieee_overflow 0
		.amdhsa_exception_fp_ieee_underflow 0
		.amdhsa_exception_fp_ieee_inexact 0
		.amdhsa_exception_int_div_zero 0
	.end_amdhsa_kernel
	.section	.text._ZN2at6native12_GLOBAL__N_126CatArrayBatchedCopy_contigINS1_10OpaqueTypeILj8EEEjLi2ELi128ELi1EEEvPT_NS1_25CatArrInputTensorMetadataIS5_T0_XT2_EXT3_EEENS1_16TensorSizeStrideIS8_Lj4EEEiS8_,"axG",@progbits,_ZN2at6native12_GLOBAL__N_126CatArrayBatchedCopy_contigINS1_10OpaqueTypeILj8EEEjLi2ELi128ELi1EEEvPT_NS1_25CatArrInputTensorMetadataIS5_T0_XT2_EXT3_EEENS1_16TensorSizeStrideIS8_Lj4EEEiS8_,comdat
.Lfunc_end68:
	.size	_ZN2at6native12_GLOBAL__N_126CatArrayBatchedCopy_contigINS1_10OpaqueTypeILj8EEEjLi2ELi128ELi1EEEvPT_NS1_25CatArrInputTensorMetadataIS5_T0_XT2_EXT3_EEENS1_16TensorSizeStrideIS8_Lj4EEEiS8_, .Lfunc_end68-_ZN2at6native12_GLOBAL__N_126CatArrayBatchedCopy_contigINS1_10OpaqueTypeILj8EEEjLi2ELi128ELi1EEEvPT_NS1_25CatArrInputTensorMetadataIS5_T0_XT2_EXT3_EEENS1_16TensorSizeStrideIS8_Lj4EEEiS8_
                                        ; -- End function
	.set _ZN2at6native12_GLOBAL__N_126CatArrayBatchedCopy_contigINS1_10OpaqueTypeILj8EEEjLi2ELi128ELi1EEEvPT_NS1_25CatArrInputTensorMetadataIS5_T0_XT2_EXT3_EEENS1_16TensorSizeStrideIS8_Lj4EEEiS8_.num_vgpr, 10
	.set _ZN2at6native12_GLOBAL__N_126CatArrayBatchedCopy_contigINS1_10OpaqueTypeILj8EEEjLi2ELi128ELi1EEEvPT_NS1_25CatArrInputTensorMetadataIS5_T0_XT2_EXT3_EEENS1_16TensorSizeStrideIS8_Lj4EEEiS8_.num_agpr, 0
	.set _ZN2at6native12_GLOBAL__N_126CatArrayBatchedCopy_contigINS1_10OpaqueTypeILj8EEEjLi2ELi128ELi1EEEvPT_NS1_25CatArrInputTensorMetadataIS5_T0_XT2_EXT3_EEENS1_16TensorSizeStrideIS8_Lj4EEEiS8_.numbered_sgpr, 17
	.set _ZN2at6native12_GLOBAL__N_126CatArrayBatchedCopy_contigINS1_10OpaqueTypeILj8EEEjLi2ELi128ELi1EEEvPT_NS1_25CatArrInputTensorMetadataIS5_T0_XT2_EXT3_EEENS1_16TensorSizeStrideIS8_Lj4EEEiS8_.num_named_barrier, 0
	.set _ZN2at6native12_GLOBAL__N_126CatArrayBatchedCopy_contigINS1_10OpaqueTypeILj8EEEjLi2ELi128ELi1EEEvPT_NS1_25CatArrInputTensorMetadataIS5_T0_XT2_EXT3_EEENS1_16TensorSizeStrideIS8_Lj4EEEiS8_.private_seg_size, 0
	.set _ZN2at6native12_GLOBAL__N_126CatArrayBatchedCopy_contigINS1_10OpaqueTypeILj8EEEjLi2ELi128ELi1EEEvPT_NS1_25CatArrInputTensorMetadataIS5_T0_XT2_EXT3_EEENS1_16TensorSizeStrideIS8_Lj4EEEiS8_.uses_vcc, 1
	.set _ZN2at6native12_GLOBAL__N_126CatArrayBatchedCopy_contigINS1_10OpaqueTypeILj8EEEjLi2ELi128ELi1EEEvPT_NS1_25CatArrInputTensorMetadataIS5_T0_XT2_EXT3_EEENS1_16TensorSizeStrideIS8_Lj4EEEiS8_.uses_flat_scratch, 0
	.set _ZN2at6native12_GLOBAL__N_126CatArrayBatchedCopy_contigINS1_10OpaqueTypeILj8EEEjLi2ELi128ELi1EEEvPT_NS1_25CatArrInputTensorMetadataIS5_T0_XT2_EXT3_EEENS1_16TensorSizeStrideIS8_Lj4EEEiS8_.has_dyn_sized_stack, 0
	.set _ZN2at6native12_GLOBAL__N_126CatArrayBatchedCopy_contigINS1_10OpaqueTypeILj8EEEjLi2ELi128ELi1EEEvPT_NS1_25CatArrInputTensorMetadataIS5_T0_XT2_EXT3_EEENS1_16TensorSizeStrideIS8_Lj4EEEiS8_.has_recursion, 0
	.set _ZN2at6native12_GLOBAL__N_126CatArrayBatchedCopy_contigINS1_10OpaqueTypeILj8EEEjLi2ELi128ELi1EEEvPT_NS1_25CatArrInputTensorMetadataIS5_T0_XT2_EXT3_EEENS1_16TensorSizeStrideIS8_Lj4EEEiS8_.has_indirect_call, 0
	.section	.AMDGPU.csdata,"",@progbits
; Kernel info:
; codeLenInByte = 512
; TotalNumSgprs: 19
; NumVgprs: 10
; ScratchSize: 0
; MemoryBound: 0
; FloatMode: 240
; IeeeMode: 1
; LDSByteSize: 0 bytes/workgroup (compile time only)
; SGPRBlocks: 0
; VGPRBlocks: 1
; NumSGPRsForWavesPerEU: 19
; NumVGPRsForWavesPerEU: 10
; Occupancy: 16
; WaveLimiterHint : 1
; COMPUTE_PGM_RSRC2:SCRATCH_EN: 0
; COMPUTE_PGM_RSRC2:USER_SGPR: 6
; COMPUTE_PGM_RSRC2:TRAP_HANDLER: 0
; COMPUTE_PGM_RSRC2:TGID_X_EN: 1
; COMPUTE_PGM_RSRC2:TGID_Y_EN: 1
; COMPUTE_PGM_RSRC2:TGID_Z_EN: 0
; COMPUTE_PGM_RSRC2:TIDIG_COMP_CNT: 0
	.section	.text._ZN2at6native12_GLOBAL__N_119CatArrayBatchedCopyINS1_10OpaqueTypeILj8EEEjLi2ELi128ELi1EEEvPT_NS1_25CatArrInputTensorMetadataIS5_T0_XT2_EXT3_EEENS1_16TensorSizeStrideIS8_Lj4EEEiS8_,"axG",@progbits,_ZN2at6native12_GLOBAL__N_119CatArrayBatchedCopyINS1_10OpaqueTypeILj8EEEjLi2ELi128ELi1EEEvPT_NS1_25CatArrInputTensorMetadataIS5_T0_XT2_EXT3_EEENS1_16TensorSizeStrideIS8_Lj4EEEiS8_,comdat
	.globl	_ZN2at6native12_GLOBAL__N_119CatArrayBatchedCopyINS1_10OpaqueTypeILj8EEEjLi2ELi128ELi1EEEvPT_NS1_25CatArrInputTensorMetadataIS5_T0_XT2_EXT3_EEENS1_16TensorSizeStrideIS8_Lj4EEEiS8_ ; -- Begin function _ZN2at6native12_GLOBAL__N_119CatArrayBatchedCopyINS1_10OpaqueTypeILj8EEEjLi2ELi128ELi1EEEvPT_NS1_25CatArrInputTensorMetadataIS5_T0_XT2_EXT3_EEENS1_16TensorSizeStrideIS8_Lj4EEEiS8_
	.p2align	8
	.type	_ZN2at6native12_GLOBAL__N_119CatArrayBatchedCopyINS1_10OpaqueTypeILj8EEEjLi2ELi128ELi1EEEvPT_NS1_25CatArrInputTensorMetadataIS5_T0_XT2_EXT3_EEENS1_16TensorSizeStrideIS8_Lj4EEEiS8_,@function
_ZN2at6native12_GLOBAL__N_119CatArrayBatchedCopyINS1_10OpaqueTypeILj8EEEjLi2ELi128ELi1EEEvPT_NS1_25CatArrInputTensorMetadataIS5_T0_XT2_EXT3_EEENS1_16TensorSizeStrideIS8_Lj4EEEiS8_: ; @_ZN2at6native12_GLOBAL__N_119CatArrayBatchedCopyINS1_10OpaqueTypeILj8EEEjLi2ELi128ELi1EEEvPT_NS1_25CatArrInputTensorMetadataIS5_T0_XT2_EXT3_EEENS1_16TensorSizeStrideIS8_Lj4EEEiS8_
; %bb.0:
	s_load_dword s3, s[4:5], 0xadc
	s_mov_b32 s0, s7
	s_or_b32 s2, s4, 8
	s_mov_b32 s1, 0
	s_add_u32 s8, s4, 0xad0
	s_addc_u32 s9, s5, 0
	s_lshl_b64 s[10:11], s[0:1], 2
	s_waitcnt lgkmcnt(0)
	s_and_b32 s17, s3, 0xffff
	s_add_u32 s12, s2, s10
	s_addc_u32 s13, s5, s11
	v_mad_u64_u32 v[0:1], null, s6, s17, v[0:1]
	s_load_dword s14, s[12:13], 0x800
	s_mov_b32 s6, exec_lo
	s_waitcnt lgkmcnt(0)
	v_cmpx_gt_u32_e64 s14, v0
	s_cbranch_execz .LBB69_5
; %bb.1:
	v_mov_b32_e32 v1, 0x800
	s_add_u32 s6, s2, s0
	s_addc_u32 s7, s5, 0
	s_mov_b32 s3, s5
	global_load_ubyte v1, v1, s[6:7] offset:512
	s_waitcnt vmcnt(0)
	v_and_b32_e32 v1, 1, v1
	v_cmp_eq_u32_e32 vcc_lo, 1, v1
	s_xor_b32 s15, vcc_lo, -1
	s_add_u32 s18, s12, s10
	s_addc_u32 s19, s13, s11
	s_sub_u32 s0, 0, s10
	s_subb_u32 s7, 0, s11
	s_add_u32 s6, s18, s0
	s_addc_u32 s7, s19, s7
	s_clause 0x5
	s_load_dwordx2 s[20:21], s[4:5], 0xac8
	s_load_dword s0, s[6:7], 0x600
	s_load_dword s10, s[4:5], 0xaac
	;; [unrolled: 1-line block ×3, first 2 shown]
	s_load_dwordx2 s[2:3], s[2:3], 0xa90
	s_load_dword s16, s[6:7], 0x400
	s_waitcnt lgkmcnt(0)
	s_cmp_eq_u32 s20, 1
	s_cselect_b32 s10, s0, s10
	s_cselect_b32 s11, s0, s11
	v_cvt_f32_u32_e32 v1, s10
	v_cvt_f32_u32_e32 v2, s11
	s_sub_i32 s12, 0, s10
	s_sub_i32 s13, 0, s11
	s_load_dword s0, s[8:9], 0x0
	v_rcp_iflag_f32_e32 v1, v1
	v_rcp_iflag_f32_e32 v2, v2
	s_clause 0x2
	s_load_dwordx2 s[6:7], s[4:5], 0x0
	s_load_dwordx2 s[4:5], s[4:5], 0xab8
	s_load_dwordx2 s[8:9], s[18:19], 0x0
	s_mul_i32 s16, s16, s21
	v_mul_f32_e32 v1, 0x4f7ffffe, v1
	v_mul_f32_e32 v2, 0x4f7ffffe, v2
	v_cvt_u32_f32_e32 v3, v1
	v_cvt_u32_f32_e32 v2, v2
	s_waitcnt lgkmcnt(0)
	s_mul_i32 s17, s0, s17
	v_mul_lo_u32 v1, s12, v3
	v_mul_lo_u32 v4, s13, v2
	v_mul_hi_u32 v5, v3, v1
	v_mul_hi_u32 v6, v2, v4
	v_mov_b32_e32 v1, 0
	v_add_nc_u32_e32 v4, v3, v5
	v_add_nc_u32_e32 v5, v2, v6
	s_branch .LBB69_3
.LBB69_2:                               ;   in Loop: Header=BB69_3 Depth=1
	v_lshlrev_b64 v[2:3], 3, v[2:3]
	v_mul_hi_u32 v9, v4, v0
	v_add_co_u32 v2, vcc_lo, s8, v2
	v_add_co_ci_u32_e64 v3, null, s9, v3, vcc_lo
	v_not_b32_e32 v8, v9
	v_mad_u64_u32 v[6:7], null, s12, v9, v[0:1]
	global_load_dwordx2 v[2:3], v[2:3], off
	v_add_nc_u32_e32 v10, 1, v9
	v_mad_u64_u32 v[7:8], null, s10, v8, v[0:1]
	v_cmp_le_u32_e32 vcc_lo, s10, v6
	v_cndmask_b32_e32 v8, v9, v10, vcc_lo
	v_cndmask_b32_e32 v6, v6, v7, vcc_lo
	v_add_nc_u32_e32 v7, 1, v8
	v_cmp_le_u32_e32 vcc_lo, s10, v6
	v_cndmask_b32_e32 v8, v8, v7, vcc_lo
	v_mad_u64_u32 v[6:7], null, s12, v8, v[0:1]
	v_mul_lo_u32 v7, v8, s4
	v_add_nc_u32_e32 v0, s17, v0
	v_mul_lo_u32 v6, v6, s5
	v_cmp_le_u32_e32 vcc_lo, s14, v0
	s_or_b32 s1, vcc_lo, s1
	v_add3_u32 v6, v6, v7, s16
	v_mov_b32_e32 v7, v1
	v_lshlrev_b64 v[6:7], 3, v[6:7]
	v_add_co_u32 v6, s0, s6, v6
	v_add_co_ci_u32_e64 v7, null, s7, v7, s0
	s_waitcnt vmcnt(0)
	global_store_dwordx2 v[6:7], v[2:3], off
	s_andn2_b32 exec_lo, exec_lo, s1
	s_cbranch_execz .LBB69_5
.LBB69_3:                               ; =>This Inner Loop Header: Depth=1
	v_mov_b32_e32 v3, v1
	v_mov_b32_e32 v2, v0
	s_andn2_b32 vcc_lo, exec_lo, s15
	s_cbranch_vccnz .LBB69_2
; %bb.4:                                ;   in Loop: Header=BB69_3 Depth=1
	v_mul_hi_u32 v8, v5, v0
	v_not_b32_e32 v6, v8
	v_mad_u64_u32 v[2:3], null, s13, v8, v[0:1]
	v_add_nc_u32_e32 v3, 1, v8
	v_mad_u64_u32 v[6:7], null, s11, v6, v[0:1]
	v_cmp_le_u32_e32 vcc_lo, s11, v2
	v_cndmask_b32_e32 v3, v8, v3, vcc_lo
	v_cndmask_b32_e32 v2, v2, v6, vcc_lo
	v_add_nc_u32_e32 v6, 1, v3
	v_cmp_le_u32_e32 vcc_lo, s11, v2
	v_cndmask_b32_e32 v6, v3, v6, vcc_lo
	v_mad_u64_u32 v[2:3], null, s13, v6, v[0:1]
	v_mul_lo_u32 v3, v6, s2
	v_mad_u64_u32 v[2:3], null, v2, s3, v[3:4]
	v_mov_b32_e32 v3, v1
	s_branch .LBB69_2
.LBB69_5:
	s_endpgm
	.section	.rodata,"a",@progbits
	.p2align	6, 0x0
	.amdhsa_kernel _ZN2at6native12_GLOBAL__N_119CatArrayBatchedCopyINS1_10OpaqueTypeILj8EEEjLi2ELi128ELi1EEEvPT_NS1_25CatArrInputTensorMetadataIS5_T0_XT2_EXT3_EEENS1_16TensorSizeStrideIS8_Lj4EEEiS8_
		.amdhsa_group_segment_fixed_size 0
		.amdhsa_private_segment_fixed_size 0
		.amdhsa_kernarg_size 3024
		.amdhsa_user_sgpr_count 6
		.amdhsa_user_sgpr_private_segment_buffer 1
		.amdhsa_user_sgpr_dispatch_ptr 0
		.amdhsa_user_sgpr_queue_ptr 0
		.amdhsa_user_sgpr_kernarg_segment_ptr 1
		.amdhsa_user_sgpr_dispatch_id 0
		.amdhsa_user_sgpr_flat_scratch_init 0
		.amdhsa_user_sgpr_private_segment_size 0
		.amdhsa_wavefront_size32 1
		.amdhsa_uses_dynamic_stack 0
		.amdhsa_system_sgpr_private_segment_wavefront_offset 0
		.amdhsa_system_sgpr_workgroup_id_x 1
		.amdhsa_system_sgpr_workgroup_id_y 1
		.amdhsa_system_sgpr_workgroup_id_z 0
		.amdhsa_system_sgpr_workgroup_info 0
		.amdhsa_system_vgpr_workitem_id 0
		.amdhsa_next_free_vgpr 11
		.amdhsa_next_free_sgpr 22
		.amdhsa_reserve_vcc 1
		.amdhsa_reserve_flat_scratch 0
		.amdhsa_float_round_mode_32 0
		.amdhsa_float_round_mode_16_64 0
		.amdhsa_float_denorm_mode_32 3
		.amdhsa_float_denorm_mode_16_64 3
		.amdhsa_dx10_clamp 1
		.amdhsa_ieee_mode 1
		.amdhsa_fp16_overflow 0
		.amdhsa_workgroup_processor_mode 1
		.amdhsa_memory_ordered 1
		.amdhsa_forward_progress 1
		.amdhsa_shared_vgpr_count 0
		.amdhsa_exception_fp_ieee_invalid_op 0
		.amdhsa_exception_fp_denorm_src 0
		.amdhsa_exception_fp_ieee_div_zero 0
		.amdhsa_exception_fp_ieee_overflow 0
		.amdhsa_exception_fp_ieee_underflow 0
		.amdhsa_exception_fp_ieee_inexact 0
		.amdhsa_exception_int_div_zero 0
	.end_amdhsa_kernel
	.section	.text._ZN2at6native12_GLOBAL__N_119CatArrayBatchedCopyINS1_10OpaqueTypeILj8EEEjLi2ELi128ELi1EEEvPT_NS1_25CatArrInputTensorMetadataIS5_T0_XT2_EXT3_EEENS1_16TensorSizeStrideIS8_Lj4EEEiS8_,"axG",@progbits,_ZN2at6native12_GLOBAL__N_119CatArrayBatchedCopyINS1_10OpaqueTypeILj8EEEjLi2ELi128ELi1EEEvPT_NS1_25CatArrInputTensorMetadataIS5_T0_XT2_EXT3_EEENS1_16TensorSizeStrideIS8_Lj4EEEiS8_,comdat
.Lfunc_end69:
	.size	_ZN2at6native12_GLOBAL__N_119CatArrayBatchedCopyINS1_10OpaqueTypeILj8EEEjLi2ELi128ELi1EEEvPT_NS1_25CatArrInputTensorMetadataIS5_T0_XT2_EXT3_EEENS1_16TensorSizeStrideIS8_Lj4EEEiS8_, .Lfunc_end69-_ZN2at6native12_GLOBAL__N_119CatArrayBatchedCopyINS1_10OpaqueTypeILj8EEEjLi2ELi128ELi1EEEvPT_NS1_25CatArrInputTensorMetadataIS5_T0_XT2_EXT3_EEENS1_16TensorSizeStrideIS8_Lj4EEEiS8_
                                        ; -- End function
	.set _ZN2at6native12_GLOBAL__N_119CatArrayBatchedCopyINS1_10OpaqueTypeILj8EEEjLi2ELi128ELi1EEEvPT_NS1_25CatArrInputTensorMetadataIS5_T0_XT2_EXT3_EEENS1_16TensorSizeStrideIS8_Lj4EEEiS8_.num_vgpr, 11
	.set _ZN2at6native12_GLOBAL__N_119CatArrayBatchedCopyINS1_10OpaqueTypeILj8EEEjLi2ELi128ELi1EEEvPT_NS1_25CatArrInputTensorMetadataIS5_T0_XT2_EXT3_EEENS1_16TensorSizeStrideIS8_Lj4EEEiS8_.num_agpr, 0
	.set _ZN2at6native12_GLOBAL__N_119CatArrayBatchedCopyINS1_10OpaqueTypeILj8EEEjLi2ELi128ELi1EEEvPT_NS1_25CatArrInputTensorMetadataIS5_T0_XT2_EXT3_EEENS1_16TensorSizeStrideIS8_Lj4EEEiS8_.numbered_sgpr, 22
	.set _ZN2at6native12_GLOBAL__N_119CatArrayBatchedCopyINS1_10OpaqueTypeILj8EEEjLi2ELi128ELi1EEEvPT_NS1_25CatArrInputTensorMetadataIS5_T0_XT2_EXT3_EEENS1_16TensorSizeStrideIS8_Lj4EEEiS8_.num_named_barrier, 0
	.set _ZN2at6native12_GLOBAL__N_119CatArrayBatchedCopyINS1_10OpaqueTypeILj8EEEjLi2ELi128ELi1EEEvPT_NS1_25CatArrInputTensorMetadataIS5_T0_XT2_EXT3_EEENS1_16TensorSizeStrideIS8_Lj4EEEiS8_.private_seg_size, 0
	.set _ZN2at6native12_GLOBAL__N_119CatArrayBatchedCopyINS1_10OpaqueTypeILj8EEEjLi2ELi128ELi1EEEvPT_NS1_25CatArrInputTensorMetadataIS5_T0_XT2_EXT3_EEENS1_16TensorSizeStrideIS8_Lj4EEEiS8_.uses_vcc, 1
	.set _ZN2at6native12_GLOBAL__N_119CatArrayBatchedCopyINS1_10OpaqueTypeILj8EEEjLi2ELi128ELi1EEEvPT_NS1_25CatArrInputTensorMetadataIS5_T0_XT2_EXT3_EEENS1_16TensorSizeStrideIS8_Lj4EEEiS8_.uses_flat_scratch, 0
	.set _ZN2at6native12_GLOBAL__N_119CatArrayBatchedCopyINS1_10OpaqueTypeILj8EEEjLi2ELi128ELi1EEEvPT_NS1_25CatArrInputTensorMetadataIS5_T0_XT2_EXT3_EEENS1_16TensorSizeStrideIS8_Lj4EEEiS8_.has_dyn_sized_stack, 0
	.set _ZN2at6native12_GLOBAL__N_119CatArrayBatchedCopyINS1_10OpaqueTypeILj8EEEjLi2ELi128ELi1EEEvPT_NS1_25CatArrInputTensorMetadataIS5_T0_XT2_EXT3_EEENS1_16TensorSizeStrideIS8_Lj4EEEiS8_.has_recursion, 0
	.set _ZN2at6native12_GLOBAL__N_119CatArrayBatchedCopyINS1_10OpaqueTypeILj8EEEjLi2ELi128ELi1EEEvPT_NS1_25CatArrInputTensorMetadataIS5_T0_XT2_EXT3_EEENS1_16TensorSizeStrideIS8_Lj4EEEiS8_.has_indirect_call, 0
	.section	.AMDGPU.csdata,"",@progbits
; Kernel info:
; codeLenInByte = 660
; TotalNumSgprs: 24
; NumVgprs: 11
; ScratchSize: 0
; MemoryBound: 0
; FloatMode: 240
; IeeeMode: 1
; LDSByteSize: 0 bytes/workgroup (compile time only)
; SGPRBlocks: 0
; VGPRBlocks: 1
; NumSGPRsForWavesPerEU: 24
; NumVGPRsForWavesPerEU: 11
; Occupancy: 16
; WaveLimiterHint : 1
; COMPUTE_PGM_RSRC2:SCRATCH_EN: 0
; COMPUTE_PGM_RSRC2:USER_SGPR: 6
; COMPUTE_PGM_RSRC2:TRAP_HANDLER: 0
; COMPUTE_PGM_RSRC2:TGID_X_EN: 1
; COMPUTE_PGM_RSRC2:TGID_Y_EN: 1
; COMPUTE_PGM_RSRC2:TGID_Z_EN: 0
; COMPUTE_PGM_RSRC2:TIDIG_COMP_CNT: 0
	.section	.text._ZN2at6native12_GLOBAL__N_130CatArrayBatchedCopy_vectorizedINS1_10OpaqueTypeILj8EEEjLi3ELi128ELi1ELi16ELi2EEEvPcNS1_25CatArrInputTensorMetadataIT_T0_XT2_EXT3_EEENS1_16TensorSizeStrideIS8_Lj4EEEiS8_,"axG",@progbits,_ZN2at6native12_GLOBAL__N_130CatArrayBatchedCopy_vectorizedINS1_10OpaqueTypeILj8EEEjLi3ELi128ELi1ELi16ELi2EEEvPcNS1_25CatArrInputTensorMetadataIT_T0_XT2_EXT3_EEENS1_16TensorSizeStrideIS8_Lj4EEEiS8_,comdat
	.globl	_ZN2at6native12_GLOBAL__N_130CatArrayBatchedCopy_vectorizedINS1_10OpaqueTypeILj8EEEjLi3ELi128ELi1ELi16ELi2EEEvPcNS1_25CatArrInputTensorMetadataIT_T0_XT2_EXT3_EEENS1_16TensorSizeStrideIS8_Lj4EEEiS8_ ; -- Begin function _ZN2at6native12_GLOBAL__N_130CatArrayBatchedCopy_vectorizedINS1_10OpaqueTypeILj8EEEjLi3ELi128ELi1ELi16ELi2EEEvPcNS1_25CatArrInputTensorMetadataIT_T0_XT2_EXT3_EEENS1_16TensorSizeStrideIS8_Lj4EEEiS8_
	.p2align	8
	.type	_ZN2at6native12_GLOBAL__N_130CatArrayBatchedCopy_vectorizedINS1_10OpaqueTypeILj8EEEjLi3ELi128ELi1ELi16ELi2EEEvPcNS1_25CatArrInputTensorMetadataIT_T0_XT2_EXT3_EEENS1_16TensorSizeStrideIS8_Lj4EEEiS8_,@function
_ZN2at6native12_GLOBAL__N_130CatArrayBatchedCopy_vectorizedINS1_10OpaqueTypeILj8EEEjLi3ELi128ELi1ELi16ELi2EEEvPcNS1_25CatArrInputTensorMetadataIT_T0_XT2_EXT3_EEENS1_16TensorSizeStrideIS8_Lj4EEEiS8_: ; @_ZN2at6native12_GLOBAL__N_130CatArrayBatchedCopy_vectorizedINS1_10OpaqueTypeILj8EEEjLi3ELi128ELi1ELi16ELi2EEEvPcNS1_25CatArrInputTensorMetadataIT_T0_XT2_EXT3_EEENS1_16TensorSizeStrideIS8_Lj4EEEiS8_
; %bb.0:
	s_mov_b32 s0, s7
	s_load_dword s7, s[4:5], 0xadc
	s_mov_b32 s1, 0
	s_add_u32 s2, s4, 0xad0
	s_addc_u32 s3, s5, 0
	s_lshl_b64 s[8:9], s[0:1], 2
	s_waitcnt lgkmcnt(0)
	s_and_b32 s13, s7, 0xffff
	s_add_u32 s10, s4, s8
	s_addc_u32 s11, s5, s9
	v_mad_u64_u32 v[0:1], null, s6, s13, v[0:1]
	s_load_dword s12, s[10:11], 0x808
	s_add_u32 s0, s10, 8
	s_addc_u32 s7, s11, 0
	s_mov_b32 s10, exec_lo
	s_waitcnt lgkmcnt(0)
	s_lshr_b32 s6, s12, 1
	v_cmpx_gt_u32_e64 s6, v0
	s_cbranch_execz .LBB70_3
; %bb.1:
	s_add_u32 s14, s0, s8
	s_addc_u32 s15, s7, s9
	s_sub_u32 s0, 0, s8
	s_subb_u32 s7, 0, s9
	s_add_u32 s8, s14, s0
	s_addc_u32 s9, s15, s7
	s_clause 0x5
	s_load_dwordx2 s[16:17], s[4:5], 0xac8
	s_load_dword s0, s[8:9], 0x400
	s_load_dword s7, s[8:9], 0x600
	s_load_dwordx2 s[18:19], s[4:5], 0xaac
	s_load_dwordx4 s[8:11], s[4:5], 0xab8
	s_load_dwordx2 s[22:23], s[4:5], 0x0
	s_waitcnt lgkmcnt(0)
	s_mul_i32 s0, s0, s17
	s_mul_i32 s7, s7, s17
	s_lshr_b32 s0, s0, 1
	s_lshr_b32 s7, s7, 1
	s_lshl_b64 s[20:21], s[0:1], 4
	s_cmp_eq_u32 s16, 2
	s_cselect_b32 s4, s7, s19
	s_cmp_eq_u32 s16, 1
	v_cvt_f32_u32_e32 v1, s4
	s_cselect_b32 s5, s7, s18
	s_add_u32 s7, s22, s20
	v_cvt_f32_u32_e32 v2, s5
	s_addc_u32 s11, s23, s21
	v_rcp_iflag_f32_e32 v1, v1
	s_sub_i32 s12, 0, s4
	s_sub_i32 s0, 0, s5
	v_rcp_iflag_f32_e32 v2, v2
	s_load_dword s16, s[2:3], 0x0
	s_load_dwordx2 s[2:3], s[14:15], 0x0
	v_mul_f32_e32 v1, 0x4f7ffffe, v1
	v_mul_f32_e32 v2, 0x4f7ffffe, v2
	v_cvt_u32_f32_e32 v1, v1
	v_cvt_u32_f32_e32 v3, v2
	v_mul_lo_u32 v2, s12, v1
	v_mul_lo_u32 v4, s0, v3
	s_waitcnt lgkmcnt(0)
	s_mul_i32 s13, s16, s13
	v_mul_hi_u32 v2, v1, v2
	v_mul_hi_u32 v4, v3, v4
	v_add_nc_u32_e32 v2, v1, v2
	v_mov_b32_e32 v1, 0
	v_add_nc_u32_e32 v3, v3, v4
.LBB70_2:                               ; =>This Inner Loop Header: Depth=1
	v_lshlrev_b64 v[4:5], 4, v[0:1]
	v_mul_hi_u32 v10, v2, v0
	v_add_co_u32 v4, vcc_lo, s2, v4
	v_add_co_ci_u32_e64 v5, null, s3, v5, vcc_lo
	v_mul_lo_u32 v11, s4, v10
	v_not_b32_e32 v8, v10
	v_add_nc_u32_e32 v12, 1, v10
	global_load_dwordx4 v[4:7], v[4:5], off
	v_mad_u64_u32 v[8:9], null, s4, v8, v[0:1]
	v_sub_nc_u32_e32 v9, v0, v11
	v_cmp_le_u32_e32 vcc_lo, s4, v9
	v_cndmask_b32_e32 v10, v10, v12, vcc_lo
	v_cndmask_b32_e32 v8, v9, v8, vcc_lo
	v_add_nc_u32_e32 v9, 1, v10
	v_cmp_le_u32_e32 vcc_lo, s4, v8
	v_cndmask_b32_e32 v10, v10, v9, vcc_lo
	v_mul_hi_u32 v8, v10, v3
	v_mul_lo_u32 v9, v8, s5
	v_add_nc_u32_e32 v11, 1, v8
	v_sub_nc_u32_e32 v9, v10, v9
	v_subrev_nc_u32_e32 v12, s5, v9
	v_cmp_le_u32_e32 vcc_lo, s5, v9
	v_cndmask_b32_e32 v8, v8, v11, vcc_lo
	v_cndmask_b32_e32 v9, v9, v12, vcc_lo
	v_add_nc_u32_e32 v11, 1, v8
	v_cmp_le_u32_e32 vcc_lo, s5, v9
	v_cndmask_b32_e32 v11, v8, v11, vcc_lo
	v_mad_u64_u32 v[8:9], null, s12, v10, v[0:1]
	v_add_nc_u32_e32 v0, s13, v0
	v_mul_lo_u32 v12, v11, s5
	v_cmp_le_u32_e32 vcc_lo, s6, v0
	v_mul_lo_u32 v8, v8, s10
	v_sub_nc_u32_e32 v9, v10, v12
	v_mul_lo_u32 v10, v11, s8
	s_or_b32 s1, vcc_lo, s1
	v_mul_lo_u32 v11, v9, s9
	v_mov_b32_e32 v9, v1
	v_add3_u32 v8, v8, v10, v11
	v_lshlrev_b64 v[8:9], 4, v[8:9]
	v_add_co_u32 v8, s0, s7, v8
	v_add_co_ci_u32_e64 v9, null, s11, v9, s0
	s_waitcnt vmcnt(0)
	global_store_dwordx4 v[8:9], v[4:7], off
	s_andn2_b32 exec_lo, exec_lo, s1
	s_cbranch_execnz .LBB70_2
.LBB70_3:
	s_endpgm
	.section	.rodata,"a",@progbits
	.p2align	6, 0x0
	.amdhsa_kernel _ZN2at6native12_GLOBAL__N_130CatArrayBatchedCopy_vectorizedINS1_10OpaqueTypeILj8EEEjLi3ELi128ELi1ELi16ELi2EEEvPcNS1_25CatArrInputTensorMetadataIT_T0_XT2_EXT3_EEENS1_16TensorSizeStrideIS8_Lj4EEEiS8_
		.amdhsa_group_segment_fixed_size 0
		.amdhsa_private_segment_fixed_size 0
		.amdhsa_kernarg_size 3024
		.amdhsa_user_sgpr_count 6
		.amdhsa_user_sgpr_private_segment_buffer 1
		.amdhsa_user_sgpr_dispatch_ptr 0
		.amdhsa_user_sgpr_queue_ptr 0
		.amdhsa_user_sgpr_kernarg_segment_ptr 1
		.amdhsa_user_sgpr_dispatch_id 0
		.amdhsa_user_sgpr_flat_scratch_init 0
		.amdhsa_user_sgpr_private_segment_size 0
		.amdhsa_wavefront_size32 1
		.amdhsa_uses_dynamic_stack 0
		.amdhsa_system_sgpr_private_segment_wavefront_offset 0
		.amdhsa_system_sgpr_workgroup_id_x 1
		.amdhsa_system_sgpr_workgroup_id_y 1
		.amdhsa_system_sgpr_workgroup_id_z 0
		.amdhsa_system_sgpr_workgroup_info 0
		.amdhsa_system_vgpr_workitem_id 0
		.amdhsa_next_free_vgpr 13
		.amdhsa_next_free_sgpr 24
		.amdhsa_reserve_vcc 1
		.amdhsa_reserve_flat_scratch 0
		.amdhsa_float_round_mode_32 0
		.amdhsa_float_round_mode_16_64 0
		.amdhsa_float_denorm_mode_32 3
		.amdhsa_float_denorm_mode_16_64 3
		.amdhsa_dx10_clamp 1
		.amdhsa_ieee_mode 1
		.amdhsa_fp16_overflow 0
		.amdhsa_workgroup_processor_mode 1
		.amdhsa_memory_ordered 1
		.amdhsa_forward_progress 1
		.amdhsa_shared_vgpr_count 0
		.amdhsa_exception_fp_ieee_invalid_op 0
		.amdhsa_exception_fp_denorm_src 0
		.amdhsa_exception_fp_ieee_div_zero 0
		.amdhsa_exception_fp_ieee_overflow 0
		.amdhsa_exception_fp_ieee_underflow 0
		.amdhsa_exception_fp_ieee_inexact 0
		.amdhsa_exception_int_div_zero 0
	.end_amdhsa_kernel
	.section	.text._ZN2at6native12_GLOBAL__N_130CatArrayBatchedCopy_vectorizedINS1_10OpaqueTypeILj8EEEjLi3ELi128ELi1ELi16ELi2EEEvPcNS1_25CatArrInputTensorMetadataIT_T0_XT2_EXT3_EEENS1_16TensorSizeStrideIS8_Lj4EEEiS8_,"axG",@progbits,_ZN2at6native12_GLOBAL__N_130CatArrayBatchedCopy_vectorizedINS1_10OpaqueTypeILj8EEEjLi3ELi128ELi1ELi16ELi2EEEvPcNS1_25CatArrInputTensorMetadataIT_T0_XT2_EXT3_EEENS1_16TensorSizeStrideIS8_Lj4EEEiS8_,comdat
.Lfunc_end70:
	.size	_ZN2at6native12_GLOBAL__N_130CatArrayBatchedCopy_vectorizedINS1_10OpaqueTypeILj8EEEjLi3ELi128ELi1ELi16ELi2EEEvPcNS1_25CatArrInputTensorMetadataIT_T0_XT2_EXT3_EEENS1_16TensorSizeStrideIS8_Lj4EEEiS8_, .Lfunc_end70-_ZN2at6native12_GLOBAL__N_130CatArrayBatchedCopy_vectorizedINS1_10OpaqueTypeILj8EEEjLi3ELi128ELi1ELi16ELi2EEEvPcNS1_25CatArrInputTensorMetadataIT_T0_XT2_EXT3_EEENS1_16TensorSizeStrideIS8_Lj4EEEiS8_
                                        ; -- End function
	.set _ZN2at6native12_GLOBAL__N_130CatArrayBatchedCopy_vectorizedINS1_10OpaqueTypeILj8EEEjLi3ELi128ELi1ELi16ELi2EEEvPcNS1_25CatArrInputTensorMetadataIT_T0_XT2_EXT3_EEENS1_16TensorSizeStrideIS8_Lj4EEEiS8_.num_vgpr, 13
	.set _ZN2at6native12_GLOBAL__N_130CatArrayBatchedCopy_vectorizedINS1_10OpaqueTypeILj8EEEjLi3ELi128ELi1ELi16ELi2EEEvPcNS1_25CatArrInputTensorMetadataIT_T0_XT2_EXT3_EEENS1_16TensorSizeStrideIS8_Lj4EEEiS8_.num_agpr, 0
	.set _ZN2at6native12_GLOBAL__N_130CatArrayBatchedCopy_vectorizedINS1_10OpaqueTypeILj8EEEjLi3ELi128ELi1ELi16ELi2EEEvPcNS1_25CatArrInputTensorMetadataIT_T0_XT2_EXT3_EEENS1_16TensorSizeStrideIS8_Lj4EEEiS8_.numbered_sgpr, 24
	.set _ZN2at6native12_GLOBAL__N_130CatArrayBatchedCopy_vectorizedINS1_10OpaqueTypeILj8EEEjLi3ELi128ELi1ELi16ELi2EEEvPcNS1_25CatArrInputTensorMetadataIT_T0_XT2_EXT3_EEENS1_16TensorSizeStrideIS8_Lj4EEEiS8_.num_named_barrier, 0
	.set _ZN2at6native12_GLOBAL__N_130CatArrayBatchedCopy_vectorizedINS1_10OpaqueTypeILj8EEEjLi3ELi128ELi1ELi16ELi2EEEvPcNS1_25CatArrInputTensorMetadataIT_T0_XT2_EXT3_EEENS1_16TensorSizeStrideIS8_Lj4EEEiS8_.private_seg_size, 0
	.set _ZN2at6native12_GLOBAL__N_130CatArrayBatchedCopy_vectorizedINS1_10OpaqueTypeILj8EEEjLi3ELi128ELi1ELi16ELi2EEEvPcNS1_25CatArrInputTensorMetadataIT_T0_XT2_EXT3_EEENS1_16TensorSizeStrideIS8_Lj4EEEiS8_.uses_vcc, 1
	.set _ZN2at6native12_GLOBAL__N_130CatArrayBatchedCopy_vectorizedINS1_10OpaqueTypeILj8EEEjLi3ELi128ELi1ELi16ELi2EEEvPcNS1_25CatArrInputTensorMetadataIT_T0_XT2_EXT3_EEENS1_16TensorSizeStrideIS8_Lj4EEEiS8_.uses_flat_scratch, 0
	.set _ZN2at6native12_GLOBAL__N_130CatArrayBatchedCopy_vectorizedINS1_10OpaqueTypeILj8EEEjLi3ELi128ELi1ELi16ELi2EEEvPcNS1_25CatArrInputTensorMetadataIT_T0_XT2_EXT3_EEENS1_16TensorSizeStrideIS8_Lj4EEEiS8_.has_dyn_sized_stack, 0
	.set _ZN2at6native12_GLOBAL__N_130CatArrayBatchedCopy_vectorizedINS1_10OpaqueTypeILj8EEEjLi3ELi128ELi1ELi16ELi2EEEvPcNS1_25CatArrInputTensorMetadataIT_T0_XT2_EXT3_EEENS1_16TensorSizeStrideIS8_Lj4EEEiS8_.has_recursion, 0
	.set _ZN2at6native12_GLOBAL__N_130CatArrayBatchedCopy_vectorizedINS1_10OpaqueTypeILj8EEEjLi3ELi128ELi1ELi16ELi2EEEvPcNS1_25CatArrInputTensorMetadataIT_T0_XT2_EXT3_EEENS1_16TensorSizeStrideIS8_Lj4EEEiS8_.has_indirect_call, 0
	.section	.AMDGPU.csdata,"",@progbits
; Kernel info:
; codeLenInByte = 600
; TotalNumSgprs: 26
; NumVgprs: 13
; ScratchSize: 0
; MemoryBound: 0
; FloatMode: 240
; IeeeMode: 1
; LDSByteSize: 0 bytes/workgroup (compile time only)
; SGPRBlocks: 0
; VGPRBlocks: 1
; NumSGPRsForWavesPerEU: 26
; NumVGPRsForWavesPerEU: 13
; Occupancy: 16
; WaveLimiterHint : 1
; COMPUTE_PGM_RSRC2:SCRATCH_EN: 0
; COMPUTE_PGM_RSRC2:USER_SGPR: 6
; COMPUTE_PGM_RSRC2:TRAP_HANDLER: 0
; COMPUTE_PGM_RSRC2:TGID_X_EN: 1
; COMPUTE_PGM_RSRC2:TGID_Y_EN: 1
; COMPUTE_PGM_RSRC2:TGID_Z_EN: 0
; COMPUTE_PGM_RSRC2:TIDIG_COMP_CNT: 0
	.section	.text._ZN2at6native12_GLOBAL__N_135CatArrayBatchedCopy_alignedK_contigINS1_10OpaqueTypeILj8EEEjLi3ELi128ELi1ELi16EEEvPT_NS1_25CatArrInputTensorMetadataIS5_T0_XT2_EXT3_EEENS1_16TensorSizeStrideIS8_Lj4EEEiS8_,"axG",@progbits,_ZN2at6native12_GLOBAL__N_135CatArrayBatchedCopy_alignedK_contigINS1_10OpaqueTypeILj8EEEjLi3ELi128ELi1ELi16EEEvPT_NS1_25CatArrInputTensorMetadataIS5_T0_XT2_EXT3_EEENS1_16TensorSizeStrideIS8_Lj4EEEiS8_,comdat
	.globl	_ZN2at6native12_GLOBAL__N_135CatArrayBatchedCopy_alignedK_contigINS1_10OpaqueTypeILj8EEEjLi3ELi128ELi1ELi16EEEvPT_NS1_25CatArrInputTensorMetadataIS5_T0_XT2_EXT3_EEENS1_16TensorSizeStrideIS8_Lj4EEEiS8_ ; -- Begin function _ZN2at6native12_GLOBAL__N_135CatArrayBatchedCopy_alignedK_contigINS1_10OpaqueTypeILj8EEEjLi3ELi128ELi1ELi16EEEvPT_NS1_25CatArrInputTensorMetadataIS5_T0_XT2_EXT3_EEENS1_16TensorSizeStrideIS8_Lj4EEEiS8_
	.p2align	8
	.type	_ZN2at6native12_GLOBAL__N_135CatArrayBatchedCopy_alignedK_contigINS1_10OpaqueTypeILj8EEEjLi3ELi128ELi1ELi16EEEvPT_NS1_25CatArrInputTensorMetadataIS5_T0_XT2_EXT3_EEENS1_16TensorSizeStrideIS8_Lj4EEEiS8_,@function
_ZN2at6native12_GLOBAL__N_135CatArrayBatchedCopy_alignedK_contigINS1_10OpaqueTypeILj8EEEjLi3ELi128ELi1ELi16EEEvPT_NS1_25CatArrInputTensorMetadataIS5_T0_XT2_EXT3_EEENS1_16TensorSizeStrideIS8_Lj4EEEiS8_: ; @_ZN2at6native12_GLOBAL__N_135CatArrayBatchedCopy_alignedK_contigINS1_10OpaqueTypeILj8EEEjLi3ELi128ELi1ELi16EEEvPT_NS1_25CatArrInputTensorMetadataIS5_T0_XT2_EXT3_EEENS1_16TensorSizeStrideIS8_Lj4EEEiS8_
; %bb.0:
	s_mov_b32 s2, s7
	s_load_dword s7, s[4:5], 0xadc
	s_mov_b32 s3, 0
	s_add_u32 s0, s4, 0xad0
	s_addc_u32 s1, s5, 0
	s_lshl_b64 s[8:9], s[2:3], 2
	s_waitcnt lgkmcnt(0)
	s_and_b32 s16, s7, 0xffff
	s_add_u32 s2, s4, s8
	s_addc_u32 s3, s5, s9
	s_mul_i32 s6, s6, s16
	s_load_dword s14, s[2:3], 0x808
	v_add_lshl_u32 v0, s6, v0, 1
	s_add_u32 s6, s2, 8
	s_addc_u32 s7, s3, 0
	s_mov_b32 s2, exec_lo
	s_waitcnt lgkmcnt(0)
	v_cmpx_gt_u32_e64 s14, v0
	s_cbranch_execz .LBB71_8
; %bb.1:
	s_add_u32 s18, s6, s8
	s_addc_u32 s19, s7, s9
	s_sub_u32 s6, 0, s8
	s_subb_u32 s7, 0, s9
	s_add_u32 s20, s18, s6
	s_addc_u32 s21, s19, s7
	s_clause 0x3
	s_load_dwordx2 s[2:3], s[4:5], 0x0
	s_load_dwordx2 s[10:11], s[4:5], 0xaac
	;; [unrolled: 1-line block ×3, first 2 shown]
	s_load_dwordx4 s[4:7], s[4:5], 0xab8
	s_waitcnt lgkmcnt(0)
	s_clause 0x2
	s_load_dword s7, s[20:21], 0x400
	s_load_dwordx2 s[8:9], s[18:19], 0x0
	s_load_dword s15, s[20:21], 0x600
	v_add_nc_u32_e32 v1, 2, v0
	s_waitcnt lgkmcnt(0)
	s_mul_i32 s7, s7, s13
	s_mov_b32 s13, exec_lo
	v_cmpx_ge_u32_e64 s14, v1
	s_cbranch_execz .LBB71_5
; %bb.2:
	s_load_dword s0, s[0:1], 0x0
	s_mov_b32 s20, 0
	s_waitcnt lgkmcnt(0)
	s_mul_i32 s0, s0, s16
	s_lshl_b32 s16, s0, 1
	s_cmp_eq_u32 s12, 2
	s_cselect_b32 s17, s15, s11
	s_cmp_eq_u32 s12, 1
	v_cvt_f32_u32_e32 v1, s17
	s_cselect_b32 s18, s15, s10
	s_sub_i32 s19, 0, s17
	v_cvt_f32_u32_e32 v2, s18
	s_sub_i32 s0, 0, s18
	v_rcp_iflag_f32_e32 v1, v1
	v_rcp_iflag_f32_e32 v2, v2
	v_mul_f32_e32 v1, 0x4f7ffffe, v1
	v_mul_f32_e32 v2, 0x4f7ffffe, v2
	v_cvt_u32_f32_e32 v3, v1
	v_cvt_u32_f32_e32 v4, v2
	v_mul_lo_u32 v1, s19, v3
	v_mul_lo_u32 v2, s0, v4
	v_mul_hi_u32 v5, v3, v1
	v_mov_b32_e32 v1, 0
	v_mul_hi_u32 v6, v4, v2
	v_add_nc_u32_e32 v2, v3, v5
	v_add_nc_u32_e32 v3, v4, v6
	;; [unrolled: 1-line block ×3, first 2 shown]
.LBB71_3:                               ; =>This Inner Loop Header: Depth=1
	v_lshlrev_b64 v[5:6], 3, v[0:1]
	v_mul_hi_u32 v11, v2, v0
	v_mul_hi_u32 v15, v2, v4
	v_add_nc_u32_e32 v9, 1, v0
	v_mov_b32_e32 v10, v1
	v_mov_b32_e32 v12, v1
	v_add_co_u32 v5, vcc_lo, s8, v5
	v_add_co_ci_u32_e64 v6, null, s9, v6, vcc_lo
	v_not_b32_e32 v16, v11
	v_mad_u64_u32 v[13:14], null, s19, v11, v[0:1]
	global_load_dwordx4 v[5:8], v[5:6], off
	v_not_b32_e32 v17, v15
	v_mad_u64_u32 v[14:15], null, s19, v15, v[9:10]
	v_mul_hi_u32 v18, v9, v2
	v_mad_u64_u32 v[15:16], null, s17, v16, v[0:1]
	v_add_nc_u32_e32 v19, 1, v11
	v_cmp_le_u32_e32 vcc_lo, s17, v13
	v_mad_u64_u32 v[16:17], null, s17, v17, v[9:10]
	v_cmp_le_u32_e64 s0, s17, v14
	v_add_nc_u32_e32 v20, 1, v18
	v_cndmask_b32_e32 v9, v11, v19, vcc_lo
	v_cndmask_b32_e32 v13, v13, v15, vcc_lo
	v_add_nc_u32_e32 v4, s16, v4
	v_cndmask_b32_e64 v11, v18, v20, s0
	v_add_nc_u32_e32 v15, 1, v9
	v_cndmask_b32_e64 v14, v14, v16, s0
	v_cmp_le_u32_e32 vcc_lo, s17, v13
	v_add_nc_u32_e32 v16, 1, v11
	v_cndmask_b32_e32 v17, v9, v15, vcc_lo
	v_cmp_le_u32_e32 vcc_lo, s17, v14
	v_mad_u64_u32 v[13:14], null, s19, v17, v[0:1]
	v_cndmask_b32_e32 v11, v11, v16, vcc_lo
	v_mul_hi_u32 v9, v17, v3
	v_mad_u64_u32 v[14:15], null, s19, v11, v[0:1]
	v_mul_hi_u32 v15, v11, v3
	v_add_nc_u32_e32 v0, s16, v0
	v_mul_lo_u32 v18, v9, s18
	v_add_nc_u32_e32 v19, 1, v9
	v_add_nc_u32_e32 v16, 2, v0
	v_mul_lo_u32 v21, s6, v14
	v_mul_lo_u32 v20, v15, s18
	v_add_nc_u32_e32 v14, 1, v15
	v_cmp_lt_u32_e32 vcc_lo, s14, v16
	v_sub_nc_u32_e32 v16, v17, v18
	v_sub_nc_u32_e32 v18, v11, v20
	v_subrev_nc_u32_e32 v20, s18, v16
	v_cmp_le_u32_e64 s0, s18, v16
	s_or_b32 s20, vcc_lo, s20
	v_cmp_le_u32_e64 s1, s18, v18
	v_cndmask_b32_e64 v9, v9, v19, s0
	v_subrev_nc_u32_e32 v19, s18, v18
	v_cndmask_b32_e64 v14, v15, v14, s1
	v_cndmask_b32_e64 v15, v16, v20, s0
	v_add_nc_u32_e32 v16, 1, v9
	v_cndmask_b32_e64 v18, v18, v19, s1
	v_add_nc_u32_e32 v19, 1, v14
	v_cmp_le_u32_e64 s0, s18, v15
	v_cndmask_b32_e64 v9, v9, v16, s0
	v_cmp_le_u32_e64 s0, s18, v18
	v_mul_lo_u32 v15, v9, s18
	v_cndmask_b32_e64 v14, v14, v19, s0
	v_mul_lo_u32 v9, v9, s4
	v_mul_lo_u32 v16, v14, s18
	;; [unrolled: 1-line block ×3, first 2 shown]
	v_sub_nc_u32_e32 v15, v17, v15
	v_mad_u64_u32 v[13:14], null, v13, s6, v[9:10]
	v_sub_nc_u32_e32 v9, v11, v16
	v_mul_lo_u32 v11, v15, s5
	v_add3_u32 v15, v21, s6, v18
	v_mul_lo_u32 v14, v9, s5
	v_add3_u32 v9, v13, v11, s7
	v_add3_u32 v11, v15, v14, s7
	v_lshlrev_b64 v[9:10], 3, v[9:10]
	v_lshlrev_b64 v[11:12], 3, v[11:12]
	v_add_co_u32 v9, s0, s2, v9
	v_add_co_ci_u32_e64 v10, null, s3, v10, s0
	v_add_co_u32 v11, s0, s2, v11
	v_add_co_ci_u32_e64 v12, null, s3, v12, s0
	s_waitcnt vmcnt(0)
	global_store_dwordx2 v[9:10], v[5:6], off
	global_store_dwordx2 v[11:12], v[7:8], off
	s_andn2_b32 exec_lo, exec_lo, s20
	s_cbranch_execnz .LBB71_3
; %bb.4:
	s_or_b32 exec_lo, exec_lo, s20
.LBB71_5:
	s_or_b32 exec_lo, exec_lo, s13
	v_cmp_gt_u32_e32 vcc_lo, s14, v0
	s_and_b32 exec_lo, exec_lo, vcc_lo
	s_cbranch_execz .LBB71_8
; %bb.6:
	s_cmp_eq_u32 s12, 2
	s_cselect_b32 s11, s15, s11
	s_cmp_eq_u32 s12, 1
	v_cvt_f32_u32_e32 v1, s11
	s_cselect_b32 s10, s15, s10
	s_sub_i32 s12, 0, s11
	v_cvt_f32_u32_e32 v2, s10
	s_sub_i32 s0, 0, s10
	v_rcp_iflag_f32_e32 v1, v1
	v_rcp_iflag_f32_e32 v2, v2
	v_mul_f32_e32 v1, 0x4f7ffffe, v1
	v_mul_f32_e32 v2, 0x4f7ffffe, v2
	v_cvt_u32_f32_e32 v3, v1
	v_cvt_u32_f32_e32 v4, v2
	v_mov_b32_e32 v2, 0
	v_mul_lo_u32 v1, s12, v3
	v_mul_lo_u32 v5, s0, v4
	v_mul_hi_u32 v6, v3, v1
	v_mov_b32_e32 v1, v2
	v_mul_hi_u32 v8, v4, v5
	v_add_nc_u32_e32 v7, v3, v6
	v_lshlrev_b64 v[5:6], 3, v[0:1]
	v_add_nc_u32_e32 v8, v4, v8
	v_mad_u64_u32 v[3:4], null, v0, v7, 0
	v_add_co_u32 v5, vcc_lo, s8, v5
	v_add_co_ci_u32_e64 v6, null, s9, v6, vcc_lo
	s_mov_b32 s8, 0
.LBB71_7:                               ; =>This Inner Loop Header: Depth=1
	global_load_dwordx2 v[9:10], v[5:6], off
	v_mul_lo_u32 v1, s11, v4
	v_not_b32_e32 v11, v4
	v_add_nc_u32_e32 v13, 1, v4
	v_mad_u64_u32 v[11:12], null, s11, v11, v[0:1]
	v_sub_nc_u32_e32 v1, v0, v1
	v_cmp_le_u32_e32 vcc_lo, s11, v1
	v_cndmask_b32_e32 v12, v4, v13, vcc_lo
	v_cndmask_b32_e32 v1, v1, v11, vcc_lo
	v_add_nc_u32_e32 v11, 1, v12
	v_cmp_le_u32_e32 vcc_lo, s11, v1
	v_cndmask_b32_e32 v13, v12, v11, vcc_lo
	v_add_co_u32 v3, vcc_lo, v3, v7
	v_add_co_ci_u32_e64 v4, null, 0, v4, vcc_lo
	v_mul_hi_u32 v1, v13, v8
	v_mul_lo_u32 v11, v1, s10
	v_add_nc_u32_e32 v12, 1, v1
	v_sub_nc_u32_e32 v11, v13, v11
	v_subrev_nc_u32_e32 v14, s10, v11
	v_cmp_le_u32_e64 s0, s10, v11
	v_cndmask_b32_e64 v1, v1, v12, s0
	v_cndmask_b32_e64 v11, v11, v14, s0
	v_add_nc_u32_e32 v12, 1, v1
	v_cmp_le_u32_e64 s0, s10, v11
	v_cndmask_b32_e64 v1, v1, v12, s0
	v_add_co_u32 v5, s0, v5, 8
	v_add_co_ci_u32_e64 v6, null, 0, v6, s0
	v_mad_u64_u32 v[11:12], null, s12, v13, v[0:1]
	v_mul_lo_u32 v12, v1, s10
	v_mul_lo_u32 v1, v1, s4
	v_add_nc_u32_e32 v0, 1, v0
	v_cmp_le_u32_e64 s0, s14, v0
	v_sub_nc_u32_e32 v13, v13, v12
	v_mad_u64_u32 v[11:12], null, v11, s6, v[1:2]
	s_or_b32 s8, s0, s8
	v_mul_lo_u32 v1, v13, s5
	v_add3_u32 v1, v11, v1, s7
	v_lshlrev_b64 v[11:12], 3, v[1:2]
	v_add_co_u32 v11, s1, s2, v11
	v_add_co_ci_u32_e64 v12, null, s3, v12, s1
	s_waitcnt vmcnt(0)
	global_store_dwordx2 v[11:12], v[9:10], off
	s_andn2_b32 exec_lo, exec_lo, s8
	s_cbranch_execnz .LBB71_7
.LBB71_8:
	s_endpgm
	.section	.rodata,"a",@progbits
	.p2align	6, 0x0
	.amdhsa_kernel _ZN2at6native12_GLOBAL__N_135CatArrayBatchedCopy_alignedK_contigINS1_10OpaqueTypeILj8EEEjLi3ELi128ELi1ELi16EEEvPT_NS1_25CatArrInputTensorMetadataIS5_T0_XT2_EXT3_EEENS1_16TensorSizeStrideIS8_Lj4EEEiS8_
		.amdhsa_group_segment_fixed_size 0
		.amdhsa_private_segment_fixed_size 0
		.amdhsa_kernarg_size 3024
		.amdhsa_user_sgpr_count 6
		.amdhsa_user_sgpr_private_segment_buffer 1
		.amdhsa_user_sgpr_dispatch_ptr 0
		.amdhsa_user_sgpr_queue_ptr 0
		.amdhsa_user_sgpr_kernarg_segment_ptr 1
		.amdhsa_user_sgpr_dispatch_id 0
		.amdhsa_user_sgpr_flat_scratch_init 0
		.amdhsa_user_sgpr_private_segment_size 0
		.amdhsa_wavefront_size32 1
		.amdhsa_uses_dynamic_stack 0
		.amdhsa_system_sgpr_private_segment_wavefront_offset 0
		.amdhsa_system_sgpr_workgroup_id_x 1
		.amdhsa_system_sgpr_workgroup_id_y 1
		.amdhsa_system_sgpr_workgroup_id_z 0
		.amdhsa_system_sgpr_workgroup_info 0
		.amdhsa_system_vgpr_workitem_id 0
		.amdhsa_next_free_vgpr 22
		.amdhsa_next_free_sgpr 22
		.amdhsa_reserve_vcc 1
		.amdhsa_reserve_flat_scratch 0
		.amdhsa_float_round_mode_32 0
		.amdhsa_float_round_mode_16_64 0
		.amdhsa_float_denorm_mode_32 3
		.amdhsa_float_denorm_mode_16_64 3
		.amdhsa_dx10_clamp 1
		.amdhsa_ieee_mode 1
		.amdhsa_fp16_overflow 0
		.amdhsa_workgroup_processor_mode 1
		.amdhsa_memory_ordered 1
		.amdhsa_forward_progress 1
		.amdhsa_shared_vgpr_count 0
		.amdhsa_exception_fp_ieee_invalid_op 0
		.amdhsa_exception_fp_denorm_src 0
		.amdhsa_exception_fp_ieee_div_zero 0
		.amdhsa_exception_fp_ieee_overflow 0
		.amdhsa_exception_fp_ieee_underflow 0
		.amdhsa_exception_fp_ieee_inexact 0
		.amdhsa_exception_int_div_zero 0
	.end_amdhsa_kernel
	.section	.text._ZN2at6native12_GLOBAL__N_135CatArrayBatchedCopy_alignedK_contigINS1_10OpaqueTypeILj8EEEjLi3ELi128ELi1ELi16EEEvPT_NS1_25CatArrInputTensorMetadataIS5_T0_XT2_EXT3_EEENS1_16TensorSizeStrideIS8_Lj4EEEiS8_,"axG",@progbits,_ZN2at6native12_GLOBAL__N_135CatArrayBatchedCopy_alignedK_contigINS1_10OpaqueTypeILj8EEEjLi3ELi128ELi1ELi16EEEvPT_NS1_25CatArrInputTensorMetadataIS5_T0_XT2_EXT3_EEENS1_16TensorSizeStrideIS8_Lj4EEEiS8_,comdat
.Lfunc_end71:
	.size	_ZN2at6native12_GLOBAL__N_135CatArrayBatchedCopy_alignedK_contigINS1_10OpaqueTypeILj8EEEjLi3ELi128ELi1ELi16EEEvPT_NS1_25CatArrInputTensorMetadataIS5_T0_XT2_EXT3_EEENS1_16TensorSizeStrideIS8_Lj4EEEiS8_, .Lfunc_end71-_ZN2at6native12_GLOBAL__N_135CatArrayBatchedCopy_alignedK_contigINS1_10OpaqueTypeILj8EEEjLi3ELi128ELi1ELi16EEEvPT_NS1_25CatArrInputTensorMetadataIS5_T0_XT2_EXT3_EEENS1_16TensorSizeStrideIS8_Lj4EEEiS8_
                                        ; -- End function
	.set _ZN2at6native12_GLOBAL__N_135CatArrayBatchedCopy_alignedK_contigINS1_10OpaqueTypeILj8EEEjLi3ELi128ELi1ELi16EEEvPT_NS1_25CatArrInputTensorMetadataIS5_T0_XT2_EXT3_EEENS1_16TensorSizeStrideIS8_Lj4EEEiS8_.num_vgpr, 22
	.set _ZN2at6native12_GLOBAL__N_135CatArrayBatchedCopy_alignedK_contigINS1_10OpaqueTypeILj8EEEjLi3ELi128ELi1ELi16EEEvPT_NS1_25CatArrInputTensorMetadataIS5_T0_XT2_EXT3_EEENS1_16TensorSizeStrideIS8_Lj4EEEiS8_.num_agpr, 0
	.set _ZN2at6native12_GLOBAL__N_135CatArrayBatchedCopy_alignedK_contigINS1_10OpaqueTypeILj8EEEjLi3ELi128ELi1ELi16EEEvPT_NS1_25CatArrInputTensorMetadataIS5_T0_XT2_EXT3_EEENS1_16TensorSizeStrideIS8_Lj4EEEiS8_.numbered_sgpr, 22
	.set _ZN2at6native12_GLOBAL__N_135CatArrayBatchedCopy_alignedK_contigINS1_10OpaqueTypeILj8EEEjLi3ELi128ELi1ELi16EEEvPT_NS1_25CatArrInputTensorMetadataIS5_T0_XT2_EXT3_EEENS1_16TensorSizeStrideIS8_Lj4EEEiS8_.num_named_barrier, 0
	.set _ZN2at6native12_GLOBAL__N_135CatArrayBatchedCopy_alignedK_contigINS1_10OpaqueTypeILj8EEEjLi3ELi128ELi1ELi16EEEvPT_NS1_25CatArrInputTensorMetadataIS5_T0_XT2_EXT3_EEENS1_16TensorSizeStrideIS8_Lj4EEEiS8_.private_seg_size, 0
	.set _ZN2at6native12_GLOBAL__N_135CatArrayBatchedCopy_alignedK_contigINS1_10OpaqueTypeILj8EEEjLi3ELi128ELi1ELi16EEEvPT_NS1_25CatArrInputTensorMetadataIS5_T0_XT2_EXT3_EEENS1_16TensorSizeStrideIS8_Lj4EEEiS8_.uses_vcc, 1
	.set _ZN2at6native12_GLOBAL__N_135CatArrayBatchedCopy_alignedK_contigINS1_10OpaqueTypeILj8EEEjLi3ELi128ELi1ELi16EEEvPT_NS1_25CatArrInputTensorMetadataIS5_T0_XT2_EXT3_EEENS1_16TensorSizeStrideIS8_Lj4EEEiS8_.uses_flat_scratch, 0
	.set _ZN2at6native12_GLOBAL__N_135CatArrayBatchedCopy_alignedK_contigINS1_10OpaqueTypeILj8EEEjLi3ELi128ELi1ELi16EEEvPT_NS1_25CatArrInputTensorMetadataIS5_T0_XT2_EXT3_EEENS1_16TensorSizeStrideIS8_Lj4EEEiS8_.has_dyn_sized_stack, 0
	.set _ZN2at6native12_GLOBAL__N_135CatArrayBatchedCopy_alignedK_contigINS1_10OpaqueTypeILj8EEEjLi3ELi128ELi1ELi16EEEvPT_NS1_25CatArrInputTensorMetadataIS5_T0_XT2_EXT3_EEENS1_16TensorSizeStrideIS8_Lj4EEEiS8_.has_recursion, 0
	.set _ZN2at6native12_GLOBAL__N_135CatArrayBatchedCopy_alignedK_contigINS1_10OpaqueTypeILj8EEEjLi3ELi128ELi1ELi16EEEvPT_NS1_25CatArrInputTensorMetadataIS5_T0_XT2_EXT3_EEENS1_16TensorSizeStrideIS8_Lj4EEEiS8_.has_indirect_call, 0
	.section	.AMDGPU.csdata,"",@progbits
; Kernel info:
; codeLenInByte = 1332
; TotalNumSgprs: 24
; NumVgprs: 22
; ScratchSize: 0
; MemoryBound: 0
; FloatMode: 240
; IeeeMode: 1
; LDSByteSize: 0 bytes/workgroup (compile time only)
; SGPRBlocks: 0
; VGPRBlocks: 2
; NumSGPRsForWavesPerEU: 24
; NumVGPRsForWavesPerEU: 22
; Occupancy: 16
; WaveLimiterHint : 1
; COMPUTE_PGM_RSRC2:SCRATCH_EN: 0
; COMPUTE_PGM_RSRC2:USER_SGPR: 6
; COMPUTE_PGM_RSRC2:TRAP_HANDLER: 0
; COMPUTE_PGM_RSRC2:TGID_X_EN: 1
; COMPUTE_PGM_RSRC2:TGID_Y_EN: 1
; COMPUTE_PGM_RSRC2:TGID_Z_EN: 0
; COMPUTE_PGM_RSRC2:TIDIG_COMP_CNT: 0
	.section	.text._ZN2at6native12_GLOBAL__N_135CatArrayBatchedCopy_alignedK_contigINS1_10OpaqueTypeILj8EEEjLi3ELi128ELi1ELi8EEEvPT_NS1_25CatArrInputTensorMetadataIS5_T0_XT2_EXT3_EEENS1_16TensorSizeStrideIS8_Lj4EEEiS8_,"axG",@progbits,_ZN2at6native12_GLOBAL__N_135CatArrayBatchedCopy_alignedK_contigINS1_10OpaqueTypeILj8EEEjLi3ELi128ELi1ELi8EEEvPT_NS1_25CatArrInputTensorMetadataIS5_T0_XT2_EXT3_EEENS1_16TensorSizeStrideIS8_Lj4EEEiS8_,comdat
	.globl	_ZN2at6native12_GLOBAL__N_135CatArrayBatchedCopy_alignedK_contigINS1_10OpaqueTypeILj8EEEjLi3ELi128ELi1ELi8EEEvPT_NS1_25CatArrInputTensorMetadataIS5_T0_XT2_EXT3_EEENS1_16TensorSizeStrideIS8_Lj4EEEiS8_ ; -- Begin function _ZN2at6native12_GLOBAL__N_135CatArrayBatchedCopy_alignedK_contigINS1_10OpaqueTypeILj8EEEjLi3ELi128ELi1ELi8EEEvPT_NS1_25CatArrInputTensorMetadataIS5_T0_XT2_EXT3_EEENS1_16TensorSizeStrideIS8_Lj4EEEiS8_
	.p2align	8
	.type	_ZN2at6native12_GLOBAL__N_135CatArrayBatchedCopy_alignedK_contigINS1_10OpaqueTypeILj8EEEjLi3ELi128ELi1ELi8EEEvPT_NS1_25CatArrInputTensorMetadataIS5_T0_XT2_EXT3_EEENS1_16TensorSizeStrideIS8_Lj4EEEiS8_,@function
_ZN2at6native12_GLOBAL__N_135CatArrayBatchedCopy_alignedK_contigINS1_10OpaqueTypeILj8EEEjLi3ELi128ELi1ELi8EEEvPT_NS1_25CatArrInputTensorMetadataIS5_T0_XT2_EXT3_EEENS1_16TensorSizeStrideIS8_Lj4EEEiS8_: ; @_ZN2at6native12_GLOBAL__N_135CatArrayBatchedCopy_alignedK_contigINS1_10OpaqueTypeILj8EEEjLi3ELi128ELi1ELi8EEEvPT_NS1_25CatArrInputTensorMetadataIS5_T0_XT2_EXT3_EEENS1_16TensorSizeStrideIS8_Lj4EEEiS8_
; %bb.0:
	s_mov_b32 s0, s7
	s_load_dword s7, s[4:5], 0xadc
	s_mov_b32 s1, 0
	s_add_u32 s2, s4, 0xad0
	s_addc_u32 s3, s5, 0
	s_lshl_b64 s[8:9], s[0:1], 2
	s_waitcnt lgkmcnt(0)
	s_and_b32 s0, s7, 0xffff
	s_add_u32 s10, s4, s8
	s_addc_u32 s11, s5, s9
	v_mad_u64_u32 v[0:1], null, s6, s0, v[0:1]
	s_load_dword s12, s[10:11], 0x808
	s_add_u32 s6, s10, 8
	s_addc_u32 s7, s11, 0
	s_mov_b32 s10, exec_lo
	s_waitcnt lgkmcnt(0)
	v_cmpx_gt_u32_e64 s12, v0
	s_cbranch_execz .LBB72_6
; %bb.1:
	s_add_u32 s6, s6, s8
	s_addc_u32 s7, s7, s9
	s_sub_u32 s8, 0, s8
	s_load_dwordx2 s[14:15], s[4:5], 0xac8
	s_subb_u32 s9, 0, s9
	s_add_u32 s16, s6, s8
	s_addc_u32 s17, s7, s9
	s_clause 0x3
	s_load_dwordx2 s[18:19], s[4:5], 0xaac
	s_load_dword s13, s[16:17], 0x600
	s_load_dwordx4 s[8:11], s[4:5], 0xab8
	s_load_dword s16, s[16:17], 0x400
	s_load_dword s17, s[2:3], 0x0
	s_waitcnt lgkmcnt(0)
	s_cmp_eq_u32 s14, 2
	s_cselect_b32 s11, s13, s19
	s_cmp_eq_u32 s14, 1
	v_cvt_f32_u32_e32 v1, s11
	s_cselect_b32 s13, s13, s18
	s_sub_i32 s14, 0, s11
	v_cvt_f32_u32_e32 v2, s13
	s_sub_i32 s2, 0, s13
	v_rcp_iflag_f32_e32 v1, v1
	v_rcp_iflag_f32_e32 v2, v2
	v_mul_f32_e32 v1, 0x4f7ffffe, v1
	v_mul_f32_e32 v2, 0x4f7ffffe, v2
	v_cvt_u32_f32_e32 v1, v1
	v_cvt_u32_f32_e32 v3, v2
	v_mul_lo_u32 v2, s14, v1
	v_mul_lo_u32 v4, s2, v3
	s_clause 0x1
	s_load_dwordx2 s[2:3], s[4:5], 0x0
	s_load_dwordx2 s[6:7], s[6:7], 0x0
	s_mul_i32 s5, s17, s0
	s_mul_i32 s4, s16, s15
	v_mul_hi_u32 v5, v1, v2
	v_mov_b32_e32 v2, 0
	v_mul_hi_u32 v4, v3, v4
	v_add_nc_u32_e32 v7, v1, v5
	v_add_nc_u32_e32 v8, v3, v4
	;; [unrolled: 1-line block ×3, first 2 shown]
.LBB72_2:                               ; =>This Inner Loop Header: Depth=1
	v_add_nc_u32_e32 v1, -1, v3
	v_mul_hi_u32 v6, v7, v0
	v_add_nc_u32_e32 v3, s5, v3
	v_lshlrev_b64 v[4:5], 3, v[1:2]
	v_mul_hi_u32 v11, v1, v7
	v_mul_lo_u32 v12, s11, v6
	v_not_b32_e32 v6, v6
	s_waitcnt lgkmcnt(0)
	v_add_co_u32 v4, vcc_lo, s6, v4
	v_add_co_ci_u32_e64 v5, null, s7, v5, vcc_lo
	v_mad_u64_u32 v[9:10], null, s11, v6, v[0:1]
	v_sub_nc_u32_e32 v10, v0, v12
	global_load_dwordx2 v[4:5], v[4:5], off
	v_add_nc_u32_e32 v6, 1, v11
	v_add_nc_u32_e32 v0, s5, v0
	v_cmp_le_u32_e32 vcc_lo, s11, v10
	v_cndmask_b32_e32 v6, v11, v6, vcc_lo
	v_cndmask_b32_e32 v9, v10, v9, vcc_lo
	v_add_nc_u32_e32 v10, 1, v6
	v_cmp_le_u32_e32 vcc_lo, s11, v9
	v_cndmask_b32_e32 v6, v6, v10, vcc_lo
	v_mul_hi_u32 v9, v6, v8
	v_mul_lo_u32 v10, v9, s13
	v_add_nc_u32_e32 v11, 1, v9
	v_sub_nc_u32_e32 v10, v6, v10
	v_subrev_nc_u32_e32 v12, s13, v10
	v_cmp_le_u32_e32 vcc_lo, s13, v10
	v_cndmask_b32_e32 v9, v9, v11, vcc_lo
	v_cndmask_b32_e32 v10, v10, v12, vcc_lo
	v_add_nc_u32_e32 v11, 1, v9
	v_cmp_le_u32_e32 vcc_lo, s13, v10
	v_cndmask_b32_e32 v11, v9, v11, vcc_lo
	v_mad_u64_u32 v[9:10], null, s14, v6, v[1:2]
	v_cmp_lt_u32_e32 vcc_lo, s12, v3
	v_mul_lo_u32 v12, v11, s13
	v_mul_lo_u32 v1, v11, s8
	s_or_b32 s1, vcc_lo, s1
	v_sub_nc_u32_e32 v6, v6, v12
	v_mad_u64_u32 v[9:10], null, v9, s10, v[1:2]
	v_mul_lo_u32 v1, v6, s9
	v_add3_u32 v1, v9, v1, s4
	v_lshlrev_b64 v[9:10], 3, v[1:2]
	v_add_co_u32 v9, s0, s2, v9
	v_add_co_ci_u32_e64 v10, null, s3, v10, s0
	s_waitcnt vmcnt(0)
	global_store_dwordx2 v[9:10], v[4:5], off
	s_andn2_b32 exec_lo, exec_lo, s1
	s_cbranch_execnz .LBB72_2
; %bb.3:
	s_or_b32 exec_lo, exec_lo, s1
	v_add_nc_u32_e32 v0, -1, v3
	v_cmp_gt_u32_e32 vcc_lo, s12, v0
	s_and_b32 exec_lo, exec_lo, vcc_lo
	s_cbranch_execz .LBB72_6
; %bb.4:
	v_mov_b32_e32 v2, 0
	v_mad_u64_u32 v[3:4], null, v7, v0, 0
	s_mov_b32 s5, 0
	v_mov_b32_e32 v1, v2
	v_lshlrev_b64 v[5:6], 3, v[0:1]
	v_add_co_u32 v5, vcc_lo, s6, v5
	v_add_co_ci_u32_e64 v6, null, s7, v6, vcc_lo
.LBB72_5:                               ; =>This Inner Loop Header: Depth=1
	global_load_dwordx2 v[9:10], v[5:6], off
	v_mul_lo_u32 v1, s11, v4
	v_not_b32_e32 v11, v4
	v_add_nc_u32_e32 v13, 1, v4
	v_add_co_u32 v3, vcc_lo, v3, v7
	v_mad_u64_u32 v[11:12], null, s11, v11, v[0:1]
	v_sub_nc_u32_e32 v1, v0, v1
	v_cmp_le_u32_e64 s0, s11, v1
	v_cndmask_b32_e64 v12, v4, v13, s0
	v_cndmask_b32_e64 v1, v1, v11, s0
	v_add_co_ci_u32_e64 v4, null, 0, v4, vcc_lo
	v_add_nc_u32_e32 v11, 1, v12
	v_cmp_le_u32_e64 s0, s11, v1
	v_cndmask_b32_e64 v1, v12, v11, s0
	v_mul_hi_u32 v11, v1, v8
	v_mul_lo_u32 v12, v11, s13
	v_add_nc_u32_e32 v13, 1, v11
	v_sub_nc_u32_e32 v12, v1, v12
	v_subrev_nc_u32_e32 v14, s13, v12
	v_cmp_le_u32_e64 s0, s13, v12
	v_cndmask_b32_e64 v11, v11, v13, s0
	v_cndmask_b32_e64 v12, v12, v14, s0
	v_add_nc_u32_e32 v13, 1, v11
	v_cmp_le_u32_e64 s0, s13, v12
	v_cndmask_b32_e64 v13, v11, v13, s0
	v_mad_u64_u32 v[11:12], null, s14, v1, v[0:1]
	v_add_nc_u32_e32 v0, 1, v0
	v_add_co_u32 v5, s0, v5, 8
	v_mul_lo_u32 v14, v13, s13
	v_add_co_ci_u32_e64 v6, null, 0, v6, s0
	v_mul_lo_u32 v15, v11, s10
	v_mad_u64_u32 v[11:12], null, v13, s8, s[4:5]
	v_cmp_le_u32_e64 s0, s12, v0
	v_sub_nc_u32_e32 v1, v1, v14
	s_or_b32 s5, s0, s5
	v_mul_lo_u32 v1, v1, s9
	v_add3_u32 v1, v11, v15, v1
	v_lshlrev_b64 v[11:12], 3, v[1:2]
	v_add_co_u32 v11, s1, s2, v11
	v_add_co_ci_u32_e64 v12, null, s3, v12, s1
	s_waitcnt vmcnt(0)
	global_store_dwordx2 v[11:12], v[9:10], off
	s_andn2_b32 exec_lo, exec_lo, s5
	s_cbranch_execnz .LBB72_5
.LBB72_6:
	s_endpgm
	.section	.rodata,"a",@progbits
	.p2align	6, 0x0
	.amdhsa_kernel _ZN2at6native12_GLOBAL__N_135CatArrayBatchedCopy_alignedK_contigINS1_10OpaqueTypeILj8EEEjLi3ELi128ELi1ELi8EEEvPT_NS1_25CatArrInputTensorMetadataIS5_T0_XT2_EXT3_EEENS1_16TensorSizeStrideIS8_Lj4EEEiS8_
		.amdhsa_group_segment_fixed_size 0
		.amdhsa_private_segment_fixed_size 0
		.amdhsa_kernarg_size 3024
		.amdhsa_user_sgpr_count 6
		.amdhsa_user_sgpr_private_segment_buffer 1
		.amdhsa_user_sgpr_dispatch_ptr 0
		.amdhsa_user_sgpr_queue_ptr 0
		.amdhsa_user_sgpr_kernarg_segment_ptr 1
		.amdhsa_user_sgpr_dispatch_id 0
		.amdhsa_user_sgpr_flat_scratch_init 0
		.amdhsa_user_sgpr_private_segment_size 0
		.amdhsa_wavefront_size32 1
		.amdhsa_uses_dynamic_stack 0
		.amdhsa_system_sgpr_private_segment_wavefront_offset 0
		.amdhsa_system_sgpr_workgroup_id_x 1
		.amdhsa_system_sgpr_workgroup_id_y 1
		.amdhsa_system_sgpr_workgroup_id_z 0
		.amdhsa_system_sgpr_workgroup_info 0
		.amdhsa_system_vgpr_workitem_id 0
		.amdhsa_next_free_vgpr 16
		.amdhsa_next_free_sgpr 20
		.amdhsa_reserve_vcc 1
		.amdhsa_reserve_flat_scratch 0
		.amdhsa_float_round_mode_32 0
		.amdhsa_float_round_mode_16_64 0
		.amdhsa_float_denorm_mode_32 3
		.amdhsa_float_denorm_mode_16_64 3
		.amdhsa_dx10_clamp 1
		.amdhsa_ieee_mode 1
		.amdhsa_fp16_overflow 0
		.amdhsa_workgroup_processor_mode 1
		.amdhsa_memory_ordered 1
		.amdhsa_forward_progress 1
		.amdhsa_shared_vgpr_count 0
		.amdhsa_exception_fp_ieee_invalid_op 0
		.amdhsa_exception_fp_denorm_src 0
		.amdhsa_exception_fp_ieee_div_zero 0
		.amdhsa_exception_fp_ieee_overflow 0
		.amdhsa_exception_fp_ieee_underflow 0
		.amdhsa_exception_fp_ieee_inexact 0
		.amdhsa_exception_int_div_zero 0
	.end_amdhsa_kernel
	.section	.text._ZN2at6native12_GLOBAL__N_135CatArrayBatchedCopy_alignedK_contigINS1_10OpaqueTypeILj8EEEjLi3ELi128ELi1ELi8EEEvPT_NS1_25CatArrInputTensorMetadataIS5_T0_XT2_EXT3_EEENS1_16TensorSizeStrideIS8_Lj4EEEiS8_,"axG",@progbits,_ZN2at6native12_GLOBAL__N_135CatArrayBatchedCopy_alignedK_contigINS1_10OpaqueTypeILj8EEEjLi3ELi128ELi1ELi8EEEvPT_NS1_25CatArrInputTensorMetadataIS5_T0_XT2_EXT3_EEENS1_16TensorSizeStrideIS8_Lj4EEEiS8_,comdat
.Lfunc_end72:
	.size	_ZN2at6native12_GLOBAL__N_135CatArrayBatchedCopy_alignedK_contigINS1_10OpaqueTypeILj8EEEjLi3ELi128ELi1ELi8EEEvPT_NS1_25CatArrInputTensorMetadataIS5_T0_XT2_EXT3_EEENS1_16TensorSizeStrideIS8_Lj4EEEiS8_, .Lfunc_end72-_ZN2at6native12_GLOBAL__N_135CatArrayBatchedCopy_alignedK_contigINS1_10OpaqueTypeILj8EEEjLi3ELi128ELi1ELi8EEEvPT_NS1_25CatArrInputTensorMetadataIS5_T0_XT2_EXT3_EEENS1_16TensorSizeStrideIS8_Lj4EEEiS8_
                                        ; -- End function
	.set _ZN2at6native12_GLOBAL__N_135CatArrayBatchedCopy_alignedK_contigINS1_10OpaqueTypeILj8EEEjLi3ELi128ELi1ELi8EEEvPT_NS1_25CatArrInputTensorMetadataIS5_T0_XT2_EXT3_EEENS1_16TensorSizeStrideIS8_Lj4EEEiS8_.num_vgpr, 16
	.set _ZN2at6native12_GLOBAL__N_135CatArrayBatchedCopy_alignedK_contigINS1_10OpaqueTypeILj8EEEjLi3ELi128ELi1ELi8EEEvPT_NS1_25CatArrInputTensorMetadataIS5_T0_XT2_EXT3_EEENS1_16TensorSizeStrideIS8_Lj4EEEiS8_.num_agpr, 0
	.set _ZN2at6native12_GLOBAL__N_135CatArrayBatchedCopy_alignedK_contigINS1_10OpaqueTypeILj8EEEjLi3ELi128ELi1ELi8EEEvPT_NS1_25CatArrInputTensorMetadataIS5_T0_XT2_EXT3_EEENS1_16TensorSizeStrideIS8_Lj4EEEiS8_.numbered_sgpr, 20
	.set _ZN2at6native12_GLOBAL__N_135CatArrayBatchedCopy_alignedK_contigINS1_10OpaqueTypeILj8EEEjLi3ELi128ELi1ELi8EEEvPT_NS1_25CatArrInputTensorMetadataIS5_T0_XT2_EXT3_EEENS1_16TensorSizeStrideIS8_Lj4EEEiS8_.num_named_barrier, 0
	.set _ZN2at6native12_GLOBAL__N_135CatArrayBatchedCopy_alignedK_contigINS1_10OpaqueTypeILj8EEEjLi3ELi128ELi1ELi8EEEvPT_NS1_25CatArrInputTensorMetadataIS5_T0_XT2_EXT3_EEENS1_16TensorSizeStrideIS8_Lj4EEEiS8_.private_seg_size, 0
	.set _ZN2at6native12_GLOBAL__N_135CatArrayBatchedCopy_alignedK_contigINS1_10OpaqueTypeILj8EEEjLi3ELi128ELi1ELi8EEEvPT_NS1_25CatArrInputTensorMetadataIS5_T0_XT2_EXT3_EEENS1_16TensorSizeStrideIS8_Lj4EEEiS8_.uses_vcc, 1
	.set _ZN2at6native12_GLOBAL__N_135CatArrayBatchedCopy_alignedK_contigINS1_10OpaqueTypeILj8EEEjLi3ELi128ELi1ELi8EEEvPT_NS1_25CatArrInputTensorMetadataIS5_T0_XT2_EXT3_EEENS1_16TensorSizeStrideIS8_Lj4EEEiS8_.uses_flat_scratch, 0
	.set _ZN2at6native12_GLOBAL__N_135CatArrayBatchedCopy_alignedK_contigINS1_10OpaqueTypeILj8EEEjLi3ELi128ELi1ELi8EEEvPT_NS1_25CatArrInputTensorMetadataIS5_T0_XT2_EXT3_EEENS1_16TensorSizeStrideIS8_Lj4EEEiS8_.has_dyn_sized_stack, 0
	.set _ZN2at6native12_GLOBAL__N_135CatArrayBatchedCopy_alignedK_contigINS1_10OpaqueTypeILj8EEEjLi3ELi128ELi1ELi8EEEvPT_NS1_25CatArrInputTensorMetadataIS5_T0_XT2_EXT3_EEENS1_16TensorSizeStrideIS8_Lj4EEEiS8_.has_recursion, 0
	.set _ZN2at6native12_GLOBAL__N_135CatArrayBatchedCopy_alignedK_contigINS1_10OpaqueTypeILj8EEEjLi3ELi128ELi1ELi8EEEvPT_NS1_25CatArrInputTensorMetadataIS5_T0_XT2_EXT3_EEENS1_16TensorSizeStrideIS8_Lj4EEEiS8_.has_indirect_call, 0
	.section	.AMDGPU.csdata,"",@progbits
; Kernel info:
; codeLenInByte = 952
; TotalNumSgprs: 22
; NumVgprs: 16
; ScratchSize: 0
; MemoryBound: 0
; FloatMode: 240
; IeeeMode: 1
; LDSByteSize: 0 bytes/workgroup (compile time only)
; SGPRBlocks: 0
; VGPRBlocks: 1
; NumSGPRsForWavesPerEU: 22
; NumVGPRsForWavesPerEU: 16
; Occupancy: 16
; WaveLimiterHint : 1
; COMPUTE_PGM_RSRC2:SCRATCH_EN: 0
; COMPUTE_PGM_RSRC2:USER_SGPR: 6
; COMPUTE_PGM_RSRC2:TRAP_HANDLER: 0
; COMPUTE_PGM_RSRC2:TGID_X_EN: 1
; COMPUTE_PGM_RSRC2:TGID_Y_EN: 1
; COMPUTE_PGM_RSRC2:TGID_Z_EN: 0
; COMPUTE_PGM_RSRC2:TIDIG_COMP_CNT: 0
	.section	.text._ZN2at6native12_GLOBAL__N_126CatArrayBatchedCopy_contigINS1_10OpaqueTypeILj8EEEjLi3ELi128ELi1EEEvPT_NS1_25CatArrInputTensorMetadataIS5_T0_XT2_EXT3_EEENS1_16TensorSizeStrideIS8_Lj4EEEiS8_,"axG",@progbits,_ZN2at6native12_GLOBAL__N_126CatArrayBatchedCopy_contigINS1_10OpaqueTypeILj8EEEjLi3ELi128ELi1EEEvPT_NS1_25CatArrInputTensorMetadataIS5_T0_XT2_EXT3_EEENS1_16TensorSizeStrideIS8_Lj4EEEiS8_,comdat
	.globl	_ZN2at6native12_GLOBAL__N_126CatArrayBatchedCopy_contigINS1_10OpaqueTypeILj8EEEjLi3ELi128ELi1EEEvPT_NS1_25CatArrInputTensorMetadataIS5_T0_XT2_EXT3_EEENS1_16TensorSizeStrideIS8_Lj4EEEiS8_ ; -- Begin function _ZN2at6native12_GLOBAL__N_126CatArrayBatchedCopy_contigINS1_10OpaqueTypeILj8EEEjLi3ELi128ELi1EEEvPT_NS1_25CatArrInputTensorMetadataIS5_T0_XT2_EXT3_EEENS1_16TensorSizeStrideIS8_Lj4EEEiS8_
	.p2align	8
	.type	_ZN2at6native12_GLOBAL__N_126CatArrayBatchedCopy_contigINS1_10OpaqueTypeILj8EEEjLi3ELi128ELi1EEEvPT_NS1_25CatArrInputTensorMetadataIS5_T0_XT2_EXT3_EEENS1_16TensorSizeStrideIS8_Lj4EEEiS8_,@function
_ZN2at6native12_GLOBAL__N_126CatArrayBatchedCopy_contigINS1_10OpaqueTypeILj8EEEjLi3ELi128ELi1EEEvPT_NS1_25CatArrInputTensorMetadataIS5_T0_XT2_EXT3_EEENS1_16TensorSizeStrideIS8_Lj4EEEiS8_: ; @_ZN2at6native12_GLOBAL__N_126CatArrayBatchedCopy_contigINS1_10OpaqueTypeILj8EEEjLi3ELi128ELi1EEEvPT_NS1_25CatArrInputTensorMetadataIS5_T0_XT2_EXT3_EEENS1_16TensorSizeStrideIS8_Lj4EEEiS8_
; %bb.0:
	s_mov_b32 s0, s7
	s_load_dword s7, s[4:5], 0xadc
	s_mov_b32 s1, 0
	s_add_u32 s12, s4, 0xad0
	s_addc_u32 s13, s5, 0
	s_lshl_b64 s[2:3], s[0:1], 2
	s_waitcnt lgkmcnt(0)
	s_and_b32 s0, s7, 0xffff
	s_add_u32 s8, s4, s2
	s_addc_u32 s9, s5, s3
	v_mad_u64_u32 v[0:1], null, s6, s0, v[0:1]
	s_load_dword s7, s[8:9], 0x808
	s_add_u32 s6, s8, 8
	s_addc_u32 s8, s9, 0
	s_mov_b32 s9, exec_lo
	s_waitcnt lgkmcnt(0)
	v_cmpx_gt_u32_e64 s7, v0
	s_cbranch_execz .LBB73_3
; %bb.1:
	s_add_u32 s18, s6, s2
	s_addc_u32 s19, s8, s3
	s_sub_u32 s2, 0, s2
	s_load_dwordx2 s[16:17], s[4:5], 0xac8
	s_subb_u32 s3, 0, s3
	s_add_u32 s20, s18, s2
	s_addc_u32 s21, s19, s3
	s_clause 0x2
	s_load_dwordx2 s[2:3], s[4:5], 0xaac
	s_load_dword s6, s[20:21], 0x600
	s_load_dwordx4 s[8:11], s[4:5], 0xab8
	s_load_dword s12, s[12:13], 0x0
	s_waitcnt lgkmcnt(0)
	s_cmp_eq_u32 s16, 2
	s_cselect_b32 s11, s6, s3
	s_cmp_eq_u32 s16, 1
	v_cvt_f32_u32_e32 v1, s11
	s_cselect_b32 s14, s6, s2
	s_load_dwordx2 s[2:3], s[4:5], 0x0
	v_cvt_f32_u32_e32 v2, s14
	s_sub_i32 s15, 0, s11
	v_rcp_iflag_f32_e32 v1, v1
	s_sub_i32 s4, 0, s14
	s_load_dword s6, s[20:21], 0x400
	v_rcp_iflag_f32_e32 v2, v2
	s_mul_i32 s12, s12, s0
	v_mul_f32_e32 v1, 0x4f7ffffe, v1
	v_mul_f32_e32 v2, 0x4f7ffffe, v2
	v_cvt_u32_f32_e32 v1, v1
	v_cvt_u32_f32_e32 v3, v2
	v_mul_lo_u32 v2, s15, v1
	v_mul_lo_u32 v4, s4, v3
	s_load_dwordx2 s[4:5], s[18:19], 0x0
	s_waitcnt lgkmcnt(0)
	s_mul_i32 s6, s6, s17
	v_mul_hi_u32 v2, v1, v2
	v_mul_hi_u32 v4, v3, v4
	v_add_nc_u32_e32 v2, v1, v2
	v_mov_b32_e32 v1, 0
	v_add_nc_u32_e32 v3, v3, v4
.LBB73_2:                               ; =>This Inner Loop Header: Depth=1
	v_lshlrev_b64 v[4:5], 3, v[0:1]
	v_mul_hi_u32 v8, v2, v0
	v_add_co_u32 v4, vcc_lo, s4, v4
	v_add_co_ci_u32_e64 v5, null, s5, v5, vcc_lo
	v_mul_lo_u32 v9, s11, v8
	v_not_b32_e32 v6, v8
	v_add_nc_u32_e32 v10, 1, v8
	global_load_dwordx2 v[4:5], v[4:5], off
	v_mad_u64_u32 v[6:7], null, s11, v6, v[0:1]
	v_sub_nc_u32_e32 v7, v0, v9
	v_cmp_le_u32_e32 vcc_lo, s11, v7
	v_cndmask_b32_e32 v8, v8, v10, vcc_lo
	v_cndmask_b32_e32 v6, v7, v6, vcc_lo
	v_add_nc_u32_e32 v7, 1, v8
	v_cmp_le_u32_e32 vcc_lo, s11, v6
	v_cndmask_b32_e32 v8, v8, v7, vcc_lo
	v_mul_hi_u32 v6, v8, v3
	v_mul_lo_u32 v7, v6, s14
	v_add_nc_u32_e32 v9, 1, v6
	v_sub_nc_u32_e32 v7, v8, v7
	v_subrev_nc_u32_e32 v10, s14, v7
	v_cmp_le_u32_e32 vcc_lo, s14, v7
	v_cndmask_b32_e32 v6, v6, v9, vcc_lo
	v_cndmask_b32_e32 v7, v7, v10, vcc_lo
	v_add_nc_u32_e32 v9, 1, v6
	v_cmp_le_u32_e32 vcc_lo, s14, v7
	v_cndmask_b32_e32 v9, v6, v9, vcc_lo
	v_mad_u64_u32 v[6:7], null, s15, v8, v[0:1]
	v_add_nc_u32_e32 v0, s12, v0
	v_mul_lo_u32 v10, v9, s14
	v_cmp_le_u32_e32 vcc_lo, s7, v0
	v_mul_lo_u32 v11, v6, s10
	v_mad_u64_u32 v[6:7], null, v9, s8, s[6:7]
	v_mov_b32_e32 v7, v1
	v_sub_nc_u32_e32 v8, v8, v10
	s_or_b32 s1, vcc_lo, s1
	v_mul_lo_u32 v8, v8, s9
	v_add3_u32 v6, v6, v11, v8
	v_lshlrev_b64 v[6:7], 3, v[6:7]
	v_add_co_u32 v6, s0, s2, v6
	v_add_co_ci_u32_e64 v7, null, s3, v7, s0
	s_waitcnt vmcnt(0)
	global_store_dwordx2 v[6:7], v[4:5], off
	s_andn2_b32 exec_lo, exec_lo, s1
	s_cbranch_execnz .LBB73_2
.LBB73_3:
	s_endpgm
	.section	.rodata,"a",@progbits
	.p2align	6, 0x0
	.amdhsa_kernel _ZN2at6native12_GLOBAL__N_126CatArrayBatchedCopy_contigINS1_10OpaqueTypeILj8EEEjLi3ELi128ELi1EEEvPT_NS1_25CatArrInputTensorMetadataIS5_T0_XT2_EXT3_EEENS1_16TensorSizeStrideIS8_Lj4EEEiS8_
		.amdhsa_group_segment_fixed_size 0
		.amdhsa_private_segment_fixed_size 0
		.amdhsa_kernarg_size 3024
		.amdhsa_user_sgpr_count 6
		.amdhsa_user_sgpr_private_segment_buffer 1
		.amdhsa_user_sgpr_dispatch_ptr 0
		.amdhsa_user_sgpr_queue_ptr 0
		.amdhsa_user_sgpr_kernarg_segment_ptr 1
		.amdhsa_user_sgpr_dispatch_id 0
		.amdhsa_user_sgpr_flat_scratch_init 0
		.amdhsa_user_sgpr_private_segment_size 0
		.amdhsa_wavefront_size32 1
		.amdhsa_uses_dynamic_stack 0
		.amdhsa_system_sgpr_private_segment_wavefront_offset 0
		.amdhsa_system_sgpr_workgroup_id_x 1
		.amdhsa_system_sgpr_workgroup_id_y 1
		.amdhsa_system_sgpr_workgroup_id_z 0
		.amdhsa_system_sgpr_workgroup_info 0
		.amdhsa_system_vgpr_workitem_id 0
		.amdhsa_next_free_vgpr 12
		.amdhsa_next_free_sgpr 22
		.amdhsa_reserve_vcc 1
		.amdhsa_reserve_flat_scratch 0
		.amdhsa_float_round_mode_32 0
		.amdhsa_float_round_mode_16_64 0
		.amdhsa_float_denorm_mode_32 3
		.amdhsa_float_denorm_mode_16_64 3
		.amdhsa_dx10_clamp 1
		.amdhsa_ieee_mode 1
		.amdhsa_fp16_overflow 0
		.amdhsa_workgroup_processor_mode 1
		.amdhsa_memory_ordered 1
		.amdhsa_forward_progress 1
		.amdhsa_shared_vgpr_count 0
		.amdhsa_exception_fp_ieee_invalid_op 0
		.amdhsa_exception_fp_denorm_src 0
		.amdhsa_exception_fp_ieee_div_zero 0
		.amdhsa_exception_fp_ieee_overflow 0
		.amdhsa_exception_fp_ieee_underflow 0
		.amdhsa_exception_fp_ieee_inexact 0
		.amdhsa_exception_int_div_zero 0
	.end_amdhsa_kernel
	.section	.text._ZN2at6native12_GLOBAL__N_126CatArrayBatchedCopy_contigINS1_10OpaqueTypeILj8EEEjLi3ELi128ELi1EEEvPT_NS1_25CatArrInputTensorMetadataIS5_T0_XT2_EXT3_EEENS1_16TensorSizeStrideIS8_Lj4EEEiS8_,"axG",@progbits,_ZN2at6native12_GLOBAL__N_126CatArrayBatchedCopy_contigINS1_10OpaqueTypeILj8EEEjLi3ELi128ELi1EEEvPT_NS1_25CatArrInputTensorMetadataIS5_T0_XT2_EXT3_EEENS1_16TensorSizeStrideIS8_Lj4EEEiS8_,comdat
.Lfunc_end73:
	.size	_ZN2at6native12_GLOBAL__N_126CatArrayBatchedCopy_contigINS1_10OpaqueTypeILj8EEEjLi3ELi128ELi1EEEvPT_NS1_25CatArrInputTensorMetadataIS5_T0_XT2_EXT3_EEENS1_16TensorSizeStrideIS8_Lj4EEEiS8_, .Lfunc_end73-_ZN2at6native12_GLOBAL__N_126CatArrayBatchedCopy_contigINS1_10OpaqueTypeILj8EEEjLi3ELi128ELi1EEEvPT_NS1_25CatArrInputTensorMetadataIS5_T0_XT2_EXT3_EEENS1_16TensorSizeStrideIS8_Lj4EEEiS8_
                                        ; -- End function
	.set _ZN2at6native12_GLOBAL__N_126CatArrayBatchedCopy_contigINS1_10OpaqueTypeILj8EEEjLi3ELi128ELi1EEEvPT_NS1_25CatArrInputTensorMetadataIS5_T0_XT2_EXT3_EEENS1_16TensorSizeStrideIS8_Lj4EEEiS8_.num_vgpr, 12
	.set _ZN2at6native12_GLOBAL__N_126CatArrayBatchedCopy_contigINS1_10OpaqueTypeILj8EEEjLi3ELi128ELi1EEEvPT_NS1_25CatArrInputTensorMetadataIS5_T0_XT2_EXT3_EEENS1_16TensorSizeStrideIS8_Lj4EEEiS8_.num_agpr, 0
	.set _ZN2at6native12_GLOBAL__N_126CatArrayBatchedCopy_contigINS1_10OpaqueTypeILj8EEEjLi3ELi128ELi1EEEvPT_NS1_25CatArrInputTensorMetadataIS5_T0_XT2_EXT3_EEENS1_16TensorSizeStrideIS8_Lj4EEEiS8_.numbered_sgpr, 22
	.set _ZN2at6native12_GLOBAL__N_126CatArrayBatchedCopy_contigINS1_10OpaqueTypeILj8EEEjLi3ELi128ELi1EEEvPT_NS1_25CatArrInputTensorMetadataIS5_T0_XT2_EXT3_EEENS1_16TensorSizeStrideIS8_Lj4EEEiS8_.num_named_barrier, 0
	.set _ZN2at6native12_GLOBAL__N_126CatArrayBatchedCopy_contigINS1_10OpaqueTypeILj8EEEjLi3ELi128ELi1EEEvPT_NS1_25CatArrInputTensorMetadataIS5_T0_XT2_EXT3_EEENS1_16TensorSizeStrideIS8_Lj4EEEiS8_.private_seg_size, 0
	.set _ZN2at6native12_GLOBAL__N_126CatArrayBatchedCopy_contigINS1_10OpaqueTypeILj8EEEjLi3ELi128ELi1EEEvPT_NS1_25CatArrInputTensorMetadataIS5_T0_XT2_EXT3_EEENS1_16TensorSizeStrideIS8_Lj4EEEiS8_.uses_vcc, 1
	.set _ZN2at6native12_GLOBAL__N_126CatArrayBatchedCopy_contigINS1_10OpaqueTypeILj8EEEjLi3ELi128ELi1EEEvPT_NS1_25CatArrInputTensorMetadataIS5_T0_XT2_EXT3_EEENS1_16TensorSizeStrideIS8_Lj4EEEiS8_.uses_flat_scratch, 0
	.set _ZN2at6native12_GLOBAL__N_126CatArrayBatchedCopy_contigINS1_10OpaqueTypeILj8EEEjLi3ELi128ELi1EEEvPT_NS1_25CatArrInputTensorMetadataIS5_T0_XT2_EXT3_EEENS1_16TensorSizeStrideIS8_Lj4EEEiS8_.has_dyn_sized_stack, 0
	.set _ZN2at6native12_GLOBAL__N_126CatArrayBatchedCopy_contigINS1_10OpaqueTypeILj8EEEjLi3ELi128ELi1EEEvPT_NS1_25CatArrInputTensorMetadataIS5_T0_XT2_EXT3_EEENS1_16TensorSizeStrideIS8_Lj4EEEiS8_.has_recursion, 0
	.set _ZN2at6native12_GLOBAL__N_126CatArrayBatchedCopy_contigINS1_10OpaqueTypeILj8EEEjLi3ELi128ELi1EEEvPT_NS1_25CatArrInputTensorMetadataIS5_T0_XT2_EXT3_EEENS1_16TensorSizeStrideIS8_Lj4EEEiS8_.has_indirect_call, 0
	.section	.AMDGPU.csdata,"",@progbits
; Kernel info:
; codeLenInByte = 572
; TotalNumSgprs: 24
; NumVgprs: 12
; ScratchSize: 0
; MemoryBound: 0
; FloatMode: 240
; IeeeMode: 1
; LDSByteSize: 0 bytes/workgroup (compile time only)
; SGPRBlocks: 0
; VGPRBlocks: 1
; NumSGPRsForWavesPerEU: 24
; NumVGPRsForWavesPerEU: 12
; Occupancy: 16
; WaveLimiterHint : 1
; COMPUTE_PGM_RSRC2:SCRATCH_EN: 0
; COMPUTE_PGM_RSRC2:USER_SGPR: 6
; COMPUTE_PGM_RSRC2:TRAP_HANDLER: 0
; COMPUTE_PGM_RSRC2:TGID_X_EN: 1
; COMPUTE_PGM_RSRC2:TGID_Y_EN: 1
; COMPUTE_PGM_RSRC2:TGID_Z_EN: 0
; COMPUTE_PGM_RSRC2:TIDIG_COMP_CNT: 0
	.section	.text._ZN2at6native12_GLOBAL__N_119CatArrayBatchedCopyINS1_10OpaqueTypeILj8EEEjLi3ELi128ELi1EEEvPT_NS1_25CatArrInputTensorMetadataIS5_T0_XT2_EXT3_EEENS1_16TensorSizeStrideIS8_Lj4EEEiS8_,"axG",@progbits,_ZN2at6native12_GLOBAL__N_119CatArrayBatchedCopyINS1_10OpaqueTypeILj8EEEjLi3ELi128ELi1EEEvPT_NS1_25CatArrInputTensorMetadataIS5_T0_XT2_EXT3_EEENS1_16TensorSizeStrideIS8_Lj4EEEiS8_,comdat
	.globl	_ZN2at6native12_GLOBAL__N_119CatArrayBatchedCopyINS1_10OpaqueTypeILj8EEEjLi3ELi128ELi1EEEvPT_NS1_25CatArrInputTensorMetadataIS5_T0_XT2_EXT3_EEENS1_16TensorSizeStrideIS8_Lj4EEEiS8_ ; -- Begin function _ZN2at6native12_GLOBAL__N_119CatArrayBatchedCopyINS1_10OpaqueTypeILj8EEEjLi3ELi128ELi1EEEvPT_NS1_25CatArrInputTensorMetadataIS5_T0_XT2_EXT3_EEENS1_16TensorSizeStrideIS8_Lj4EEEiS8_
	.p2align	8
	.type	_ZN2at6native12_GLOBAL__N_119CatArrayBatchedCopyINS1_10OpaqueTypeILj8EEEjLi3ELi128ELi1EEEvPT_NS1_25CatArrInputTensorMetadataIS5_T0_XT2_EXT3_EEENS1_16TensorSizeStrideIS8_Lj4EEEiS8_,@function
_ZN2at6native12_GLOBAL__N_119CatArrayBatchedCopyINS1_10OpaqueTypeILj8EEEjLi3ELi128ELi1EEEvPT_NS1_25CatArrInputTensorMetadataIS5_T0_XT2_EXT3_EEENS1_16TensorSizeStrideIS8_Lj4EEEiS8_: ; @_ZN2at6native12_GLOBAL__N_119CatArrayBatchedCopyINS1_10OpaqueTypeILj8EEEjLi3ELi128ELi1EEEvPT_NS1_25CatArrInputTensorMetadataIS5_T0_XT2_EXT3_EEENS1_16TensorSizeStrideIS8_Lj4EEEiS8_
; %bb.0:
	s_mov_b32 s0, s7
	s_load_dword s7, s[4:5], 0xadc
	s_or_b32 s12, s4, 8
	s_mov_b32 s1, 0
	s_add_u32 s2, s4, 0xad0
	s_addc_u32 s3, s5, 0
	s_lshl_b64 s[8:9], s[0:1], 2
	s_waitcnt lgkmcnt(0)
	s_and_b32 s21, s7, 0xffff
	s_add_u32 s10, s12, s8
	s_addc_u32 s11, s5, s9
	v_mad_u64_u32 v[0:1], null, s6, s21, v[0:1]
	s_load_dword s7, s[10:11], 0x800
	s_mov_b32 s6, exec_lo
	s_waitcnt lgkmcnt(0)
	v_cmpx_gt_u32_e64 s7, v0
	s_cbranch_execz .LBB74_5
; %bb.1:
	v_mov_b32_e32 v1, 0x800
	s_add_u32 s14, s12, s0
	s_addc_u32 s15, s5, 0
	s_mov_b32 s13, s5
	global_load_ubyte v1, v1, s[14:15] offset:512
	s_waitcnt vmcnt(0)
	v_and_b32_e32 v1, 1, v1
	v_cmp_eq_u32_e32 vcc_lo, 1, v1
	s_xor_b32 s6, vcc_lo, -1
	s_add_u32 s22, s10, s8
	s_addc_u32 s23, s11, s9
	s_sub_u32 s0, 0, s8
	s_subb_u32 s8, 0, s9
	s_add_u32 s24, s22, s0
	s_addc_u32 s25, s23, s8
	s_clause 0x4
	s_load_dwordx2 s[26:27], s[4:5], 0xac8
	s_load_dword s0, s[24:25], 0x600
	s_load_dwordx2 s[14:15], s[4:5], 0xaac
	s_load_dwordx2 s[18:19], s[4:5], 0xa8c
	s_load_dwordx4 s[8:11], s[4:5], 0xab8
	s_waitcnt lgkmcnt(0)
	s_cmp_eq_u32 s26, 2
	s_cselect_b32 s11, s0, s15
	s_cselect_b32 s16, s0, s19
	s_cmp_eq_u32 s26, 1
	v_cvt_f32_u32_e32 v1, s11
	s_cselect_b32 s17, s0, s14
	s_cselect_b32 s18, s0, s18
	v_cvt_f32_u32_e32 v2, s16
	v_cvt_f32_u32_e32 v3, s17
	;; [unrolled: 1-line block ×3, first 2 shown]
	v_rcp_iflag_f32_e32 v1, v1
	s_clause 0x1
	s_load_dwordx4 s[12:15], s[12:13], 0xa90
	s_load_dword s20, s[24:25], 0x400
	s_load_dword s0, s[2:3], 0x0
	v_rcp_iflag_f32_e32 v2, v2
	v_rcp_iflag_f32_e32 v3, v3
	;; [unrolled: 1-line block ×3, first 2 shown]
	s_waitcnt lgkmcnt(0)
	s_sub_i32 s15, 0, s11
	s_sub_i32 s19, 0, s16
	;; [unrolled: 1-line block ×4, first 2 shown]
	v_mul_f32_e32 v1, 0x4f7ffffe, v1
	v_mul_f32_e32 v2, 0x4f7ffffe, v2
	;; [unrolled: 1-line block ×4, first 2 shown]
	v_cvt_u32_f32_e32 v5, v1
	v_cvt_u32_f32_e32 v2, v2
	;; [unrolled: 1-line block ×4, first 2 shown]
	v_mul_lo_u32 v1, s15, v5
	s_mul_i32 s20, s20, s27
	v_mul_lo_u32 v4, s19, v2
	v_mul_lo_u32 v6, s2, v3
	;; [unrolled: 1-line block ×3, first 2 shown]
	s_clause 0x1
	s_load_dwordx2 s[2:3], s[4:5], 0x0
	s_load_dwordx2 s[4:5], s[22:23], 0x0
	s_mul_i32 s21, s0, s21
	v_mul_hi_u32 v9, v5, v1
	v_mov_b32_e32 v1, 0
	v_mul_hi_u32 v10, v2, v4
	v_mul_hi_u32 v6, v3, v6
	;; [unrolled: 1-line block ×3, first 2 shown]
	v_add_nc_u32_e32 v4, v5, v9
	v_add_nc_u32_e32 v5, v2, v10
	;; [unrolled: 1-line block ×4, first 2 shown]
	s_branch .LBB74_3
.LBB74_2:                               ;   in Loop: Header=BB74_3 Depth=1
	v_lshlrev_b64 v[2:3], 3, v[2:3]
	v_mul_hi_u32 v11, v4, v0
	s_waitcnt lgkmcnt(0)
	v_add_co_u32 v2, vcc_lo, s4, v2
	v_add_co_ci_u32_e64 v3, null, s5, v3, vcc_lo
	v_not_b32_e32 v10, v11
	v_mad_u64_u32 v[8:9], null, s15, v11, v[0:1]
	global_load_dwordx2 v[2:3], v[2:3], off
	v_add_nc_u32_e32 v12, 1, v11
	v_mad_u64_u32 v[9:10], null, s11, v10, v[0:1]
	v_cmp_le_u32_e32 vcc_lo, s11, v8
	v_cndmask_b32_e32 v10, v11, v12, vcc_lo
	v_cndmask_b32_e32 v8, v8, v9, vcc_lo
	v_add_nc_u32_e32 v9, 1, v10
	v_cmp_le_u32_e32 vcc_lo, s11, v8
	v_cndmask_b32_e32 v10, v10, v9, vcc_lo
	v_mul_hi_u32 v8, v10, v6
	v_mul_lo_u32 v9, v8, s17
	v_add_nc_u32_e32 v11, 1, v8
	v_sub_nc_u32_e32 v9, v10, v9
	v_subrev_nc_u32_e32 v12, s17, v9
	v_cmp_le_u32_e32 vcc_lo, s17, v9
	v_cndmask_b32_e32 v8, v8, v11, vcc_lo
	v_cndmask_b32_e32 v9, v9, v12, vcc_lo
	v_add_nc_u32_e32 v11, 1, v8
	v_cmp_le_u32_e32 vcc_lo, s17, v9
	v_cndmask_b32_e32 v11, v8, v11, vcc_lo
	v_mad_u64_u32 v[8:9], null, s15, v10, v[0:1]
	v_add_nc_u32_e32 v0, s21, v0
	v_mul_lo_u32 v12, v11, s17
	v_mul_lo_u32 v9, v11, s8
	v_cmp_le_u32_e32 vcc_lo, s7, v0
	v_sub_nc_u32_e32 v10, v10, v12
	s_or_b32 s1, vcc_lo, s1
	v_mul_lo_u32 v10, v10, s9
	v_mad_u64_u32 v[8:9], null, v8, s10, v[9:10]
	v_mov_b32_e32 v9, v1
	v_add3_u32 v8, v8, v10, s20
	v_lshlrev_b64 v[8:9], 3, v[8:9]
	v_add_co_u32 v8, s0, s2, v8
	v_add_co_ci_u32_e64 v9, null, s3, v9, s0
	s_waitcnt vmcnt(0)
	global_store_dwordx2 v[8:9], v[2:3], off
	s_andn2_b32 exec_lo, exec_lo, s1
	s_cbranch_execz .LBB74_5
.LBB74_3:                               ; =>This Inner Loop Header: Depth=1
	v_mov_b32_e32 v3, v1
	v_mov_b32_e32 v2, v0
	s_andn2_b32 vcc_lo, exec_lo, s6
	s_cbranch_vccnz .LBB74_2
; %bb.4:                                ;   in Loop: Header=BB74_3 Depth=1
	v_mul_hi_u32 v10, v5, v0
	v_not_b32_e32 v8, v10
	v_mad_u64_u32 v[2:3], null, s19, v10, v[0:1]
	v_add_nc_u32_e32 v3, 1, v10
	v_mad_u64_u32 v[8:9], null, s16, v8, v[0:1]
	v_cmp_le_u32_e32 vcc_lo, s16, v2
	v_cndmask_b32_e32 v3, v10, v3, vcc_lo
	v_cndmask_b32_e32 v2, v2, v8, vcc_lo
	v_add_nc_u32_e32 v8, 1, v3
	v_cmp_le_u32_e32 vcc_lo, s16, v2
	v_cndmask_b32_e32 v8, v3, v8, vcc_lo
	v_mul_hi_u32 v2, v8, v7
	v_mul_lo_u32 v3, v2, s18
	v_add_nc_u32_e32 v9, 1, v2
	v_sub_nc_u32_e32 v3, v8, v3
	v_subrev_nc_u32_e32 v10, s18, v3
	v_cmp_le_u32_e32 vcc_lo, s18, v3
	v_cndmask_b32_e32 v2, v2, v9, vcc_lo
	v_cndmask_b32_e32 v3, v3, v10, vcc_lo
	v_add_nc_u32_e32 v9, 1, v2
	v_cmp_le_u32_e32 vcc_lo, s18, v3
	v_cndmask_b32_e32 v9, v2, v9, vcc_lo
	v_mad_u64_u32 v[2:3], null, s19, v8, v[0:1]
	v_mul_lo_u32 v10, v9, s18
	v_mul_lo_u32 v2, v2, s14
	v_sub_nc_u32_e32 v3, v8, v10
	v_mul_lo_u32 v8, v9, s12
	v_mul_lo_u32 v3, v3, s13
	v_add3_u32 v2, v2, v8, v3
	v_mov_b32_e32 v3, v1
	s_branch .LBB74_2
.LBB74_5:
	s_endpgm
	.section	.rodata,"a",@progbits
	.p2align	6, 0x0
	.amdhsa_kernel _ZN2at6native12_GLOBAL__N_119CatArrayBatchedCopyINS1_10OpaqueTypeILj8EEEjLi3ELi128ELi1EEEvPT_NS1_25CatArrInputTensorMetadataIS5_T0_XT2_EXT3_EEENS1_16TensorSizeStrideIS8_Lj4EEEiS8_
		.amdhsa_group_segment_fixed_size 0
		.amdhsa_private_segment_fixed_size 0
		.amdhsa_kernarg_size 3024
		.amdhsa_user_sgpr_count 6
		.amdhsa_user_sgpr_private_segment_buffer 1
		.amdhsa_user_sgpr_dispatch_ptr 0
		.amdhsa_user_sgpr_queue_ptr 0
		.amdhsa_user_sgpr_kernarg_segment_ptr 1
		.amdhsa_user_sgpr_dispatch_id 0
		.amdhsa_user_sgpr_flat_scratch_init 0
		.amdhsa_user_sgpr_private_segment_size 0
		.amdhsa_wavefront_size32 1
		.amdhsa_uses_dynamic_stack 0
		.amdhsa_system_sgpr_private_segment_wavefront_offset 0
		.amdhsa_system_sgpr_workgroup_id_x 1
		.amdhsa_system_sgpr_workgroup_id_y 1
		.amdhsa_system_sgpr_workgroup_id_z 0
		.amdhsa_system_sgpr_workgroup_info 0
		.amdhsa_system_vgpr_workitem_id 0
		.amdhsa_next_free_vgpr 13
		.amdhsa_next_free_sgpr 28
		.amdhsa_reserve_vcc 1
		.amdhsa_reserve_flat_scratch 0
		.amdhsa_float_round_mode_32 0
		.amdhsa_float_round_mode_16_64 0
		.amdhsa_float_denorm_mode_32 3
		.amdhsa_float_denorm_mode_16_64 3
		.amdhsa_dx10_clamp 1
		.amdhsa_ieee_mode 1
		.amdhsa_fp16_overflow 0
		.amdhsa_workgroup_processor_mode 1
		.amdhsa_memory_ordered 1
		.amdhsa_forward_progress 1
		.amdhsa_shared_vgpr_count 0
		.amdhsa_exception_fp_ieee_invalid_op 0
		.amdhsa_exception_fp_denorm_src 0
		.amdhsa_exception_fp_ieee_div_zero 0
		.amdhsa_exception_fp_ieee_overflow 0
		.amdhsa_exception_fp_ieee_underflow 0
		.amdhsa_exception_fp_ieee_inexact 0
		.amdhsa_exception_int_div_zero 0
	.end_amdhsa_kernel
	.section	.text._ZN2at6native12_GLOBAL__N_119CatArrayBatchedCopyINS1_10OpaqueTypeILj8EEEjLi3ELi128ELi1EEEvPT_NS1_25CatArrInputTensorMetadataIS5_T0_XT2_EXT3_EEENS1_16TensorSizeStrideIS8_Lj4EEEiS8_,"axG",@progbits,_ZN2at6native12_GLOBAL__N_119CatArrayBatchedCopyINS1_10OpaqueTypeILj8EEEjLi3ELi128ELi1EEEvPT_NS1_25CatArrInputTensorMetadataIS5_T0_XT2_EXT3_EEENS1_16TensorSizeStrideIS8_Lj4EEEiS8_,comdat
.Lfunc_end74:
	.size	_ZN2at6native12_GLOBAL__N_119CatArrayBatchedCopyINS1_10OpaqueTypeILj8EEEjLi3ELi128ELi1EEEvPT_NS1_25CatArrInputTensorMetadataIS5_T0_XT2_EXT3_EEENS1_16TensorSizeStrideIS8_Lj4EEEiS8_, .Lfunc_end74-_ZN2at6native12_GLOBAL__N_119CatArrayBatchedCopyINS1_10OpaqueTypeILj8EEEjLi3ELi128ELi1EEEvPT_NS1_25CatArrInputTensorMetadataIS5_T0_XT2_EXT3_EEENS1_16TensorSizeStrideIS8_Lj4EEEiS8_
                                        ; -- End function
	.set _ZN2at6native12_GLOBAL__N_119CatArrayBatchedCopyINS1_10OpaqueTypeILj8EEEjLi3ELi128ELi1EEEvPT_NS1_25CatArrInputTensorMetadataIS5_T0_XT2_EXT3_EEENS1_16TensorSizeStrideIS8_Lj4EEEiS8_.num_vgpr, 13
	.set _ZN2at6native12_GLOBAL__N_119CatArrayBatchedCopyINS1_10OpaqueTypeILj8EEEjLi3ELi128ELi1EEEvPT_NS1_25CatArrInputTensorMetadataIS5_T0_XT2_EXT3_EEENS1_16TensorSizeStrideIS8_Lj4EEEiS8_.num_agpr, 0
	.set _ZN2at6native12_GLOBAL__N_119CatArrayBatchedCopyINS1_10OpaqueTypeILj8EEEjLi3ELi128ELi1EEEvPT_NS1_25CatArrInputTensorMetadataIS5_T0_XT2_EXT3_EEENS1_16TensorSizeStrideIS8_Lj4EEEiS8_.numbered_sgpr, 28
	.set _ZN2at6native12_GLOBAL__N_119CatArrayBatchedCopyINS1_10OpaqueTypeILj8EEEjLi3ELi128ELi1EEEvPT_NS1_25CatArrInputTensorMetadataIS5_T0_XT2_EXT3_EEENS1_16TensorSizeStrideIS8_Lj4EEEiS8_.num_named_barrier, 0
	.set _ZN2at6native12_GLOBAL__N_119CatArrayBatchedCopyINS1_10OpaqueTypeILj8EEEjLi3ELi128ELi1EEEvPT_NS1_25CatArrInputTensorMetadataIS5_T0_XT2_EXT3_EEENS1_16TensorSizeStrideIS8_Lj4EEEiS8_.private_seg_size, 0
	.set _ZN2at6native12_GLOBAL__N_119CatArrayBatchedCopyINS1_10OpaqueTypeILj8EEEjLi3ELi128ELi1EEEvPT_NS1_25CatArrInputTensorMetadataIS5_T0_XT2_EXT3_EEENS1_16TensorSizeStrideIS8_Lj4EEEiS8_.uses_vcc, 1
	.set _ZN2at6native12_GLOBAL__N_119CatArrayBatchedCopyINS1_10OpaqueTypeILj8EEEjLi3ELi128ELi1EEEvPT_NS1_25CatArrInputTensorMetadataIS5_T0_XT2_EXT3_EEENS1_16TensorSizeStrideIS8_Lj4EEEiS8_.uses_flat_scratch, 0
	.set _ZN2at6native12_GLOBAL__N_119CatArrayBatchedCopyINS1_10OpaqueTypeILj8EEEjLi3ELi128ELi1EEEvPT_NS1_25CatArrInputTensorMetadataIS5_T0_XT2_EXT3_EEENS1_16TensorSizeStrideIS8_Lj4EEEiS8_.has_dyn_sized_stack, 0
	.set _ZN2at6native12_GLOBAL__N_119CatArrayBatchedCopyINS1_10OpaqueTypeILj8EEEjLi3ELi128ELi1EEEvPT_NS1_25CatArrInputTensorMetadataIS5_T0_XT2_EXT3_EEENS1_16TensorSizeStrideIS8_Lj4EEEiS8_.has_recursion, 0
	.set _ZN2at6native12_GLOBAL__N_119CatArrayBatchedCopyINS1_10OpaqueTypeILj8EEEjLi3ELi128ELi1EEEvPT_NS1_25CatArrInputTensorMetadataIS5_T0_XT2_EXT3_EEENS1_16TensorSizeStrideIS8_Lj4EEEiS8_.has_indirect_call, 0
	.section	.AMDGPU.csdata,"",@progbits
; Kernel info:
; codeLenInByte = 920
; TotalNumSgprs: 30
; NumVgprs: 13
; ScratchSize: 0
; MemoryBound: 0
; FloatMode: 240
; IeeeMode: 1
; LDSByteSize: 0 bytes/workgroup (compile time only)
; SGPRBlocks: 0
; VGPRBlocks: 1
; NumSGPRsForWavesPerEU: 30
; NumVGPRsForWavesPerEU: 13
; Occupancy: 16
; WaveLimiterHint : 1
; COMPUTE_PGM_RSRC2:SCRATCH_EN: 0
; COMPUTE_PGM_RSRC2:USER_SGPR: 6
; COMPUTE_PGM_RSRC2:TRAP_HANDLER: 0
; COMPUTE_PGM_RSRC2:TGID_X_EN: 1
; COMPUTE_PGM_RSRC2:TGID_Y_EN: 1
; COMPUTE_PGM_RSRC2:TGID_Z_EN: 0
; COMPUTE_PGM_RSRC2:TIDIG_COMP_CNT: 0
	.section	.text._ZN2at6native12_GLOBAL__N_130CatArrayBatchedCopy_vectorizedINS1_10OpaqueTypeILj8EEEjLi4ELi128ELi1ELi16ELi2EEEvPcNS1_25CatArrInputTensorMetadataIT_T0_XT2_EXT3_EEENS1_16TensorSizeStrideIS8_Lj4EEEiS8_,"axG",@progbits,_ZN2at6native12_GLOBAL__N_130CatArrayBatchedCopy_vectorizedINS1_10OpaqueTypeILj8EEEjLi4ELi128ELi1ELi16ELi2EEEvPcNS1_25CatArrInputTensorMetadataIT_T0_XT2_EXT3_EEENS1_16TensorSizeStrideIS8_Lj4EEEiS8_,comdat
	.globl	_ZN2at6native12_GLOBAL__N_130CatArrayBatchedCopy_vectorizedINS1_10OpaqueTypeILj8EEEjLi4ELi128ELi1ELi16ELi2EEEvPcNS1_25CatArrInputTensorMetadataIT_T0_XT2_EXT3_EEENS1_16TensorSizeStrideIS8_Lj4EEEiS8_ ; -- Begin function _ZN2at6native12_GLOBAL__N_130CatArrayBatchedCopy_vectorizedINS1_10OpaqueTypeILj8EEEjLi4ELi128ELi1ELi16ELi2EEEvPcNS1_25CatArrInputTensorMetadataIT_T0_XT2_EXT3_EEENS1_16TensorSizeStrideIS8_Lj4EEEiS8_
	.p2align	8
	.type	_ZN2at6native12_GLOBAL__N_130CatArrayBatchedCopy_vectorizedINS1_10OpaqueTypeILj8EEEjLi4ELi128ELi1ELi16ELi2EEEvPcNS1_25CatArrInputTensorMetadataIT_T0_XT2_EXT3_EEENS1_16TensorSizeStrideIS8_Lj4EEEiS8_,@function
_ZN2at6native12_GLOBAL__N_130CatArrayBatchedCopy_vectorizedINS1_10OpaqueTypeILj8EEEjLi4ELi128ELi1ELi16ELi2EEEvPcNS1_25CatArrInputTensorMetadataIT_T0_XT2_EXT3_EEENS1_16TensorSizeStrideIS8_Lj4EEEiS8_: ; @_ZN2at6native12_GLOBAL__N_130CatArrayBatchedCopy_vectorizedINS1_10OpaqueTypeILj8EEEjLi4ELi128ELi1ELi16ELi2EEEvPcNS1_25CatArrInputTensorMetadataIT_T0_XT2_EXT3_EEENS1_16TensorSizeStrideIS8_Lj4EEEiS8_
; %bb.0:
	s_mov_b32 s0, s7
	s_load_dword s7, s[4:5], 0xadc
	s_mov_b32 s1, 0
	s_add_u32 s2, s4, 0xad0
	s_addc_u32 s3, s5, 0
	s_lshl_b64 s[8:9], s[0:1], 2
	s_waitcnt lgkmcnt(0)
	s_and_b32 s15, s7, 0xffff
	s_add_u32 s10, s4, s8
	s_addc_u32 s11, s5, s9
	v_mad_u64_u32 v[0:1], null, s6, s15, v[0:1]
	s_load_dword s7, s[10:11], 0x808
	s_add_u32 s0, s10, 8
	s_addc_u32 s6, s11, 0
	s_waitcnt lgkmcnt(0)
	s_lshr_b32 s10, s7, 1
	s_mov_b32 s7, exec_lo
	v_cmpx_gt_u32_e64 s10, v0
	s_cbranch_execz .LBB75_3
; %bb.1:
	s_add_u32 s20, s0, s8
	s_addc_u32 s21, s6, s9
	s_sub_u32 s0, 0, s8
	s_subb_u32 s7, 0, s9
	s_add_u32 s6, s20, s0
	s_addc_u32 s7, s21, s7
	s_clause 0x3
	s_load_dwordx2 s[12:13], s[4:5], 0xac8
	s_load_dword s0, s[6:7], 0x400
	s_load_dword s6, s[6:7], 0x600
	s_load_dwordx4 s[16:19], s[4:5], 0xaac
	s_waitcnt lgkmcnt(0)
	s_mul_i32 s0, s0, s13
	s_mul_i32 s6, s6, s13
	s_lshr_b32 s0, s0, 1
	s_lshr_b32 s6, s6, 1
	s_lshl_b64 s[22:23], s[0:1], 4
	s_cmp_eq_u32 s12, 3
	s_load_dword s0, s[2:3], 0x0
	s_cselect_b32 s8, s6, s18
	s_cmp_eq_u32 s12, 2
	v_cvt_f32_u32_e32 v1, s8
	s_cselect_b32 s9, s6, s17
	s_cmp_eq_u32 s12, 1
	v_cvt_f32_u32_e32 v2, s9
	s_cselect_b32 s11, s6, s16
	s_load_dwordx2 s[18:19], s[4:5], 0x0
	v_cvt_f32_u32_e32 v3, s11
	v_rcp_iflag_f32_e32 v1, v1
	v_rcp_iflag_f32_e32 v2, v2
	s_load_dwordx4 s[4:7], s[4:5], 0xab8
	v_rcp_iflag_f32_e32 v3, v3
	v_mul_f32_e32 v1, 0x4f7ffffe, v1
	v_mul_f32_e32 v2, 0x4f7ffffe, v2
	s_waitcnt lgkmcnt(0)
	s_mul_i32 s15, s0, s15
	v_mul_f32_e32 v3, 0x4f7ffffe, v3
	v_cvt_u32_f32_e32 v1, v1
	v_cvt_u32_f32_e32 v4, v2
	s_add_u32 s12, s18, s22
	v_cvt_u32_f32_e32 v5, v3
	s_addc_u32 s13, s19, s23
	s_sub_i32 s14, 0, s8
	s_sub_i32 s2, 0, s9
	;; [unrolled: 1-line block ×3, first 2 shown]
	v_mul_lo_u32 v2, s14, v1
	v_mul_lo_u32 v3, s2, v4
	v_mul_lo_u32 v6, s3, v5
	s_load_dwordx2 s[2:3], s[20:21], 0x0
	v_mul_hi_u32 v2, v1, v2
	v_mul_hi_u32 v3, v4, v3
	v_mul_hi_u32 v6, v5, v6
	v_add_nc_u32_e32 v2, v1, v2
	v_mov_b32_e32 v1, 0
	v_add_nc_u32_e32 v3, v4, v3
	v_add_nc_u32_e32 v4, v5, v6
.LBB75_2:                               ; =>This Inner Loop Header: Depth=1
	v_lshlrev_b64 v[5:6], 4, v[0:1]
	v_mul_hi_u32 v11, v2, v0
	s_waitcnt lgkmcnt(0)
	v_add_co_u32 v5, vcc_lo, s2, v5
	v_add_co_ci_u32_e64 v6, null, s3, v6, vcc_lo
	v_mul_lo_u32 v12, s8, v11
	v_not_b32_e32 v9, v11
	v_add_nc_u32_e32 v13, 1, v11
	global_load_dwordx4 v[5:8], v[5:6], off
	v_mad_u64_u32 v[9:10], null, s8, v9, v[0:1]
	v_sub_nc_u32_e32 v10, v0, v12
	v_cmp_le_u32_e32 vcc_lo, s8, v10
	v_cndmask_b32_e32 v11, v11, v13, vcc_lo
	v_cndmask_b32_e32 v9, v10, v9, vcc_lo
	v_add_nc_u32_e32 v10, 1, v11
	v_cmp_le_u32_e32 vcc_lo, s8, v9
	v_cndmask_b32_e32 v11, v11, v10, vcc_lo
	v_mul_hi_u32 v12, v11, v3
	v_mad_u64_u32 v[9:10], null, s14, v11, v[0:1]
	v_add_nc_u32_e32 v0, s15, v0
	v_mul_lo_u32 v10, v12, s9
	v_add_nc_u32_e32 v13, 1, v12
	v_mul_lo_u32 v9, v9, s7
	v_sub_nc_u32_e32 v10, v11, v10
	v_subrev_nc_u32_e32 v14, s9, v10
	v_cmp_le_u32_e32 vcc_lo, s9, v10
	v_cndmask_b32_e32 v12, v12, v13, vcc_lo
	v_cndmask_b32_e32 v10, v10, v14, vcc_lo
	v_add_nc_u32_e32 v13, 1, v12
	v_cmp_le_u32_e32 vcc_lo, s9, v10
	v_cndmask_b32_e32 v10, v12, v13, vcc_lo
	v_mul_hi_u32 v12, v10, v4
	v_mul_lo_u32 v13, v12, s11
	v_add_nc_u32_e32 v14, 1, v12
	v_sub_nc_u32_e32 v13, v10, v13
	v_subrev_nc_u32_e32 v15, s11, v13
	v_cmp_le_u32_e32 vcc_lo, s11, v13
	v_cndmask_b32_e32 v12, v12, v14, vcc_lo
	v_cndmask_b32_e32 v13, v13, v15, vcc_lo
	v_add_nc_u32_e32 v14, 1, v12
	v_cmp_le_u32_e32 vcc_lo, s11, v13
	v_mul_lo_u32 v13, v10, s9
	v_cndmask_b32_e32 v12, v12, v14, vcc_lo
	v_cmp_le_u32_e32 vcc_lo, s10, v0
	v_sub_nc_u32_e32 v11, v11, v13
	v_mul_lo_u32 v14, v12, s11
	s_or_b32 s1, vcc_lo, s1
	v_mul_lo_u32 v11, v11, s6
	v_sub_nc_u32_e32 v13, v10, v14
	v_mad_u64_u32 v[9:10], null, v12, s4, v[9:10]
	v_mov_b32_e32 v10, v1
	v_mul_lo_u32 v12, v13, s5
	v_add3_u32 v9, v9, v11, v12
	v_lshlrev_b64 v[9:10], 4, v[9:10]
	v_add_co_u32 v9, s0, s12, v9
	v_add_co_ci_u32_e64 v10, null, s13, v10, s0
	s_waitcnt vmcnt(0)
	global_store_dwordx4 v[9:10], v[5:8], off
	s_andn2_b32 exec_lo, exec_lo, s1
	s_cbranch_execnz .LBB75_2
.LBB75_3:
	s_endpgm
	.section	.rodata,"a",@progbits
	.p2align	6, 0x0
	.amdhsa_kernel _ZN2at6native12_GLOBAL__N_130CatArrayBatchedCopy_vectorizedINS1_10OpaqueTypeILj8EEEjLi4ELi128ELi1ELi16ELi2EEEvPcNS1_25CatArrInputTensorMetadataIT_T0_XT2_EXT3_EEENS1_16TensorSizeStrideIS8_Lj4EEEiS8_
		.amdhsa_group_segment_fixed_size 0
		.amdhsa_private_segment_fixed_size 0
		.amdhsa_kernarg_size 3024
		.amdhsa_user_sgpr_count 6
		.amdhsa_user_sgpr_private_segment_buffer 1
		.amdhsa_user_sgpr_dispatch_ptr 0
		.amdhsa_user_sgpr_queue_ptr 0
		.amdhsa_user_sgpr_kernarg_segment_ptr 1
		.amdhsa_user_sgpr_dispatch_id 0
		.amdhsa_user_sgpr_flat_scratch_init 0
		.amdhsa_user_sgpr_private_segment_size 0
		.amdhsa_wavefront_size32 1
		.amdhsa_uses_dynamic_stack 0
		.amdhsa_system_sgpr_private_segment_wavefront_offset 0
		.amdhsa_system_sgpr_workgroup_id_x 1
		.amdhsa_system_sgpr_workgroup_id_y 1
		.amdhsa_system_sgpr_workgroup_id_z 0
		.amdhsa_system_sgpr_workgroup_info 0
		.amdhsa_system_vgpr_workitem_id 0
		.amdhsa_next_free_vgpr 16
		.amdhsa_next_free_sgpr 24
		.amdhsa_reserve_vcc 1
		.amdhsa_reserve_flat_scratch 0
		.amdhsa_float_round_mode_32 0
		.amdhsa_float_round_mode_16_64 0
		.amdhsa_float_denorm_mode_32 3
		.amdhsa_float_denorm_mode_16_64 3
		.amdhsa_dx10_clamp 1
		.amdhsa_ieee_mode 1
		.amdhsa_fp16_overflow 0
		.amdhsa_workgroup_processor_mode 1
		.amdhsa_memory_ordered 1
		.amdhsa_forward_progress 1
		.amdhsa_shared_vgpr_count 0
		.amdhsa_exception_fp_ieee_invalid_op 0
		.amdhsa_exception_fp_denorm_src 0
		.amdhsa_exception_fp_ieee_div_zero 0
		.amdhsa_exception_fp_ieee_overflow 0
		.amdhsa_exception_fp_ieee_underflow 0
		.amdhsa_exception_fp_ieee_inexact 0
		.amdhsa_exception_int_div_zero 0
	.end_amdhsa_kernel
	.section	.text._ZN2at6native12_GLOBAL__N_130CatArrayBatchedCopy_vectorizedINS1_10OpaqueTypeILj8EEEjLi4ELi128ELi1ELi16ELi2EEEvPcNS1_25CatArrInputTensorMetadataIT_T0_XT2_EXT3_EEENS1_16TensorSizeStrideIS8_Lj4EEEiS8_,"axG",@progbits,_ZN2at6native12_GLOBAL__N_130CatArrayBatchedCopy_vectorizedINS1_10OpaqueTypeILj8EEEjLi4ELi128ELi1ELi16ELi2EEEvPcNS1_25CatArrInputTensorMetadataIT_T0_XT2_EXT3_EEENS1_16TensorSizeStrideIS8_Lj4EEEiS8_,comdat
.Lfunc_end75:
	.size	_ZN2at6native12_GLOBAL__N_130CatArrayBatchedCopy_vectorizedINS1_10OpaqueTypeILj8EEEjLi4ELi128ELi1ELi16ELi2EEEvPcNS1_25CatArrInputTensorMetadataIT_T0_XT2_EXT3_EEENS1_16TensorSizeStrideIS8_Lj4EEEiS8_, .Lfunc_end75-_ZN2at6native12_GLOBAL__N_130CatArrayBatchedCopy_vectorizedINS1_10OpaqueTypeILj8EEEjLi4ELi128ELi1ELi16ELi2EEEvPcNS1_25CatArrInputTensorMetadataIT_T0_XT2_EXT3_EEENS1_16TensorSizeStrideIS8_Lj4EEEiS8_
                                        ; -- End function
	.set _ZN2at6native12_GLOBAL__N_130CatArrayBatchedCopy_vectorizedINS1_10OpaqueTypeILj8EEEjLi4ELi128ELi1ELi16ELi2EEEvPcNS1_25CatArrInputTensorMetadataIT_T0_XT2_EXT3_EEENS1_16TensorSizeStrideIS8_Lj4EEEiS8_.num_vgpr, 16
	.set _ZN2at6native12_GLOBAL__N_130CatArrayBatchedCopy_vectorizedINS1_10OpaqueTypeILj8EEEjLi4ELi128ELi1ELi16ELi2EEEvPcNS1_25CatArrInputTensorMetadataIT_T0_XT2_EXT3_EEENS1_16TensorSizeStrideIS8_Lj4EEEiS8_.num_agpr, 0
	.set _ZN2at6native12_GLOBAL__N_130CatArrayBatchedCopy_vectorizedINS1_10OpaqueTypeILj8EEEjLi4ELi128ELi1ELi16ELi2EEEvPcNS1_25CatArrInputTensorMetadataIT_T0_XT2_EXT3_EEENS1_16TensorSizeStrideIS8_Lj4EEEiS8_.numbered_sgpr, 24
	.set _ZN2at6native12_GLOBAL__N_130CatArrayBatchedCopy_vectorizedINS1_10OpaqueTypeILj8EEEjLi4ELi128ELi1ELi16ELi2EEEvPcNS1_25CatArrInputTensorMetadataIT_T0_XT2_EXT3_EEENS1_16TensorSizeStrideIS8_Lj4EEEiS8_.num_named_barrier, 0
	.set _ZN2at6native12_GLOBAL__N_130CatArrayBatchedCopy_vectorizedINS1_10OpaqueTypeILj8EEEjLi4ELi128ELi1ELi16ELi2EEEvPcNS1_25CatArrInputTensorMetadataIT_T0_XT2_EXT3_EEENS1_16TensorSizeStrideIS8_Lj4EEEiS8_.private_seg_size, 0
	.set _ZN2at6native12_GLOBAL__N_130CatArrayBatchedCopy_vectorizedINS1_10OpaqueTypeILj8EEEjLi4ELi128ELi1ELi16ELi2EEEvPcNS1_25CatArrInputTensorMetadataIT_T0_XT2_EXT3_EEENS1_16TensorSizeStrideIS8_Lj4EEEiS8_.uses_vcc, 1
	.set _ZN2at6native12_GLOBAL__N_130CatArrayBatchedCopy_vectorizedINS1_10OpaqueTypeILj8EEEjLi4ELi128ELi1ELi16ELi2EEEvPcNS1_25CatArrInputTensorMetadataIT_T0_XT2_EXT3_EEENS1_16TensorSizeStrideIS8_Lj4EEEiS8_.uses_flat_scratch, 0
	.set _ZN2at6native12_GLOBAL__N_130CatArrayBatchedCopy_vectorizedINS1_10OpaqueTypeILj8EEEjLi4ELi128ELi1ELi16ELi2EEEvPcNS1_25CatArrInputTensorMetadataIT_T0_XT2_EXT3_EEENS1_16TensorSizeStrideIS8_Lj4EEEiS8_.has_dyn_sized_stack, 0
	.set _ZN2at6native12_GLOBAL__N_130CatArrayBatchedCopy_vectorizedINS1_10OpaqueTypeILj8EEEjLi4ELi128ELi1ELi16ELi2EEEvPcNS1_25CatArrInputTensorMetadataIT_T0_XT2_EXT3_EEENS1_16TensorSizeStrideIS8_Lj4EEEiS8_.has_recursion, 0
	.set _ZN2at6native12_GLOBAL__N_130CatArrayBatchedCopy_vectorizedINS1_10OpaqueTypeILj8EEEjLi4ELi128ELi1ELi16ELi2EEEvPcNS1_25CatArrInputTensorMetadataIT_T0_XT2_EXT3_EEENS1_16TensorSizeStrideIS8_Lj4EEEiS8_.has_indirect_call, 0
	.section	.AMDGPU.csdata,"",@progbits
; Kernel info:
; codeLenInByte = 728
; TotalNumSgprs: 26
; NumVgprs: 16
; ScratchSize: 0
; MemoryBound: 0
; FloatMode: 240
; IeeeMode: 1
; LDSByteSize: 0 bytes/workgroup (compile time only)
; SGPRBlocks: 0
; VGPRBlocks: 1
; NumSGPRsForWavesPerEU: 26
; NumVGPRsForWavesPerEU: 16
; Occupancy: 16
; WaveLimiterHint : 1
; COMPUTE_PGM_RSRC2:SCRATCH_EN: 0
; COMPUTE_PGM_RSRC2:USER_SGPR: 6
; COMPUTE_PGM_RSRC2:TRAP_HANDLER: 0
; COMPUTE_PGM_RSRC2:TGID_X_EN: 1
; COMPUTE_PGM_RSRC2:TGID_Y_EN: 1
; COMPUTE_PGM_RSRC2:TGID_Z_EN: 0
; COMPUTE_PGM_RSRC2:TIDIG_COMP_CNT: 0
	.section	.text._ZN2at6native12_GLOBAL__N_135CatArrayBatchedCopy_alignedK_contigINS1_10OpaqueTypeILj8EEEjLi4ELi128ELi1ELi16EEEvPT_NS1_25CatArrInputTensorMetadataIS5_T0_XT2_EXT3_EEENS1_16TensorSizeStrideIS8_Lj4EEEiS8_,"axG",@progbits,_ZN2at6native12_GLOBAL__N_135CatArrayBatchedCopy_alignedK_contigINS1_10OpaqueTypeILj8EEEjLi4ELi128ELi1ELi16EEEvPT_NS1_25CatArrInputTensorMetadataIS5_T0_XT2_EXT3_EEENS1_16TensorSizeStrideIS8_Lj4EEEiS8_,comdat
	.globl	_ZN2at6native12_GLOBAL__N_135CatArrayBatchedCopy_alignedK_contigINS1_10OpaqueTypeILj8EEEjLi4ELi128ELi1ELi16EEEvPT_NS1_25CatArrInputTensorMetadataIS5_T0_XT2_EXT3_EEENS1_16TensorSizeStrideIS8_Lj4EEEiS8_ ; -- Begin function _ZN2at6native12_GLOBAL__N_135CatArrayBatchedCopy_alignedK_contigINS1_10OpaqueTypeILj8EEEjLi4ELi128ELi1ELi16EEEvPT_NS1_25CatArrInputTensorMetadataIS5_T0_XT2_EXT3_EEENS1_16TensorSizeStrideIS8_Lj4EEEiS8_
	.p2align	8
	.type	_ZN2at6native12_GLOBAL__N_135CatArrayBatchedCopy_alignedK_contigINS1_10OpaqueTypeILj8EEEjLi4ELi128ELi1ELi16EEEvPT_NS1_25CatArrInputTensorMetadataIS5_T0_XT2_EXT3_EEENS1_16TensorSizeStrideIS8_Lj4EEEiS8_,@function
_ZN2at6native12_GLOBAL__N_135CatArrayBatchedCopy_alignedK_contigINS1_10OpaqueTypeILj8EEEjLi4ELi128ELi1ELi16EEEvPT_NS1_25CatArrInputTensorMetadataIS5_T0_XT2_EXT3_EEENS1_16TensorSizeStrideIS8_Lj4EEEiS8_: ; @_ZN2at6native12_GLOBAL__N_135CatArrayBatchedCopy_alignedK_contigINS1_10OpaqueTypeILj8EEEjLi4ELi128ELi1ELi16EEEvPT_NS1_25CatArrInputTensorMetadataIS5_T0_XT2_EXT3_EEENS1_16TensorSizeStrideIS8_Lj4EEEiS8_
; %bb.0:
	s_mov_b32 s2, s7
	s_load_dword s7, s[4:5], 0xadc
	s_mov_b32 s3, 0
	s_add_u32 s0, s4, 0xad0
	s_addc_u32 s1, s5, 0
	s_lshl_b64 s[16:17], s[2:3], 2
	s_waitcnt lgkmcnt(0)
	s_and_b32 s18, s7, 0xffff
	s_add_u32 s2, s4, s16
	s_addc_u32 s3, s5, s17
	s_mul_i32 s6, s6, s18
	s_load_dword s7, s[2:3], 0x808
	v_add_lshl_u32 v0, s6, v0, 1
	s_add_u32 s6, s2, 8
	s_addc_u32 s19, s3, 0
	s_mov_b32 s2, exec_lo
	s_waitcnt lgkmcnt(0)
	v_cmpx_gt_u32_e64 s7, v0
	s_cbranch_execz .LBB76_8
; %bb.1:
	s_add_u32 s20, s6, s16
	s_addc_u32 s21, s19, s17
	s_sub_u32 s6, 0, s16
	s_subb_u32 s17, 0, s17
	s_add_u32 s16, s20, s6
	s_addc_u32 s17, s21, s17
	s_clause 0x5
	s_load_dwordx2 s[2:3], s[4:5], 0x0
	s_load_dwordx8 s[8:15], s[4:5], 0xaac
	s_load_dword s6, s[4:5], 0xacc
	s_load_dword s19, s[16:17], 0x400
	s_load_dwordx2 s[4:5], s[20:21], 0x0
	s_load_dword s16, s[16:17], 0x600
	v_add_nc_u32_e32 v1, 2, v0
	s_mov_b32 s17, exec_lo
	s_waitcnt lgkmcnt(0)
	s_mul_i32 s6, s19, s6
	v_cmpx_ge_u32_e64 s7, v1
	s_cbranch_execz .LBB76_5
; %bb.2:
	s_load_dword s0, s[0:1], 0x0
	s_mov_b32 s23, 0
	s_waitcnt lgkmcnt(0)
	s_mul_i32 s0, s0, s18
	s_lshl_b32 s18, s0, 1
	s_cmp_eq_u32 s15, 3
	s_cselect_b32 s19, s16, s10
	s_cmp_eq_u32 s15, 2
	v_cvt_f32_u32_e32 v1, s19
	s_cselect_b32 s20, s16, s9
	s_cmp_eq_u32 s15, 1
	v_cvt_f32_u32_e32 v2, s20
	s_cselect_b32 s21, s16, s8
	v_rcp_iflag_f32_e32 v1, v1
	v_cvt_f32_u32_e32 v3, s21
	s_sub_i32 s22, 0, s19
	v_rcp_iflag_f32_e32 v2, v2
	s_sub_i32 s0, 0, s20
	s_sub_i32 s1, 0, s21
	v_rcp_iflag_f32_e32 v3, v3
	v_mul_f32_e32 v1, 0x4f7ffffe, v1
	v_mul_f32_e32 v2, 0x4f7ffffe, v2
	v_cvt_u32_f32_e32 v4, v1
	v_mul_f32_e32 v3, 0x4f7ffffe, v3
	v_cvt_u32_f32_e32 v5, v2
	v_mul_lo_u32 v1, s22, v4
	v_cvt_u32_f32_e32 v6, v3
	v_mul_lo_u32 v2, s0, v5
	v_mul_lo_u32 v3, s1, v6
	v_mul_hi_u32 v7, v4, v1
	v_mov_b32_e32 v1, 0
	v_mul_hi_u32 v8, v5, v2
	v_mul_hi_u32 v9, v6, v3
	v_add_nc_u32_e32 v2, v4, v7
	v_add_nc_u32_e32 v3, v5, v8
	;; [unrolled: 1-line block ×4, first 2 shown]
.LBB76_3:                               ; =>This Inner Loop Header: Depth=1
	v_lshlrev_b64 v[6:7], 3, v[0:1]
	v_mul_hi_u32 v12, v2, v0
	v_mul_hi_u32 v16, v2, v5
	v_add_nc_u32_e32 v10, 1, v0
	v_mov_b32_e32 v11, v1
	v_mov_b32_e32 v13, v1
	v_add_co_u32 v6, vcc_lo, s4, v6
	v_add_co_ci_u32_e64 v7, null, s5, v7, vcc_lo
	v_not_b32_e32 v17, v12
	v_mad_u64_u32 v[14:15], null, s22, v12, v[0:1]
	global_load_dwordx4 v[6:9], v[6:7], off
	v_not_b32_e32 v18, v16
	v_mad_u64_u32 v[15:16], null, s22, v16, v[10:11]
	v_mul_hi_u32 v19, v10, v2
	v_mad_u64_u32 v[16:17], null, s19, v17, v[0:1]
	v_add_nc_u32_e32 v20, 1, v12
	v_cmp_le_u32_e32 vcc_lo, s19, v14
	v_mad_u64_u32 v[17:18], null, s19, v18, v[10:11]
	v_cmp_le_u32_e64 s0, s19, v15
	v_add_nc_u32_e32 v21, 1, v19
	v_cndmask_b32_e32 v10, v12, v20, vcc_lo
	v_cndmask_b32_e32 v14, v14, v16, vcc_lo
	v_add_nc_u32_e32 v5, s18, v5
	v_cndmask_b32_e64 v12, v19, v21, s0
	v_add_nc_u32_e32 v16, 1, v10
	v_cndmask_b32_e64 v15, v15, v17, s0
	v_cmp_le_u32_e32 vcc_lo, s19, v14
	v_add_nc_u32_e32 v17, 1, v12
	v_cndmask_b32_e32 v10, v10, v16, vcc_lo
	v_cmp_le_u32_e32 vcc_lo, s19, v15
	v_mad_u64_u32 v[14:15], null, s22, v10, v[0:1]
	v_cndmask_b32_e32 v12, v12, v17, vcc_lo
	v_mul_hi_u32 v17, v10, v3
	v_mad_u64_u32 v[15:16], null, s22, v12, v[0:1]
	v_mul_hi_u32 v16, v12, v3
	v_add_nc_u32_e32 v0, s18, v0
	v_mul_lo_u32 v19, v17, s20
	v_mul_lo_u32 v21, v14, s14
	v_add_nc_u32_e32 v20, 1, v17
	v_mad_u64_u32 v[14:15], null, s14, v15, s[14:15]
	v_mul_lo_u32 v22, v16, s20
	v_add_nc_u32_e32 v18, 2, v0
	v_sub_nc_u32_e32 v15, v10, v19
	v_add_nc_u32_e32 v23, 1, v16
	v_cmp_lt_u32_e32 vcc_lo, s7, v18
	v_subrev_nc_u32_e32 v19, s20, v15
	v_sub_nc_u32_e32 v18, v12, v22
	v_cmp_le_u32_e64 s0, s20, v15
	s_or_b32 s23, vcc_lo, s23
	v_cmp_le_u32_e64 s1, s20, v18
	v_cndmask_b32_e64 v17, v17, v20, s0
	v_subrev_nc_u32_e32 v20, s20, v18
	v_cndmask_b32_e64 v15, v15, v19, s0
	v_cndmask_b32_e64 v16, v16, v23, s1
	v_add_nc_u32_e32 v19, 1, v17
	v_cndmask_b32_e64 v18, v18, v20, s1
	v_cmp_le_u32_e64 s0, s20, v15
	v_add_nc_u32_e32 v20, 1, v16
	v_cndmask_b32_e64 v15, v17, v19, s0
	v_cmp_le_u32_e64 s0, s20, v18
	v_mul_lo_u32 v17, v15, s20
	v_cndmask_b32_e64 v16, v16, v20, s0
	v_mul_hi_u32 v18, v15, v4
	v_mul_lo_u32 v19, v16, s20
	v_mul_hi_u32 v20, v16, v4
	v_sub_nc_u32_e32 v10, v10, v17
	v_mul_lo_u32 v17, v18, s21
	v_add_nc_u32_e32 v22, 1, v18
	v_mul_lo_u32 v10, v10, s13
	v_sub_nc_u32_e32 v12, v12, v19
	v_mul_lo_u32 v19, v20, s21
	v_add_nc_u32_e32 v23, 1, v20
	v_sub_nc_u32_e32 v17, v15, v17
	v_mul_lo_u32 v12, v12, s13
	v_sub_nc_u32_e32 v19, v16, v19
	v_subrev_nc_u32_e32 v24, s21, v17
	v_cmp_le_u32_e64 s0, s21, v17
	v_cmp_le_u32_e64 s1, s21, v19
	v_cndmask_b32_e64 v18, v18, v22, s0
	v_subrev_nc_u32_e32 v22, s21, v19
	v_cndmask_b32_e64 v17, v17, v24, s0
	v_cndmask_b32_e64 v20, v20, v23, s1
	v_add_nc_u32_e32 v23, 1, v18
	v_cndmask_b32_e64 v19, v19, v22, s1
	v_cmp_le_u32_e64 s0, s21, v17
	v_add_nc_u32_e32 v22, 1, v20
	v_cndmask_b32_e64 v17, v18, v23, s0
	v_cmp_le_u32_e64 s0, s21, v19
	v_mul_lo_u32 v19, v17, s21
	v_cndmask_b32_e64 v18, v20, v22, s0
	v_mul_lo_u32 v17, v17, s11
	v_mul_lo_u32 v20, v18, s21
	v_mul_lo_u32 v18, v18, s11
	v_sub_nc_u32_e32 v15, v15, v19
	v_add3_u32 v10, v17, v21, v10
	v_mul_lo_u32 v15, v15, s12
	v_sub_nc_u32_e32 v16, v16, v20
	v_add3_u32 v12, v18, v14, v12
	v_mul_lo_u32 v16, v16, s12
	v_add3_u32 v10, v10, v15, s6
	v_lshlrev_b64 v[10:11], 3, v[10:11]
	v_add3_u32 v12, v12, v16, s6
	v_lshlrev_b64 v[12:13], 3, v[12:13]
	v_add_co_u32 v10, s0, s2, v10
	v_add_co_ci_u32_e64 v11, null, s3, v11, s0
	v_add_co_u32 v12, s0, s2, v12
	v_add_co_ci_u32_e64 v13, null, s3, v13, s0
	s_waitcnt vmcnt(0)
	global_store_dwordx2 v[10:11], v[6:7], off
	global_store_dwordx2 v[12:13], v[8:9], off
	s_andn2_b32 exec_lo, exec_lo, s23
	s_cbranch_execnz .LBB76_3
; %bb.4:
	s_or_b32 exec_lo, exec_lo, s23
.LBB76_5:
	s_or_b32 exec_lo, exec_lo, s17
	v_cmp_gt_u32_e32 vcc_lo, s7, v0
	s_and_b32 exec_lo, exec_lo, vcc_lo
	s_cbranch_execz .LBB76_8
; %bb.6:
	s_cmp_eq_u32 s15, 3
	s_cselect_b32 s10, s16, s10
	s_cmp_eq_u32 s15, 2
	v_cvt_f32_u32_e32 v1, s10
	s_cselect_b32 s9, s16, s9
	s_cmp_eq_u32 s15, 1
	v_cvt_f32_u32_e32 v2, s9
	s_cselect_b32 s8, s16, s8
	v_rcp_iflag_f32_e32 v1, v1
	v_cvt_f32_u32_e32 v3, s8
	s_sub_i32 s15, 0, s10
	v_rcp_iflag_f32_e32 v2, v2
	s_sub_i32 s0, 0, s9
	s_sub_i32 s1, 0, s8
	v_rcp_iflag_f32_e32 v3, v3
	v_mul_f32_e32 v1, 0x4f7ffffe, v1
	v_mul_f32_e32 v2, 0x4f7ffffe, v2
	v_cvt_u32_f32_e32 v4, v1
	v_mul_f32_e32 v3, 0x4f7ffffe, v3
	v_cvt_u32_f32_e32 v8, v2
	v_mov_b32_e32 v2, 0
	v_mul_lo_u32 v1, s15, v4
	v_cvt_u32_f32_e32 v3, v3
	v_mul_lo_u32 v5, s0, v8
	v_mul_lo_u32 v6, s1, v3
	v_mul_hi_u32 v7, v4, v1
	v_mov_b32_e32 v1, v2
	v_mul_hi_u32 v9, v8, v5
	v_mul_hi_u32 v10, v3, v6
	v_lshlrev_b64 v[5:6], 3, v[0:1]
	v_add_nc_u32_e32 v7, v4, v7
	v_add_nc_u32_e32 v8, v8, v9
	v_add_co_u32 v5, vcc_lo, s4, v5
	v_add_nc_u32_e32 v9, v3, v10
	v_mad_u64_u32 v[3:4], null, v0, v7, 0
	v_add_co_ci_u32_e64 v6, null, s5, v6, vcc_lo
	s_mov_b32 s4, 0
.LBB76_7:                               ; =>This Inner Loop Header: Depth=1
	global_load_dwordx2 v[10:11], v[5:6], off
	v_mul_lo_u32 v1, s10, v4
	v_not_b32_e32 v12, v4
	v_add_nc_u32_e32 v14, 1, v4
	v_add_co_u32 v3, vcc_lo, v3, v7
	v_mad_u64_u32 v[12:13], null, s10, v12, v[0:1]
	v_sub_nc_u32_e32 v1, v0, v1
	v_cmp_le_u32_e64 s0, s10, v1
	v_cndmask_b32_e64 v13, v4, v14, s0
	v_cndmask_b32_e64 v1, v1, v12, s0
	v_add_co_ci_u32_e64 v4, null, 0, v4, vcc_lo
	v_add_nc_u32_e32 v12, 1, v13
	v_cmp_le_u32_e64 s0, s10, v1
	v_cndmask_b32_e64 v1, v13, v12, s0
	v_mul_hi_u32 v12, v1, v8
	v_mul_lo_u32 v13, v12, s9
	v_add_nc_u32_e32 v14, 1, v12
	v_sub_nc_u32_e32 v13, v1, v13
	v_subrev_nc_u32_e32 v15, s9, v13
	v_cmp_le_u32_e64 s0, s9, v13
	v_cndmask_b32_e64 v12, v12, v14, s0
	v_cndmask_b32_e64 v13, v13, v15, s0
	v_add_nc_u32_e32 v14, 1, v12
	v_cmp_le_u32_e64 s0, s9, v13
	v_cndmask_b32_e64 v14, v12, v14, s0
	v_mad_u64_u32 v[12:13], null, s15, v1, v[0:1]
	v_add_nc_u32_e32 v0, 1, v0
	v_mul_hi_u32 v15, v14, v9
	v_mul_lo_u32 v16, v14, s9
	v_mul_lo_u32 v12, v12, s14
	;; [unrolled: 1-line block ×3, first 2 shown]
	v_add_nc_u32_e32 v17, 1, v15
	v_sub_nc_u32_e32 v1, v1, v16
	v_mul_lo_u32 v1, v1, s13
	v_sub_nc_u32_e32 v13, v14, v13
	v_subrev_nc_u32_e32 v18, s8, v13
	v_cmp_le_u32_e64 s0, s8, v13
	v_cndmask_b32_e64 v15, v15, v17, s0
	v_cndmask_b32_e64 v13, v13, v18, s0
	v_add_nc_u32_e32 v17, 1, v15
	v_cmp_le_u32_e64 s0, s8, v13
	v_cndmask_b32_e64 v13, v15, v17, s0
	v_add_co_u32 v5, s0, v5, 8
	v_add_co_ci_u32_e64 v6, null, 0, v6, s0
	v_mul_lo_u32 v15, v13, s8
	v_mul_lo_u32 v13, v13, s11
	v_cmp_le_u32_e64 s0, s7, v0
	s_or_b32 s4, s0, s4
	v_sub_nc_u32_e32 v14, v14, v15
	v_add3_u32 v1, v13, v12, v1
	v_mul_lo_u32 v14, v14, s12
	v_add3_u32 v1, v1, v14, s6
	v_lshlrev_b64 v[12:13], 3, v[1:2]
	v_add_co_u32 v12, s1, s2, v12
	v_add_co_ci_u32_e64 v13, null, s3, v13, s1
	s_waitcnt vmcnt(0)
	global_store_dwordx2 v[12:13], v[10:11], off
	s_andn2_b32 exec_lo, exec_lo, s4
	s_cbranch_execnz .LBB76_7
.LBB76_8:
	s_endpgm
	.section	.rodata,"a",@progbits
	.p2align	6, 0x0
	.amdhsa_kernel _ZN2at6native12_GLOBAL__N_135CatArrayBatchedCopy_alignedK_contigINS1_10OpaqueTypeILj8EEEjLi4ELi128ELi1ELi16EEEvPT_NS1_25CatArrInputTensorMetadataIS5_T0_XT2_EXT3_EEENS1_16TensorSizeStrideIS8_Lj4EEEiS8_
		.amdhsa_group_segment_fixed_size 0
		.amdhsa_private_segment_fixed_size 0
		.amdhsa_kernarg_size 3024
		.amdhsa_user_sgpr_count 6
		.amdhsa_user_sgpr_private_segment_buffer 1
		.amdhsa_user_sgpr_dispatch_ptr 0
		.amdhsa_user_sgpr_queue_ptr 0
		.amdhsa_user_sgpr_kernarg_segment_ptr 1
		.amdhsa_user_sgpr_dispatch_id 0
		.amdhsa_user_sgpr_flat_scratch_init 0
		.amdhsa_user_sgpr_private_segment_size 0
		.amdhsa_wavefront_size32 1
		.amdhsa_uses_dynamic_stack 0
		.amdhsa_system_sgpr_private_segment_wavefront_offset 0
		.amdhsa_system_sgpr_workgroup_id_x 1
		.amdhsa_system_sgpr_workgroup_id_y 1
		.amdhsa_system_sgpr_workgroup_id_z 0
		.amdhsa_system_sgpr_workgroup_info 0
		.amdhsa_system_vgpr_workitem_id 0
		.amdhsa_next_free_vgpr 25
		.amdhsa_next_free_sgpr 24
		.amdhsa_reserve_vcc 1
		.amdhsa_reserve_flat_scratch 0
		.amdhsa_float_round_mode_32 0
		.amdhsa_float_round_mode_16_64 0
		.amdhsa_float_denorm_mode_32 3
		.amdhsa_float_denorm_mode_16_64 3
		.amdhsa_dx10_clamp 1
		.amdhsa_ieee_mode 1
		.amdhsa_fp16_overflow 0
		.amdhsa_workgroup_processor_mode 1
		.amdhsa_memory_ordered 1
		.amdhsa_forward_progress 1
		.amdhsa_shared_vgpr_count 0
		.amdhsa_exception_fp_ieee_invalid_op 0
		.amdhsa_exception_fp_denorm_src 0
		.amdhsa_exception_fp_ieee_div_zero 0
		.amdhsa_exception_fp_ieee_overflow 0
		.amdhsa_exception_fp_ieee_underflow 0
		.amdhsa_exception_fp_ieee_inexact 0
		.amdhsa_exception_int_div_zero 0
	.end_amdhsa_kernel
	.section	.text._ZN2at6native12_GLOBAL__N_135CatArrayBatchedCopy_alignedK_contigINS1_10OpaqueTypeILj8EEEjLi4ELi128ELi1ELi16EEEvPT_NS1_25CatArrInputTensorMetadataIS5_T0_XT2_EXT3_EEENS1_16TensorSizeStrideIS8_Lj4EEEiS8_,"axG",@progbits,_ZN2at6native12_GLOBAL__N_135CatArrayBatchedCopy_alignedK_contigINS1_10OpaqueTypeILj8EEEjLi4ELi128ELi1ELi16EEEvPT_NS1_25CatArrInputTensorMetadataIS5_T0_XT2_EXT3_EEENS1_16TensorSizeStrideIS8_Lj4EEEiS8_,comdat
.Lfunc_end76:
	.size	_ZN2at6native12_GLOBAL__N_135CatArrayBatchedCopy_alignedK_contigINS1_10OpaqueTypeILj8EEEjLi4ELi128ELi1ELi16EEEvPT_NS1_25CatArrInputTensorMetadataIS5_T0_XT2_EXT3_EEENS1_16TensorSizeStrideIS8_Lj4EEEiS8_, .Lfunc_end76-_ZN2at6native12_GLOBAL__N_135CatArrayBatchedCopy_alignedK_contigINS1_10OpaqueTypeILj8EEEjLi4ELi128ELi1ELi16EEEvPT_NS1_25CatArrInputTensorMetadataIS5_T0_XT2_EXT3_EEENS1_16TensorSizeStrideIS8_Lj4EEEiS8_
                                        ; -- End function
	.set _ZN2at6native12_GLOBAL__N_135CatArrayBatchedCopy_alignedK_contigINS1_10OpaqueTypeILj8EEEjLi4ELi128ELi1ELi16EEEvPT_NS1_25CatArrInputTensorMetadataIS5_T0_XT2_EXT3_EEENS1_16TensorSizeStrideIS8_Lj4EEEiS8_.num_vgpr, 25
	.set _ZN2at6native12_GLOBAL__N_135CatArrayBatchedCopy_alignedK_contigINS1_10OpaqueTypeILj8EEEjLi4ELi128ELi1ELi16EEEvPT_NS1_25CatArrInputTensorMetadataIS5_T0_XT2_EXT3_EEENS1_16TensorSizeStrideIS8_Lj4EEEiS8_.num_agpr, 0
	.set _ZN2at6native12_GLOBAL__N_135CatArrayBatchedCopy_alignedK_contigINS1_10OpaqueTypeILj8EEEjLi4ELi128ELi1ELi16EEEvPT_NS1_25CatArrInputTensorMetadataIS5_T0_XT2_EXT3_EEENS1_16TensorSizeStrideIS8_Lj4EEEiS8_.numbered_sgpr, 24
	.set _ZN2at6native12_GLOBAL__N_135CatArrayBatchedCopy_alignedK_contigINS1_10OpaqueTypeILj8EEEjLi4ELi128ELi1ELi16EEEvPT_NS1_25CatArrInputTensorMetadataIS5_T0_XT2_EXT3_EEENS1_16TensorSizeStrideIS8_Lj4EEEiS8_.num_named_barrier, 0
	.set _ZN2at6native12_GLOBAL__N_135CatArrayBatchedCopy_alignedK_contigINS1_10OpaqueTypeILj8EEEjLi4ELi128ELi1ELi16EEEvPT_NS1_25CatArrInputTensorMetadataIS5_T0_XT2_EXT3_EEENS1_16TensorSizeStrideIS8_Lj4EEEiS8_.private_seg_size, 0
	.set _ZN2at6native12_GLOBAL__N_135CatArrayBatchedCopy_alignedK_contigINS1_10OpaqueTypeILj8EEEjLi4ELi128ELi1ELi16EEEvPT_NS1_25CatArrInputTensorMetadataIS5_T0_XT2_EXT3_EEENS1_16TensorSizeStrideIS8_Lj4EEEiS8_.uses_vcc, 1
	.set _ZN2at6native12_GLOBAL__N_135CatArrayBatchedCopy_alignedK_contigINS1_10OpaqueTypeILj8EEEjLi4ELi128ELi1ELi16EEEvPT_NS1_25CatArrInputTensorMetadataIS5_T0_XT2_EXT3_EEENS1_16TensorSizeStrideIS8_Lj4EEEiS8_.uses_flat_scratch, 0
	.set _ZN2at6native12_GLOBAL__N_135CatArrayBatchedCopy_alignedK_contigINS1_10OpaqueTypeILj8EEEjLi4ELi128ELi1ELi16EEEvPT_NS1_25CatArrInputTensorMetadataIS5_T0_XT2_EXT3_EEENS1_16TensorSizeStrideIS8_Lj4EEEiS8_.has_dyn_sized_stack, 0
	.set _ZN2at6native12_GLOBAL__N_135CatArrayBatchedCopy_alignedK_contigINS1_10OpaqueTypeILj8EEEjLi4ELi128ELi1ELi16EEEvPT_NS1_25CatArrInputTensorMetadataIS5_T0_XT2_EXT3_EEENS1_16TensorSizeStrideIS8_Lj4EEEiS8_.has_recursion, 0
	.set _ZN2at6native12_GLOBAL__N_135CatArrayBatchedCopy_alignedK_contigINS1_10OpaqueTypeILj8EEEjLi4ELi128ELi1ELi16EEEvPT_NS1_25CatArrInputTensorMetadataIS5_T0_XT2_EXT3_EEENS1_16TensorSizeStrideIS8_Lj4EEEiS8_.has_indirect_call, 0
	.section	.AMDGPU.csdata,"",@progbits
; Kernel info:
; codeLenInByte = 1732
; TotalNumSgprs: 26
; NumVgprs: 25
; ScratchSize: 0
; MemoryBound: 0
; FloatMode: 240
; IeeeMode: 1
; LDSByteSize: 0 bytes/workgroup (compile time only)
; SGPRBlocks: 0
; VGPRBlocks: 3
; NumSGPRsForWavesPerEU: 26
; NumVGPRsForWavesPerEU: 25
; Occupancy: 16
; WaveLimiterHint : 1
; COMPUTE_PGM_RSRC2:SCRATCH_EN: 0
; COMPUTE_PGM_RSRC2:USER_SGPR: 6
; COMPUTE_PGM_RSRC2:TRAP_HANDLER: 0
; COMPUTE_PGM_RSRC2:TGID_X_EN: 1
; COMPUTE_PGM_RSRC2:TGID_Y_EN: 1
; COMPUTE_PGM_RSRC2:TGID_Z_EN: 0
; COMPUTE_PGM_RSRC2:TIDIG_COMP_CNT: 0
	.section	.text._ZN2at6native12_GLOBAL__N_135CatArrayBatchedCopy_alignedK_contigINS1_10OpaqueTypeILj8EEEjLi4ELi128ELi1ELi8EEEvPT_NS1_25CatArrInputTensorMetadataIS5_T0_XT2_EXT3_EEENS1_16TensorSizeStrideIS8_Lj4EEEiS8_,"axG",@progbits,_ZN2at6native12_GLOBAL__N_135CatArrayBatchedCopy_alignedK_contigINS1_10OpaqueTypeILj8EEEjLi4ELi128ELi1ELi8EEEvPT_NS1_25CatArrInputTensorMetadataIS5_T0_XT2_EXT3_EEENS1_16TensorSizeStrideIS8_Lj4EEEiS8_,comdat
	.globl	_ZN2at6native12_GLOBAL__N_135CatArrayBatchedCopy_alignedK_contigINS1_10OpaqueTypeILj8EEEjLi4ELi128ELi1ELi8EEEvPT_NS1_25CatArrInputTensorMetadataIS5_T0_XT2_EXT3_EEENS1_16TensorSizeStrideIS8_Lj4EEEiS8_ ; -- Begin function _ZN2at6native12_GLOBAL__N_135CatArrayBatchedCopy_alignedK_contigINS1_10OpaqueTypeILj8EEEjLi4ELi128ELi1ELi8EEEvPT_NS1_25CatArrInputTensorMetadataIS5_T0_XT2_EXT3_EEENS1_16TensorSizeStrideIS8_Lj4EEEiS8_
	.p2align	8
	.type	_ZN2at6native12_GLOBAL__N_135CatArrayBatchedCopy_alignedK_contigINS1_10OpaqueTypeILj8EEEjLi4ELi128ELi1ELi8EEEvPT_NS1_25CatArrInputTensorMetadataIS5_T0_XT2_EXT3_EEENS1_16TensorSizeStrideIS8_Lj4EEEiS8_,@function
_ZN2at6native12_GLOBAL__N_135CatArrayBatchedCopy_alignedK_contigINS1_10OpaqueTypeILj8EEEjLi4ELi128ELi1ELi8EEEvPT_NS1_25CatArrInputTensorMetadataIS5_T0_XT2_EXT3_EEENS1_16TensorSizeStrideIS8_Lj4EEEiS8_: ; @_ZN2at6native12_GLOBAL__N_135CatArrayBatchedCopy_alignedK_contigINS1_10OpaqueTypeILj8EEEjLi4ELi128ELi1ELi8EEEvPT_NS1_25CatArrInputTensorMetadataIS5_T0_XT2_EXT3_EEENS1_16TensorSizeStrideIS8_Lj4EEEiS8_
; %bb.0:
	s_mov_b32 s0, s7
	s_load_dword s7, s[4:5], 0xadc
	s_mov_b32 s1, 0
	s_add_u32 s2, s4, 0xad0
	s_addc_u32 s3, s5, 0
	s_lshl_b64 s[16:17], s[0:1], 2
	s_waitcnt lgkmcnt(0)
	s_and_b32 s0, s7, 0xffff
	s_add_u32 s8, s4, s16
	s_addc_u32 s9, s5, s17
	v_mad_u64_u32 v[0:1], null, s6, s0, v[0:1]
	s_load_dword s18, s[8:9], 0x808
	s_add_u32 s6, s8, 8
	s_addc_u32 s7, s9, 0
	s_mov_b32 s8, exec_lo
	s_waitcnt lgkmcnt(0)
	v_cmpx_gt_u32_e64 s18, v0
	s_cbranch_execz .LBB77_6
; %bb.1:
	s_add_u32 s6, s6, s16
	s_addc_u32 s7, s7, s17
	s_sub_u32 s16, 0, s16
	s_subb_u32 s17, 0, s17
	s_add_u32 s16, s6, s16
	s_load_dwordx8 s[8:15], s[4:5], 0xaac
	s_addc_u32 s17, s7, s17
	s_load_dword s19, s[16:17], 0x600
	s_waitcnt lgkmcnt(0)
	s_cmp_eq_u32 s15, 3
	s_cselect_b32 s10, s19, s10
	s_cmp_eq_u32 s15, 2
	v_cvt_f32_u32_e32 v1, s10
	s_cselect_b32 s9, s19, s9
	s_cmp_eq_u32 s15, 1
	v_cvt_f32_u32_e32 v2, s9
	s_cselect_b32 s8, s19, s8
	v_rcp_iflag_f32_e32 v1, v1
	v_cvt_f32_u32_e32 v3, s8
	s_load_dword s19, s[2:3], 0x0
	v_rcp_iflag_f32_e32 v2, v2
	s_sub_i32 s15, 0, s10
	s_sub_i32 s2, 0, s9
	v_rcp_iflag_f32_e32 v3, v3
	s_sub_i32 s3, 0, s8
	v_mul_f32_e32 v1, 0x4f7ffffe, v1
	v_mul_f32_e32 v2, 0x4f7ffffe, v2
	v_cvt_u32_f32_e32 v1, v1
	v_mul_f32_e32 v3, 0x4f7ffffe, v3
	v_cvt_u32_f32_e32 v4, v2
	v_mul_lo_u32 v2, s15, v1
	v_cvt_u32_f32_e32 v3, v3
	v_mul_lo_u32 v5, s2, v4
	v_mul_lo_u32 v6, s3, v3
	s_clause 0x3
	s_load_dword s16, s[16:17], 0x400
	s_load_dword s17, s[4:5], 0xacc
	s_load_dwordx2 s[6:7], s[6:7], 0x0
	s_load_dwordx2 s[2:3], s[4:5], 0x0
	v_mul_hi_u32 v7, v1, v2
	v_mov_b32_e32 v2, 0
	s_waitcnt lgkmcnt(0)
	s_mul_i32 s5, s19, s0
	v_mul_hi_u32 v5, v4, v5
	v_mul_hi_u32 v6, v3, v6
	v_add_nc_u32_e32 v7, v1, v7
	v_add_nc_u32_e32 v8, v4, v5
	;; [unrolled: 1-line block ×4, first 2 shown]
	s_mul_i32 s4, s16, s17
.LBB77_2:                               ; =>This Inner Loop Header: Depth=1
	v_add_nc_u32_e32 v1, -1, v3
	v_mul_hi_u32 v6, v7, v0
	v_add_nc_u32_e32 v3, s5, v3
	v_lshlrev_b64 v[4:5], 3, v[1:2]
	v_mul_hi_u32 v12, v1, v7
	v_mul_lo_u32 v13, s10, v6
	v_not_b32_e32 v6, v6
	v_add_co_u32 v4, vcc_lo, s6, v4
	v_add_co_ci_u32_e64 v5, null, s7, v5, vcc_lo
	v_mad_u64_u32 v[10:11], null, s10, v6, v[0:1]
	v_sub_nc_u32_e32 v11, v0, v13
	global_load_dwordx2 v[4:5], v[4:5], off
	v_add_nc_u32_e32 v6, 1, v12
	v_add_nc_u32_e32 v0, s5, v0
	v_cmp_le_u32_e32 vcc_lo, s10, v11
	v_cndmask_b32_e32 v6, v12, v6, vcc_lo
	v_cndmask_b32_e32 v10, v11, v10, vcc_lo
	v_add_nc_u32_e32 v11, 1, v6
	v_cmp_le_u32_e32 vcc_lo, s10, v10
	v_cndmask_b32_e32 v6, v6, v11, vcc_lo
	v_mul_hi_u32 v10, v6, v8
	v_mul_lo_u32 v11, v10, s9
	v_add_nc_u32_e32 v12, 1, v10
	v_sub_nc_u32_e32 v11, v6, v11
	v_subrev_nc_u32_e32 v13, s9, v11
	v_cmp_le_u32_e32 vcc_lo, s9, v11
	v_cndmask_b32_e32 v10, v10, v12, vcc_lo
	v_cndmask_b32_e32 v11, v11, v13, vcc_lo
	v_add_nc_u32_e32 v12, 1, v10
	v_cmp_le_u32_e32 vcc_lo, s9, v11
	v_cndmask_b32_e32 v12, v10, v12, vcc_lo
	v_mul_hi_u32 v10, v12, v9
	v_mul_lo_u32 v13, v12, s9
	v_mul_lo_u32 v11, v10, s8
	v_add_nc_u32_e32 v14, 1, v10
	v_sub_nc_u32_e32 v11, v12, v11
	v_subrev_nc_u32_e32 v15, s8, v11
	v_cmp_le_u32_e32 vcc_lo, s8, v11
	v_cndmask_b32_e32 v10, v10, v14, vcc_lo
	v_cndmask_b32_e32 v11, v11, v15, vcc_lo
	v_add_nc_u32_e32 v14, 1, v10
	v_cmp_le_u32_e32 vcc_lo, s8, v11
	v_cndmask_b32_e32 v14, v10, v14, vcc_lo
	v_mad_u64_u32 v[10:11], null, s15, v6, v[1:2]
	v_sub_nc_u32_e32 v6, v6, v13
	v_cmp_lt_u32_e32 vcc_lo, s18, v3
	v_mul_lo_u32 v11, v14, s11
	v_mul_lo_u32 v6, v6, s13
	;; [unrolled: 1-line block ×4, first 2 shown]
	s_or_b32 s1, vcc_lo, s1
	v_add3_u32 v1, v11, v1, v6
	v_sub_nc_u32_e32 v10, v12, v10
	v_mul_lo_u32 v10, v10, s12
	v_add3_u32 v1, v1, v10, s4
	v_lshlrev_b64 v[10:11], 3, v[1:2]
	v_add_co_u32 v10, s0, s2, v10
	v_add_co_ci_u32_e64 v11, null, s3, v11, s0
	s_waitcnt vmcnt(0)
	global_store_dwordx2 v[10:11], v[4:5], off
	s_andn2_b32 exec_lo, exec_lo, s1
	s_cbranch_execnz .LBB77_2
; %bb.3:
	s_or_b32 exec_lo, exec_lo, s1
	v_add_nc_u32_e32 v0, -1, v3
	v_cmp_gt_u32_e32 vcc_lo, s18, v0
	s_and_b32 exec_lo, exec_lo, vcc_lo
	s_cbranch_execz .LBB77_6
; %bb.4:
	v_mov_b32_e32 v2, 0
	v_mad_u64_u32 v[3:4], null, v7, v0, 0
	s_mov_b32 s5, 0
	v_mov_b32_e32 v1, v2
	v_lshlrev_b64 v[5:6], 3, v[0:1]
	v_add_co_u32 v5, vcc_lo, s6, v5
	v_add_co_ci_u32_e64 v6, null, s7, v6, vcc_lo
.LBB77_5:                               ; =>This Inner Loop Header: Depth=1
	global_load_dwordx2 v[10:11], v[5:6], off
	v_mul_lo_u32 v1, s10, v4
	v_not_b32_e32 v12, v4
	v_add_nc_u32_e32 v14, 1, v4
	v_mad_u64_u32 v[12:13], null, s10, v12, v[0:1]
	v_sub_nc_u32_e32 v1, v0, v1
	v_cmp_le_u32_e32 vcc_lo, s10, v1
	v_cndmask_b32_e32 v13, v4, v14, vcc_lo
	v_cndmask_b32_e32 v1, v1, v12, vcc_lo
	v_add_nc_u32_e32 v12, 1, v13
	v_cmp_le_u32_e32 vcc_lo, s10, v1
	v_cndmask_b32_e32 v1, v13, v12, vcc_lo
	v_mul_hi_u32 v12, v1, v8
	v_mul_lo_u32 v13, v12, s9
	v_add_nc_u32_e32 v14, 1, v12
	v_sub_nc_u32_e32 v13, v1, v13
	v_subrev_nc_u32_e32 v15, s9, v13
	v_cmp_le_u32_e32 vcc_lo, s9, v13
	v_cndmask_b32_e32 v12, v12, v14, vcc_lo
	v_cndmask_b32_e32 v13, v13, v15, vcc_lo
	v_add_nc_u32_e32 v14, 1, v12
	v_cmp_le_u32_e32 vcc_lo, s9, v13
	v_cndmask_b32_e32 v14, v12, v14, vcc_lo
	v_mad_u64_u32 v[12:13], null, s15, v1, v[0:1]
	v_add_nc_u32_e32 v0, 1, v0
	v_add_co_u32 v3, vcc_lo, v3, v7
	v_mul_hi_u32 v15, v14, v9
	v_add_co_ci_u32_e64 v4, null, 0, v4, vcc_lo
	v_mul_lo_u32 v12, v12, s14
	v_mul_lo_u32 v16, v15, s8
	v_add_nc_u32_e32 v13, 1, v15
	v_sub_nc_u32_e32 v16, v14, v16
	v_subrev_nc_u32_e32 v17, s8, v16
	v_cmp_le_u32_e64 s0, s8, v16
	v_cndmask_b32_e64 v13, v15, v13, s0
	v_cndmask_b32_e64 v15, v16, v17, s0
	v_add_nc_u32_e32 v16, 1, v13
	v_cmp_le_u32_e64 s0, s8, v15
	v_mul_lo_u32 v15, v14, s9
	v_cndmask_b32_e64 v13, v13, v16, s0
	v_add_co_u32 v5, s0, v5, 8
	v_add_co_ci_u32_e64 v6, null, 0, v6, s0
	v_mul_lo_u32 v16, v13, s8
	v_sub_nc_u32_e32 v1, v1, v15
	v_mul_lo_u32 v13, v13, s11
	v_cmp_le_u32_e64 s0, s18, v0
	v_mul_lo_u32 v1, v1, s13
	v_sub_nc_u32_e32 v14, v14, v16
	s_or_b32 s5, s0, s5
	v_add3_u32 v12, v12, s4, v13
	v_mul_lo_u32 v14, v14, s12
	v_add3_u32 v1, v12, v1, v14
	v_lshlrev_b64 v[12:13], 3, v[1:2]
	v_add_co_u32 v12, s1, s2, v12
	v_add_co_ci_u32_e64 v13, null, s3, v13, s1
	s_waitcnt vmcnt(0)
	global_store_dwordx2 v[12:13], v[10:11], off
	s_andn2_b32 exec_lo, exec_lo, s5
	s_cbranch_execnz .LBB77_5
.LBB77_6:
	s_endpgm
	.section	.rodata,"a",@progbits
	.p2align	6, 0x0
	.amdhsa_kernel _ZN2at6native12_GLOBAL__N_135CatArrayBatchedCopy_alignedK_contigINS1_10OpaqueTypeILj8EEEjLi4ELi128ELi1ELi8EEEvPT_NS1_25CatArrInputTensorMetadataIS5_T0_XT2_EXT3_EEENS1_16TensorSizeStrideIS8_Lj4EEEiS8_
		.amdhsa_group_segment_fixed_size 0
		.amdhsa_private_segment_fixed_size 0
		.amdhsa_kernarg_size 3024
		.amdhsa_user_sgpr_count 6
		.amdhsa_user_sgpr_private_segment_buffer 1
		.amdhsa_user_sgpr_dispatch_ptr 0
		.amdhsa_user_sgpr_queue_ptr 0
		.amdhsa_user_sgpr_kernarg_segment_ptr 1
		.amdhsa_user_sgpr_dispatch_id 0
		.amdhsa_user_sgpr_flat_scratch_init 0
		.amdhsa_user_sgpr_private_segment_size 0
		.amdhsa_wavefront_size32 1
		.amdhsa_uses_dynamic_stack 0
		.amdhsa_system_sgpr_private_segment_wavefront_offset 0
		.amdhsa_system_sgpr_workgroup_id_x 1
		.amdhsa_system_sgpr_workgroup_id_y 1
		.amdhsa_system_sgpr_workgroup_id_z 0
		.amdhsa_system_sgpr_workgroup_info 0
		.amdhsa_system_vgpr_workitem_id 0
		.amdhsa_next_free_vgpr 18
		.amdhsa_next_free_sgpr 20
		.amdhsa_reserve_vcc 1
		.amdhsa_reserve_flat_scratch 0
		.amdhsa_float_round_mode_32 0
		.amdhsa_float_round_mode_16_64 0
		.amdhsa_float_denorm_mode_32 3
		.amdhsa_float_denorm_mode_16_64 3
		.amdhsa_dx10_clamp 1
		.amdhsa_ieee_mode 1
		.amdhsa_fp16_overflow 0
		.amdhsa_workgroup_processor_mode 1
		.amdhsa_memory_ordered 1
		.amdhsa_forward_progress 1
		.amdhsa_shared_vgpr_count 0
		.amdhsa_exception_fp_ieee_invalid_op 0
		.amdhsa_exception_fp_denorm_src 0
		.amdhsa_exception_fp_ieee_div_zero 0
		.amdhsa_exception_fp_ieee_overflow 0
		.amdhsa_exception_fp_ieee_underflow 0
		.amdhsa_exception_fp_ieee_inexact 0
		.amdhsa_exception_int_div_zero 0
	.end_amdhsa_kernel
	.section	.text._ZN2at6native12_GLOBAL__N_135CatArrayBatchedCopy_alignedK_contigINS1_10OpaqueTypeILj8EEEjLi4ELi128ELi1ELi8EEEvPT_NS1_25CatArrInputTensorMetadataIS5_T0_XT2_EXT3_EEENS1_16TensorSizeStrideIS8_Lj4EEEiS8_,"axG",@progbits,_ZN2at6native12_GLOBAL__N_135CatArrayBatchedCopy_alignedK_contigINS1_10OpaqueTypeILj8EEEjLi4ELi128ELi1ELi8EEEvPT_NS1_25CatArrInputTensorMetadataIS5_T0_XT2_EXT3_EEENS1_16TensorSizeStrideIS8_Lj4EEEiS8_,comdat
.Lfunc_end77:
	.size	_ZN2at6native12_GLOBAL__N_135CatArrayBatchedCopy_alignedK_contigINS1_10OpaqueTypeILj8EEEjLi4ELi128ELi1ELi8EEEvPT_NS1_25CatArrInputTensorMetadataIS5_T0_XT2_EXT3_EEENS1_16TensorSizeStrideIS8_Lj4EEEiS8_, .Lfunc_end77-_ZN2at6native12_GLOBAL__N_135CatArrayBatchedCopy_alignedK_contigINS1_10OpaqueTypeILj8EEEjLi4ELi128ELi1ELi8EEEvPT_NS1_25CatArrInputTensorMetadataIS5_T0_XT2_EXT3_EEENS1_16TensorSizeStrideIS8_Lj4EEEiS8_
                                        ; -- End function
	.set _ZN2at6native12_GLOBAL__N_135CatArrayBatchedCopy_alignedK_contigINS1_10OpaqueTypeILj8EEEjLi4ELi128ELi1ELi8EEEvPT_NS1_25CatArrInputTensorMetadataIS5_T0_XT2_EXT3_EEENS1_16TensorSizeStrideIS8_Lj4EEEiS8_.num_vgpr, 18
	.set _ZN2at6native12_GLOBAL__N_135CatArrayBatchedCopy_alignedK_contigINS1_10OpaqueTypeILj8EEEjLi4ELi128ELi1ELi8EEEvPT_NS1_25CatArrInputTensorMetadataIS5_T0_XT2_EXT3_EEENS1_16TensorSizeStrideIS8_Lj4EEEiS8_.num_agpr, 0
	.set _ZN2at6native12_GLOBAL__N_135CatArrayBatchedCopy_alignedK_contigINS1_10OpaqueTypeILj8EEEjLi4ELi128ELi1ELi8EEEvPT_NS1_25CatArrInputTensorMetadataIS5_T0_XT2_EXT3_EEENS1_16TensorSizeStrideIS8_Lj4EEEiS8_.numbered_sgpr, 20
	.set _ZN2at6native12_GLOBAL__N_135CatArrayBatchedCopy_alignedK_contigINS1_10OpaqueTypeILj8EEEjLi4ELi128ELi1ELi8EEEvPT_NS1_25CatArrInputTensorMetadataIS5_T0_XT2_EXT3_EEENS1_16TensorSizeStrideIS8_Lj4EEEiS8_.num_named_barrier, 0
	.set _ZN2at6native12_GLOBAL__N_135CatArrayBatchedCopy_alignedK_contigINS1_10OpaqueTypeILj8EEEjLi4ELi128ELi1ELi8EEEvPT_NS1_25CatArrInputTensorMetadataIS5_T0_XT2_EXT3_EEENS1_16TensorSizeStrideIS8_Lj4EEEiS8_.private_seg_size, 0
	.set _ZN2at6native12_GLOBAL__N_135CatArrayBatchedCopy_alignedK_contigINS1_10OpaqueTypeILj8EEEjLi4ELi128ELi1ELi8EEEvPT_NS1_25CatArrInputTensorMetadataIS5_T0_XT2_EXT3_EEENS1_16TensorSizeStrideIS8_Lj4EEEiS8_.uses_vcc, 1
	.set _ZN2at6native12_GLOBAL__N_135CatArrayBatchedCopy_alignedK_contigINS1_10OpaqueTypeILj8EEEjLi4ELi128ELi1ELi8EEEvPT_NS1_25CatArrInputTensorMetadataIS5_T0_XT2_EXT3_EEENS1_16TensorSizeStrideIS8_Lj4EEEiS8_.uses_flat_scratch, 0
	.set _ZN2at6native12_GLOBAL__N_135CatArrayBatchedCopy_alignedK_contigINS1_10OpaqueTypeILj8EEEjLi4ELi128ELi1ELi8EEEvPT_NS1_25CatArrInputTensorMetadataIS5_T0_XT2_EXT3_EEENS1_16TensorSizeStrideIS8_Lj4EEEiS8_.has_dyn_sized_stack, 0
	.set _ZN2at6native12_GLOBAL__N_135CatArrayBatchedCopy_alignedK_contigINS1_10OpaqueTypeILj8EEEjLi4ELi128ELi1ELi8EEEvPT_NS1_25CatArrInputTensorMetadataIS5_T0_XT2_EXT3_EEENS1_16TensorSizeStrideIS8_Lj4EEEiS8_.has_recursion, 0
	.set _ZN2at6native12_GLOBAL__N_135CatArrayBatchedCopy_alignedK_contigINS1_10OpaqueTypeILj8EEEjLi4ELi128ELi1ELi8EEEvPT_NS1_25CatArrInputTensorMetadataIS5_T0_XT2_EXT3_EEENS1_16TensorSizeStrideIS8_Lj4EEEiS8_.has_indirect_call, 0
	.section	.AMDGPU.csdata,"",@progbits
; Kernel info:
; codeLenInByte = 1132
; TotalNumSgprs: 22
; NumVgprs: 18
; ScratchSize: 0
; MemoryBound: 0
; FloatMode: 240
; IeeeMode: 1
; LDSByteSize: 0 bytes/workgroup (compile time only)
; SGPRBlocks: 0
; VGPRBlocks: 2
; NumSGPRsForWavesPerEU: 22
; NumVGPRsForWavesPerEU: 18
; Occupancy: 16
; WaveLimiterHint : 1
; COMPUTE_PGM_RSRC2:SCRATCH_EN: 0
; COMPUTE_PGM_RSRC2:USER_SGPR: 6
; COMPUTE_PGM_RSRC2:TRAP_HANDLER: 0
; COMPUTE_PGM_RSRC2:TGID_X_EN: 1
; COMPUTE_PGM_RSRC2:TGID_Y_EN: 1
; COMPUTE_PGM_RSRC2:TGID_Z_EN: 0
; COMPUTE_PGM_RSRC2:TIDIG_COMP_CNT: 0
	.section	.text._ZN2at6native12_GLOBAL__N_126CatArrayBatchedCopy_contigINS1_10OpaqueTypeILj8EEEjLi4ELi128ELi1EEEvPT_NS1_25CatArrInputTensorMetadataIS5_T0_XT2_EXT3_EEENS1_16TensorSizeStrideIS8_Lj4EEEiS8_,"axG",@progbits,_ZN2at6native12_GLOBAL__N_126CatArrayBatchedCopy_contigINS1_10OpaqueTypeILj8EEEjLi4ELi128ELi1EEEvPT_NS1_25CatArrInputTensorMetadataIS5_T0_XT2_EXT3_EEENS1_16TensorSizeStrideIS8_Lj4EEEiS8_,comdat
	.globl	_ZN2at6native12_GLOBAL__N_126CatArrayBatchedCopy_contigINS1_10OpaqueTypeILj8EEEjLi4ELi128ELi1EEEvPT_NS1_25CatArrInputTensorMetadataIS5_T0_XT2_EXT3_EEENS1_16TensorSizeStrideIS8_Lj4EEEiS8_ ; -- Begin function _ZN2at6native12_GLOBAL__N_126CatArrayBatchedCopy_contigINS1_10OpaqueTypeILj8EEEjLi4ELi128ELi1EEEvPT_NS1_25CatArrInputTensorMetadataIS5_T0_XT2_EXT3_EEENS1_16TensorSizeStrideIS8_Lj4EEEiS8_
	.p2align	8
	.type	_ZN2at6native12_GLOBAL__N_126CatArrayBatchedCopy_contigINS1_10OpaqueTypeILj8EEEjLi4ELi128ELi1EEEvPT_NS1_25CatArrInputTensorMetadataIS5_T0_XT2_EXT3_EEENS1_16TensorSizeStrideIS8_Lj4EEEiS8_,@function
_ZN2at6native12_GLOBAL__N_126CatArrayBatchedCopy_contigINS1_10OpaqueTypeILj8EEEjLi4ELi128ELi1EEEvPT_NS1_25CatArrInputTensorMetadataIS5_T0_XT2_EXT3_EEENS1_16TensorSizeStrideIS8_Lj4EEEiS8_: ; @_ZN2at6native12_GLOBAL__N_126CatArrayBatchedCopy_contigINS1_10OpaqueTypeILj8EEEjLi4ELi128ELi1EEEvPT_NS1_25CatArrInputTensorMetadataIS5_T0_XT2_EXT3_EEENS1_16TensorSizeStrideIS8_Lj4EEEiS8_
; %bb.0:
	s_mov_b32 s0, s7
	s_load_dword s7, s[4:5], 0xadc
	s_mov_b32 s1, 0
	s_add_u32 s8, s4, 0xad0
	s_addc_u32 s9, s5, 0
	s_lshl_b64 s[2:3], s[0:1], 2
	s_mov_b32 s11, exec_lo
	s_waitcnt lgkmcnt(0)
	s_and_b32 s0, s7, 0xffff
	s_add_u32 s12, s4, s2
	s_addc_u32 s13, s5, s3
	v_mad_u64_u32 v[0:1], null, s6, s0, v[0:1]
	s_load_dword s10, s[12:13], 0x808
	s_add_u32 s6, s12, 8
	s_addc_u32 s7, s13, 0
	s_waitcnt lgkmcnt(0)
	v_cmpx_gt_u32_e64 s10, v0
	s_cbranch_execz .LBB78_3
; %bb.1:
	s_add_u32 s20, s6, s2
	s_addc_u32 s21, s7, s3
	s_sub_u32 s2, 0, s2
	s_subb_u32 s3, 0, s3
	s_load_dwordx2 s[14:15], s[4:5], 0xac8
	s_add_u32 s22, s20, s2
	s_addc_u32 s23, s21, s3
	s_clause 0x1
	s_load_dwordx4 s[16:19], s[4:5], 0xaac
	s_load_dword s2, s[22:23], 0x600
	s_waitcnt lgkmcnt(0)
	s_cmp_eq_u32 s14, 3
	s_cselect_b32 s11, s2, s18
	s_cmp_eq_u32 s14, 2
	v_cvt_f32_u32_e32 v1, s11
	s_cselect_b32 s12, s2, s17
	s_cmp_eq_u32 s14, 1
	v_cvt_f32_u32_e32 v2, s12
	s_cselect_b32 s13, s2, s16
	v_rcp_iflag_f32_e32 v1, v1
	v_cvt_f32_u32_e32 v3, s13
	s_load_dwordx2 s[2:3], s[4:5], 0x0
	v_rcp_iflag_f32_e32 v2, v2
	s_clause 0x1
	s_load_dwordx4 s[4:7], s[4:5], 0xab8
	s_load_dword s16, s[22:23], 0x400
	s_load_dword s17, s[8:9], 0x0
	v_rcp_iflag_f32_e32 v3, v3
	s_sub_i32 s14, 0, s11
	s_sub_i32 s8, 0, s12
	;; [unrolled: 1-line block ×3, first 2 shown]
	v_mul_f32_e32 v1, 0x4f7ffffe, v1
	v_mul_f32_e32 v2, 0x4f7ffffe, v2
	v_cvt_u32_f32_e32 v1, v1
	v_mul_f32_e32 v3, 0x4f7ffffe, v3
	v_cvt_u32_f32_e32 v4, v2
	v_mul_lo_u32 v2, s14, v1
	v_cvt_u32_f32_e32 v5, v3
	v_mul_lo_u32 v3, s8, v4
	s_waitcnt lgkmcnt(0)
	s_mul_i32 s15, s16, s15
	s_mul_i32 s16, s17, s0
	v_mul_lo_u32 v6, s9, v5
	s_load_dwordx2 s[8:9], s[20:21], 0x0
	v_mul_hi_u32 v2, v1, v2
	v_mul_hi_u32 v3, v4, v3
	;; [unrolled: 1-line block ×3, first 2 shown]
	v_add_nc_u32_e32 v2, v1, v2
	v_mov_b32_e32 v1, 0
	v_add_nc_u32_e32 v3, v4, v3
	v_add_nc_u32_e32 v4, v5, v6
.LBB78_2:                               ; =>This Inner Loop Header: Depth=1
	v_lshlrev_b64 v[5:6], 3, v[0:1]
	v_mul_hi_u32 v9, v2, v0
	s_waitcnt lgkmcnt(0)
	v_add_co_u32 v5, vcc_lo, s8, v5
	v_add_co_ci_u32_e64 v6, null, s9, v6, vcc_lo
	v_mul_lo_u32 v10, s11, v9
	v_not_b32_e32 v7, v9
	v_add_nc_u32_e32 v11, 1, v9
	global_load_dwordx2 v[5:6], v[5:6], off
	v_mad_u64_u32 v[7:8], null, s11, v7, v[0:1]
	v_sub_nc_u32_e32 v8, v0, v10
	v_cmp_le_u32_e32 vcc_lo, s11, v8
	v_cndmask_b32_e32 v9, v9, v11, vcc_lo
	v_cndmask_b32_e32 v7, v8, v7, vcc_lo
	v_add_nc_u32_e32 v8, 1, v9
	v_cmp_le_u32_e32 vcc_lo, s11, v7
	v_cndmask_b32_e32 v9, v9, v8, vcc_lo
	v_mul_hi_u32 v7, v9, v3
	v_mul_lo_u32 v8, v7, s12
	v_add_nc_u32_e32 v10, 1, v7
	v_sub_nc_u32_e32 v8, v9, v8
	v_subrev_nc_u32_e32 v11, s12, v8
	v_cmp_le_u32_e32 vcc_lo, s12, v8
	v_cndmask_b32_e32 v7, v7, v10, vcc_lo
	v_cndmask_b32_e32 v8, v8, v11, vcc_lo
	v_add_nc_u32_e32 v10, 1, v7
	v_cmp_le_u32_e32 vcc_lo, s12, v8
	v_cndmask_b32_e32 v10, v7, v10, vcc_lo
	v_mul_hi_u32 v7, v10, v4
	v_mul_lo_u32 v8, v7, s13
	v_add_nc_u32_e32 v11, 1, v7
	v_sub_nc_u32_e32 v8, v10, v8
	v_subrev_nc_u32_e32 v12, s13, v8
	v_cmp_le_u32_e32 vcc_lo, s13, v8
	v_cndmask_b32_e32 v11, v7, v11, vcc_lo
	v_cndmask_b32_e32 v12, v8, v12, vcc_lo
	v_mad_u64_u32 v[7:8], null, s14, v9, v[0:1]
	v_add_nc_u32_e32 v0, s16, v0
	v_add_nc_u32_e32 v13, 1, v11
	v_cmp_le_u32_e32 vcc_lo, s13, v12
	v_mul_lo_u32 v7, v7, s7
	v_cndmask_b32_e32 v8, v11, v13, vcc_lo
	v_mul_lo_u32 v11, v10, s12
	v_cmp_le_u32_e32 vcc_lo, s10, v0
	v_mul_lo_u32 v12, v8, s13
	v_mul_lo_u32 v8, v8, s4
	s_or_b32 s1, vcc_lo, s1
	v_sub_nc_u32_e32 v9, v9, v11
	v_sub_nc_u32_e32 v10, v10, v12
	v_mul_lo_u32 v9, v9, s6
	v_add3_u32 v7, v7, s15, v8
	v_mov_b32_e32 v8, v1
	v_mul_lo_u32 v10, v10, s5
	v_add3_u32 v7, v7, v9, v10
	v_lshlrev_b64 v[7:8], 3, v[7:8]
	v_add_co_u32 v7, s0, s2, v7
	v_add_co_ci_u32_e64 v8, null, s3, v8, s0
	s_waitcnt vmcnt(0)
	global_store_dwordx2 v[7:8], v[5:6], off
	s_andn2_b32 exec_lo, exec_lo, s1
	s_cbranch_execnz .LBB78_2
.LBB78_3:
	s_endpgm
	.section	.rodata,"a",@progbits
	.p2align	6, 0x0
	.amdhsa_kernel _ZN2at6native12_GLOBAL__N_126CatArrayBatchedCopy_contigINS1_10OpaqueTypeILj8EEEjLi4ELi128ELi1EEEvPT_NS1_25CatArrInputTensorMetadataIS5_T0_XT2_EXT3_EEENS1_16TensorSizeStrideIS8_Lj4EEEiS8_
		.amdhsa_group_segment_fixed_size 0
		.amdhsa_private_segment_fixed_size 0
		.amdhsa_kernarg_size 3024
		.amdhsa_user_sgpr_count 6
		.amdhsa_user_sgpr_private_segment_buffer 1
		.amdhsa_user_sgpr_dispatch_ptr 0
		.amdhsa_user_sgpr_queue_ptr 0
		.amdhsa_user_sgpr_kernarg_segment_ptr 1
		.amdhsa_user_sgpr_dispatch_id 0
		.amdhsa_user_sgpr_flat_scratch_init 0
		.amdhsa_user_sgpr_private_segment_size 0
		.amdhsa_wavefront_size32 1
		.amdhsa_uses_dynamic_stack 0
		.amdhsa_system_sgpr_private_segment_wavefront_offset 0
		.amdhsa_system_sgpr_workgroup_id_x 1
		.amdhsa_system_sgpr_workgroup_id_y 1
		.amdhsa_system_sgpr_workgroup_id_z 0
		.amdhsa_system_sgpr_workgroup_info 0
		.amdhsa_system_vgpr_workitem_id 0
		.amdhsa_next_free_vgpr 14
		.amdhsa_next_free_sgpr 24
		.amdhsa_reserve_vcc 1
		.amdhsa_reserve_flat_scratch 0
		.amdhsa_float_round_mode_32 0
		.amdhsa_float_round_mode_16_64 0
		.amdhsa_float_denorm_mode_32 3
		.amdhsa_float_denorm_mode_16_64 3
		.amdhsa_dx10_clamp 1
		.amdhsa_ieee_mode 1
		.amdhsa_fp16_overflow 0
		.amdhsa_workgroup_processor_mode 1
		.amdhsa_memory_ordered 1
		.amdhsa_forward_progress 1
		.amdhsa_shared_vgpr_count 0
		.amdhsa_exception_fp_ieee_invalid_op 0
		.amdhsa_exception_fp_denorm_src 0
		.amdhsa_exception_fp_ieee_div_zero 0
		.amdhsa_exception_fp_ieee_overflow 0
		.amdhsa_exception_fp_ieee_underflow 0
		.amdhsa_exception_fp_ieee_inexact 0
		.amdhsa_exception_int_div_zero 0
	.end_amdhsa_kernel
	.section	.text._ZN2at6native12_GLOBAL__N_126CatArrayBatchedCopy_contigINS1_10OpaqueTypeILj8EEEjLi4ELi128ELi1EEEvPT_NS1_25CatArrInputTensorMetadataIS5_T0_XT2_EXT3_EEENS1_16TensorSizeStrideIS8_Lj4EEEiS8_,"axG",@progbits,_ZN2at6native12_GLOBAL__N_126CatArrayBatchedCopy_contigINS1_10OpaqueTypeILj8EEEjLi4ELi128ELi1EEEvPT_NS1_25CatArrInputTensorMetadataIS5_T0_XT2_EXT3_EEENS1_16TensorSizeStrideIS8_Lj4EEEiS8_,comdat
.Lfunc_end78:
	.size	_ZN2at6native12_GLOBAL__N_126CatArrayBatchedCopy_contigINS1_10OpaqueTypeILj8EEEjLi4ELi128ELi1EEEvPT_NS1_25CatArrInputTensorMetadataIS5_T0_XT2_EXT3_EEENS1_16TensorSizeStrideIS8_Lj4EEEiS8_, .Lfunc_end78-_ZN2at6native12_GLOBAL__N_126CatArrayBatchedCopy_contigINS1_10OpaqueTypeILj8EEEjLi4ELi128ELi1EEEvPT_NS1_25CatArrInputTensorMetadataIS5_T0_XT2_EXT3_EEENS1_16TensorSizeStrideIS8_Lj4EEEiS8_
                                        ; -- End function
	.set _ZN2at6native12_GLOBAL__N_126CatArrayBatchedCopy_contigINS1_10OpaqueTypeILj8EEEjLi4ELi128ELi1EEEvPT_NS1_25CatArrInputTensorMetadataIS5_T0_XT2_EXT3_EEENS1_16TensorSizeStrideIS8_Lj4EEEiS8_.num_vgpr, 14
	.set _ZN2at6native12_GLOBAL__N_126CatArrayBatchedCopy_contigINS1_10OpaqueTypeILj8EEEjLi4ELi128ELi1EEEvPT_NS1_25CatArrInputTensorMetadataIS5_T0_XT2_EXT3_EEENS1_16TensorSizeStrideIS8_Lj4EEEiS8_.num_agpr, 0
	.set _ZN2at6native12_GLOBAL__N_126CatArrayBatchedCopy_contigINS1_10OpaqueTypeILj8EEEjLi4ELi128ELi1EEEvPT_NS1_25CatArrInputTensorMetadataIS5_T0_XT2_EXT3_EEENS1_16TensorSizeStrideIS8_Lj4EEEiS8_.numbered_sgpr, 24
	.set _ZN2at6native12_GLOBAL__N_126CatArrayBatchedCopy_contigINS1_10OpaqueTypeILj8EEEjLi4ELi128ELi1EEEvPT_NS1_25CatArrInputTensorMetadataIS5_T0_XT2_EXT3_EEENS1_16TensorSizeStrideIS8_Lj4EEEiS8_.num_named_barrier, 0
	.set _ZN2at6native12_GLOBAL__N_126CatArrayBatchedCopy_contigINS1_10OpaqueTypeILj8EEEjLi4ELi128ELi1EEEvPT_NS1_25CatArrInputTensorMetadataIS5_T0_XT2_EXT3_EEENS1_16TensorSizeStrideIS8_Lj4EEEiS8_.private_seg_size, 0
	.set _ZN2at6native12_GLOBAL__N_126CatArrayBatchedCopy_contigINS1_10OpaqueTypeILj8EEEjLi4ELi128ELi1EEEvPT_NS1_25CatArrInputTensorMetadataIS5_T0_XT2_EXT3_EEENS1_16TensorSizeStrideIS8_Lj4EEEiS8_.uses_vcc, 1
	.set _ZN2at6native12_GLOBAL__N_126CatArrayBatchedCopy_contigINS1_10OpaqueTypeILj8EEEjLi4ELi128ELi1EEEvPT_NS1_25CatArrInputTensorMetadataIS5_T0_XT2_EXT3_EEENS1_16TensorSizeStrideIS8_Lj4EEEiS8_.uses_flat_scratch, 0
	.set _ZN2at6native12_GLOBAL__N_126CatArrayBatchedCopy_contigINS1_10OpaqueTypeILj8EEEjLi4ELi128ELi1EEEvPT_NS1_25CatArrInputTensorMetadataIS5_T0_XT2_EXT3_EEENS1_16TensorSizeStrideIS8_Lj4EEEiS8_.has_dyn_sized_stack, 0
	.set _ZN2at6native12_GLOBAL__N_126CatArrayBatchedCopy_contigINS1_10OpaqueTypeILj8EEEjLi4ELi128ELi1EEEvPT_NS1_25CatArrInputTensorMetadataIS5_T0_XT2_EXT3_EEENS1_16TensorSizeStrideIS8_Lj4EEEiS8_.has_recursion, 0
	.set _ZN2at6native12_GLOBAL__N_126CatArrayBatchedCopy_contigINS1_10OpaqueTypeILj8EEEjLi4ELi128ELi1EEEvPT_NS1_25CatArrInputTensorMetadataIS5_T0_XT2_EXT3_EEENS1_16TensorSizeStrideIS8_Lj4EEEiS8_.has_indirect_call, 0
	.section	.AMDGPU.csdata,"",@progbits
; Kernel info:
; codeLenInByte = 712
; TotalNumSgprs: 26
; NumVgprs: 14
; ScratchSize: 0
; MemoryBound: 0
; FloatMode: 240
; IeeeMode: 1
; LDSByteSize: 0 bytes/workgroup (compile time only)
; SGPRBlocks: 0
; VGPRBlocks: 1
; NumSGPRsForWavesPerEU: 26
; NumVGPRsForWavesPerEU: 14
; Occupancy: 16
; WaveLimiterHint : 1
; COMPUTE_PGM_RSRC2:SCRATCH_EN: 0
; COMPUTE_PGM_RSRC2:USER_SGPR: 6
; COMPUTE_PGM_RSRC2:TRAP_HANDLER: 0
; COMPUTE_PGM_RSRC2:TGID_X_EN: 1
; COMPUTE_PGM_RSRC2:TGID_Y_EN: 1
; COMPUTE_PGM_RSRC2:TGID_Z_EN: 0
; COMPUTE_PGM_RSRC2:TIDIG_COMP_CNT: 0
	.section	.text._ZN2at6native12_GLOBAL__N_119CatArrayBatchedCopyINS1_10OpaqueTypeILj8EEEjLi4ELi128ELi1EEEvPT_NS1_25CatArrInputTensorMetadataIS5_T0_XT2_EXT3_EEENS1_16TensorSizeStrideIS8_Lj4EEEiS8_,"axG",@progbits,_ZN2at6native12_GLOBAL__N_119CatArrayBatchedCopyINS1_10OpaqueTypeILj8EEEjLi4ELi128ELi1EEEvPT_NS1_25CatArrInputTensorMetadataIS5_T0_XT2_EXT3_EEENS1_16TensorSizeStrideIS8_Lj4EEEiS8_,comdat
	.globl	_ZN2at6native12_GLOBAL__N_119CatArrayBatchedCopyINS1_10OpaqueTypeILj8EEEjLi4ELi128ELi1EEEvPT_NS1_25CatArrInputTensorMetadataIS5_T0_XT2_EXT3_EEENS1_16TensorSizeStrideIS8_Lj4EEEiS8_ ; -- Begin function _ZN2at6native12_GLOBAL__N_119CatArrayBatchedCopyINS1_10OpaqueTypeILj8EEEjLi4ELi128ELi1EEEvPT_NS1_25CatArrInputTensorMetadataIS5_T0_XT2_EXT3_EEENS1_16TensorSizeStrideIS8_Lj4EEEiS8_
	.p2align	8
	.type	_ZN2at6native12_GLOBAL__N_119CatArrayBatchedCopyINS1_10OpaqueTypeILj8EEEjLi4ELi128ELi1EEEvPT_NS1_25CatArrInputTensorMetadataIS5_T0_XT2_EXT3_EEENS1_16TensorSizeStrideIS8_Lj4EEEiS8_,@function
_ZN2at6native12_GLOBAL__N_119CatArrayBatchedCopyINS1_10OpaqueTypeILj8EEEjLi4ELi128ELi1EEEvPT_NS1_25CatArrInputTensorMetadataIS5_T0_XT2_EXT3_EEENS1_16TensorSizeStrideIS8_Lj4EEEiS8_: ; @_ZN2at6native12_GLOBAL__N_119CatArrayBatchedCopyINS1_10OpaqueTypeILj8EEEjLi4ELi128ELi1EEEvPT_NS1_25CatArrInputTensorMetadataIS5_T0_XT2_EXT3_EEENS1_16TensorSizeStrideIS8_Lj4EEEiS8_
; %bb.0:
	s_mov_b32 s0, s7
	s_load_dword s7, s[4:5], 0xadc
	s_or_b32 s8, s4, 8
	s_mov_b32 s1, 0
	s_add_u32 s16, s4, 0xad0
	s_addc_u32 s17, s5, 0
	s_lshl_b64 s[2:3], s[0:1], 2
	s_waitcnt lgkmcnt(0)
	s_and_b32 s25, s7, 0xffff
	s_add_u32 s10, s8, s2
	s_addc_u32 s11, s5, s3
	v_mad_u64_u32 v[0:1], null, s6, s25, v[0:1]
	s_load_dword s18, s[10:11], 0x800
	s_mov_b32 s6, exec_lo
	s_waitcnt lgkmcnt(0)
	v_cmpx_gt_u32_e64 s18, v0
	s_cbranch_execz .LBB79_5
; %bb.1:
	v_mov_b32_e32 v1, 0x800
	s_add_u32 s6, s8, s0
	s_addc_u32 s7, s5, 0
	s_mov_b32 s9, s5
	s_load_dwordx2 s[14:15], s[4:5], 0xac8
	global_load_ubyte v1, v1, s[6:7] offset:512
	s_waitcnt vmcnt(0)
	v_and_b32_e32 v1, 1, v1
	v_cmp_eq_u32_e32 vcc_lo, 1, v1
	s_xor_b32 s19, vcc_lo, -1
	s_add_u32 s12, s10, s2
	s_addc_u32 s13, s11, s3
	s_sub_u32 s0, 0, s2
	s_subb_u32 s2, 0, s3
	s_add_u32 s6, s12, s0
	s_addc_u32 s7, s13, s2
	s_clause 0x4
	s_load_dwordx4 s[28:31], s[4:5], 0xaac
	s_load_dword s0, s[6:7], 0x600
	s_load_dwordx4 s[36:39], s[4:5], 0xa8c
	s_load_dwordx2 s[2:3], s[4:5], 0x0
	s_load_dwordx4 s[8:11], s[8:9], 0xa90
	s_waitcnt lgkmcnt(0)
	s_cmp_eq_u32 s14, 3
	s_load_dword s27, s[16:17], 0x0
	s_load_dword s26, s[6:7], 0x400
	s_cselect_b32 s20, s0, s30
	s_cselect_b32 s21, s0, s38
	s_cmp_eq_u32 s14, 2
	v_cvt_f32_u32_e32 v1, s20
	s_cselect_b32 s16, s0, s29
	s_cselect_b32 s17, s0, s37
	s_cmp_eq_u32 s14, 1
	v_cvt_f32_u32_e32 v2, s21
	s_cselect_b32 s14, s0, s28
	s_cselect_b32 s22, s0, s36
	v_cvt_f32_u32_e32 v3, s16
	v_cvt_f32_u32_e32 v4, s17
	;; [unrolled: 1-line block ×4, first 2 shown]
	v_rcp_iflag_f32_e32 v1, v1
	v_rcp_iflag_f32_e32 v2, v2
	;; [unrolled: 1-line block ×6, first 2 shown]
	s_sub_i32 s23, 0, s20
	s_sub_i32 s0, 0, s16
	;; [unrolled: 1-line block ×4, first 2 shown]
	v_mul_f32_e32 v1, 0x4f7ffffe, v1
	v_mul_f32_e32 v2, 0x4f7ffffe, v2
	;; [unrolled: 1-line block ×6, first 2 shown]
	v_cvt_u32_f32_e32 v7, v1
	v_cvt_u32_f32_e32 v2, v2
	;; [unrolled: 1-line block ×6, first 2 shown]
	s_sub_i32 s7, 0, s14
	s_sub_i32 s28, 0, s22
	v_mul_lo_u32 v1, s23, v7
	v_mul_lo_u32 v4, s24, v2
	;; [unrolled: 1-line block ×6, first 2 shown]
	s_clause 0x1
	s_load_dwordx4 s[4:7], s[4:5], 0xab8
	s_load_dwordx2 s[12:13], s[12:13], 0x0
	s_waitcnt lgkmcnt(0)
	s_mul_i32 s15, s26, s15
	v_mul_hi_u32 v13, v7, v1
	v_mul_hi_u32 v14, v2, v4
	;; [unrolled: 1-line block ×6, first 2 shown]
	v_mov_b32_e32 v1, 0
	s_mul_i32 s25, s27, s25
	v_add_nc_u32_e32 v4, v7, v13
	v_add_nc_u32_e32 v5, v2, v14
	;; [unrolled: 1-line block ×6, first 2 shown]
	s_branch .LBB79_3
.LBB79_2:                               ;   in Loop: Header=BB79_3 Depth=1
	v_lshlrev_b64 v[2:3], 3, v[2:3]
	v_mul_hi_u32 v13, v4, v0
	v_add_co_u32 v2, vcc_lo, s12, v2
	v_add_co_ci_u32_e64 v3, null, s13, v3, vcc_lo
	v_not_b32_e32 v12, v13
	v_mad_u64_u32 v[10:11], null, s23, v13, v[0:1]
	global_load_dwordx2 v[2:3], v[2:3], off
	v_add_nc_u32_e32 v14, 1, v13
	v_mad_u64_u32 v[11:12], null, s20, v12, v[0:1]
	v_cmp_le_u32_e32 vcc_lo, s20, v10
	v_cndmask_b32_e32 v12, v13, v14, vcc_lo
	v_cndmask_b32_e32 v10, v10, v11, vcc_lo
	v_add_nc_u32_e32 v11, 1, v12
	v_cmp_le_u32_e32 vcc_lo, s20, v10
	v_cndmask_b32_e32 v12, v12, v11, vcc_lo
	v_mul_hi_u32 v10, v12, v6
	v_mul_lo_u32 v11, v10, s16
	v_add_nc_u32_e32 v13, 1, v10
	v_sub_nc_u32_e32 v11, v12, v11
	v_subrev_nc_u32_e32 v14, s16, v11
	v_cmp_le_u32_e32 vcc_lo, s16, v11
	v_cndmask_b32_e32 v10, v10, v13, vcc_lo
	v_cndmask_b32_e32 v11, v11, v14, vcc_lo
	v_add_nc_u32_e32 v13, 1, v10
	v_cmp_le_u32_e32 vcc_lo, s16, v11
	v_cndmask_b32_e32 v13, v10, v13, vcc_lo
	v_mul_hi_u32 v10, v13, v8
	v_mul_lo_u32 v11, v10, s14
	v_add_nc_u32_e32 v14, 1, v10
	v_sub_nc_u32_e32 v11, v13, v11
	v_subrev_nc_u32_e32 v15, s14, v11
	v_cmp_le_u32_e32 vcc_lo, s14, v11
	v_cndmask_b32_e32 v10, v10, v14, vcc_lo
	v_cndmask_b32_e32 v11, v11, v15, vcc_lo
	v_mul_lo_u32 v15, v13, s16
	v_add_nc_u32_e32 v14, 1, v10
	v_cmp_le_u32_e32 vcc_lo, s14, v11
	v_cndmask_b32_e32 v14, v10, v14, vcc_lo
	v_mad_u64_u32 v[10:11], null, s23, v12, v[0:1]
	v_sub_nc_u32_e32 v12, v12, v15
	v_add_nc_u32_e32 v0, s25, v0
	v_mul_lo_u32 v11, v14, s14
	v_mul_lo_u32 v12, v12, s6
	;; [unrolled: 1-line block ×3, first 2 shown]
	v_cmp_le_u32_e32 vcc_lo, s18, v0
	v_sub_nc_u32_e32 v11, v13, v11
	v_mul_lo_u32 v13, v14, s4
	s_or_b32 s1, vcc_lo, s1
	v_mul_lo_u32 v11, v11, s5
	v_add3_u32 v10, v13, v10, v12
	v_add3_u32 v10, v10, v11, s15
	v_mov_b32_e32 v11, v1
	v_lshlrev_b64 v[10:11], 3, v[10:11]
	v_add_co_u32 v10, s0, s2, v10
	v_add_co_ci_u32_e64 v11, null, s3, v11, s0
	s_waitcnt vmcnt(0)
	global_store_dwordx2 v[10:11], v[2:3], off
	s_andn2_b32 exec_lo, exec_lo, s1
	s_cbranch_execz .LBB79_5
.LBB79_3:                               ; =>This Inner Loop Header: Depth=1
	v_mov_b32_e32 v3, v1
	v_mov_b32_e32 v2, v0
	s_andn2_b32 vcc_lo, exec_lo, s19
	s_cbranch_vccnz .LBB79_2
; %bb.4:                                ;   in Loop: Header=BB79_3 Depth=1
	v_mul_hi_u32 v12, v5, v0
	v_not_b32_e32 v10, v12
	v_mad_u64_u32 v[2:3], null, s24, v12, v[0:1]
	v_add_nc_u32_e32 v3, 1, v12
	v_mad_u64_u32 v[10:11], null, s21, v10, v[0:1]
	v_cmp_le_u32_e32 vcc_lo, s21, v2
	v_cndmask_b32_e32 v3, v12, v3, vcc_lo
	v_cndmask_b32_e32 v2, v2, v10, vcc_lo
	v_add_nc_u32_e32 v10, 1, v3
	v_cmp_le_u32_e32 vcc_lo, s21, v2
	v_cndmask_b32_e32 v10, v3, v10, vcc_lo
	v_mul_hi_u32 v2, v10, v7
	v_mul_lo_u32 v3, v2, s17
	v_add_nc_u32_e32 v11, 1, v2
	v_sub_nc_u32_e32 v3, v10, v3
	v_subrev_nc_u32_e32 v12, s17, v3
	v_cmp_le_u32_e32 vcc_lo, s17, v3
	v_cndmask_b32_e32 v2, v2, v11, vcc_lo
	v_cndmask_b32_e32 v3, v3, v12, vcc_lo
	v_add_nc_u32_e32 v11, 1, v2
	v_cmp_le_u32_e32 vcc_lo, s17, v3
	v_cndmask_b32_e32 v11, v2, v11, vcc_lo
	v_mul_hi_u32 v2, v11, v9
	v_mul_lo_u32 v3, v2, s22
	v_add_nc_u32_e32 v12, 1, v2
	v_sub_nc_u32_e32 v3, v11, v3
	v_subrev_nc_u32_e32 v13, s22, v3
	v_cmp_le_u32_e32 vcc_lo, s22, v3
	v_cndmask_b32_e32 v2, v2, v12, vcc_lo
	v_cndmask_b32_e32 v3, v3, v13, vcc_lo
	v_add_nc_u32_e32 v12, 1, v2
	v_cmp_le_u32_e32 vcc_lo, s22, v3
	v_cndmask_b32_e32 v12, v2, v12, vcc_lo
	v_mad_u64_u32 v[2:3], null, s24, v10, v[0:1]
	v_mul_lo_u32 v3, v11, s17
	v_mul_lo_u32 v13, v12, s22
	;; [unrolled: 1-line block ×3, first 2 shown]
	v_sub_nc_u32_e32 v3, v10, v3
	v_sub_nc_u32_e32 v10, v11, v13
	v_mul_lo_u32 v11, v3, s10
	v_mad_u64_u32 v[2:3], null, v12, s8, v[2:3]
	v_mul_lo_u32 v3, v10, s9
	v_add3_u32 v2, v2, v11, v3
	v_mov_b32_e32 v3, v1
	s_branch .LBB79_2
.LBB79_5:
	s_endpgm
	.section	.rodata,"a",@progbits
	.p2align	6, 0x0
	.amdhsa_kernel _ZN2at6native12_GLOBAL__N_119CatArrayBatchedCopyINS1_10OpaqueTypeILj8EEEjLi4ELi128ELi1EEEvPT_NS1_25CatArrInputTensorMetadataIS5_T0_XT2_EXT3_EEENS1_16TensorSizeStrideIS8_Lj4EEEiS8_
		.amdhsa_group_segment_fixed_size 0
		.amdhsa_private_segment_fixed_size 0
		.amdhsa_kernarg_size 3024
		.amdhsa_user_sgpr_count 6
		.amdhsa_user_sgpr_private_segment_buffer 1
		.amdhsa_user_sgpr_dispatch_ptr 0
		.amdhsa_user_sgpr_queue_ptr 0
		.amdhsa_user_sgpr_kernarg_segment_ptr 1
		.amdhsa_user_sgpr_dispatch_id 0
		.amdhsa_user_sgpr_flat_scratch_init 0
		.amdhsa_user_sgpr_private_segment_size 0
		.amdhsa_wavefront_size32 1
		.amdhsa_uses_dynamic_stack 0
		.amdhsa_system_sgpr_private_segment_wavefront_offset 0
		.amdhsa_system_sgpr_workgroup_id_x 1
		.amdhsa_system_sgpr_workgroup_id_y 1
		.amdhsa_system_sgpr_workgroup_id_z 0
		.amdhsa_system_sgpr_workgroup_info 0
		.amdhsa_system_vgpr_workitem_id 0
		.amdhsa_next_free_vgpr 17
		.amdhsa_next_free_sgpr 40
		.amdhsa_reserve_vcc 1
		.amdhsa_reserve_flat_scratch 0
		.amdhsa_float_round_mode_32 0
		.amdhsa_float_round_mode_16_64 0
		.amdhsa_float_denorm_mode_32 3
		.amdhsa_float_denorm_mode_16_64 3
		.amdhsa_dx10_clamp 1
		.amdhsa_ieee_mode 1
		.amdhsa_fp16_overflow 0
		.amdhsa_workgroup_processor_mode 1
		.amdhsa_memory_ordered 1
		.amdhsa_forward_progress 1
		.amdhsa_shared_vgpr_count 0
		.amdhsa_exception_fp_ieee_invalid_op 0
		.amdhsa_exception_fp_denorm_src 0
		.amdhsa_exception_fp_ieee_div_zero 0
		.amdhsa_exception_fp_ieee_overflow 0
		.amdhsa_exception_fp_ieee_underflow 0
		.amdhsa_exception_fp_ieee_inexact 0
		.amdhsa_exception_int_div_zero 0
	.end_amdhsa_kernel
	.section	.text._ZN2at6native12_GLOBAL__N_119CatArrayBatchedCopyINS1_10OpaqueTypeILj8EEEjLi4ELi128ELi1EEEvPT_NS1_25CatArrInputTensorMetadataIS5_T0_XT2_EXT3_EEENS1_16TensorSizeStrideIS8_Lj4EEEiS8_,"axG",@progbits,_ZN2at6native12_GLOBAL__N_119CatArrayBatchedCopyINS1_10OpaqueTypeILj8EEEjLi4ELi128ELi1EEEvPT_NS1_25CatArrInputTensorMetadataIS5_T0_XT2_EXT3_EEENS1_16TensorSizeStrideIS8_Lj4EEEiS8_,comdat
.Lfunc_end79:
	.size	_ZN2at6native12_GLOBAL__N_119CatArrayBatchedCopyINS1_10OpaqueTypeILj8EEEjLi4ELi128ELi1EEEvPT_NS1_25CatArrInputTensorMetadataIS5_T0_XT2_EXT3_EEENS1_16TensorSizeStrideIS8_Lj4EEEiS8_, .Lfunc_end79-_ZN2at6native12_GLOBAL__N_119CatArrayBatchedCopyINS1_10OpaqueTypeILj8EEEjLi4ELi128ELi1EEEvPT_NS1_25CatArrInputTensorMetadataIS5_T0_XT2_EXT3_EEENS1_16TensorSizeStrideIS8_Lj4EEEiS8_
                                        ; -- End function
	.set _ZN2at6native12_GLOBAL__N_119CatArrayBatchedCopyINS1_10OpaqueTypeILj8EEEjLi4ELi128ELi1EEEvPT_NS1_25CatArrInputTensorMetadataIS5_T0_XT2_EXT3_EEENS1_16TensorSizeStrideIS8_Lj4EEEiS8_.num_vgpr, 17
	.set _ZN2at6native12_GLOBAL__N_119CatArrayBatchedCopyINS1_10OpaqueTypeILj8EEEjLi4ELi128ELi1EEEvPT_NS1_25CatArrInputTensorMetadataIS5_T0_XT2_EXT3_EEENS1_16TensorSizeStrideIS8_Lj4EEEiS8_.num_agpr, 0
	.set _ZN2at6native12_GLOBAL__N_119CatArrayBatchedCopyINS1_10OpaqueTypeILj8EEEjLi4ELi128ELi1EEEvPT_NS1_25CatArrInputTensorMetadataIS5_T0_XT2_EXT3_EEENS1_16TensorSizeStrideIS8_Lj4EEEiS8_.numbered_sgpr, 40
	.set _ZN2at6native12_GLOBAL__N_119CatArrayBatchedCopyINS1_10OpaqueTypeILj8EEEjLi4ELi128ELi1EEEvPT_NS1_25CatArrInputTensorMetadataIS5_T0_XT2_EXT3_EEENS1_16TensorSizeStrideIS8_Lj4EEEiS8_.num_named_barrier, 0
	.set _ZN2at6native12_GLOBAL__N_119CatArrayBatchedCopyINS1_10OpaqueTypeILj8EEEjLi4ELi128ELi1EEEvPT_NS1_25CatArrInputTensorMetadataIS5_T0_XT2_EXT3_EEENS1_16TensorSizeStrideIS8_Lj4EEEiS8_.private_seg_size, 0
	.set _ZN2at6native12_GLOBAL__N_119CatArrayBatchedCopyINS1_10OpaqueTypeILj8EEEjLi4ELi128ELi1EEEvPT_NS1_25CatArrInputTensorMetadataIS5_T0_XT2_EXT3_EEENS1_16TensorSizeStrideIS8_Lj4EEEiS8_.uses_vcc, 1
	.set _ZN2at6native12_GLOBAL__N_119CatArrayBatchedCopyINS1_10OpaqueTypeILj8EEEjLi4ELi128ELi1EEEvPT_NS1_25CatArrInputTensorMetadataIS5_T0_XT2_EXT3_EEENS1_16TensorSizeStrideIS8_Lj4EEEiS8_.uses_flat_scratch, 0
	.set _ZN2at6native12_GLOBAL__N_119CatArrayBatchedCopyINS1_10OpaqueTypeILj8EEEjLi4ELi128ELi1EEEvPT_NS1_25CatArrInputTensorMetadataIS5_T0_XT2_EXT3_EEENS1_16TensorSizeStrideIS8_Lj4EEEiS8_.has_dyn_sized_stack, 0
	.set _ZN2at6native12_GLOBAL__N_119CatArrayBatchedCopyINS1_10OpaqueTypeILj8EEEjLi4ELi128ELi1EEEvPT_NS1_25CatArrInputTensorMetadataIS5_T0_XT2_EXT3_EEENS1_16TensorSizeStrideIS8_Lj4EEEiS8_.has_recursion, 0
	.set _ZN2at6native12_GLOBAL__N_119CatArrayBatchedCopyINS1_10OpaqueTypeILj8EEEjLi4ELi128ELi1EEEvPT_NS1_25CatArrInputTensorMetadataIS5_T0_XT2_EXT3_EEENS1_16TensorSizeStrideIS8_Lj4EEEiS8_.has_indirect_call, 0
	.section	.AMDGPU.csdata,"",@progbits
; Kernel info:
; codeLenInByte = 1164
; TotalNumSgprs: 42
; NumVgprs: 17
; ScratchSize: 0
; MemoryBound: 0
; FloatMode: 240
; IeeeMode: 1
; LDSByteSize: 0 bytes/workgroup (compile time only)
; SGPRBlocks: 0
; VGPRBlocks: 2
; NumSGPRsForWavesPerEU: 42
; NumVGPRsForWavesPerEU: 17
; Occupancy: 16
; WaveLimiterHint : 1
; COMPUTE_PGM_RSRC2:SCRATCH_EN: 0
; COMPUTE_PGM_RSRC2:USER_SGPR: 6
; COMPUTE_PGM_RSRC2:TRAP_HANDLER: 0
; COMPUTE_PGM_RSRC2:TGID_X_EN: 1
; COMPUTE_PGM_RSRC2:TGID_Y_EN: 1
; COMPUTE_PGM_RSRC2:TGID_Z_EN: 0
; COMPUTE_PGM_RSRC2:TIDIG_COMP_CNT: 0
	.section	.text._ZN2at6native12_GLOBAL__N_130CatArrayBatchedCopy_vectorizedINS1_10OpaqueTypeILj16EEEjLi1ELi128ELi1ELi16ELi1EEEvPcNS1_25CatArrInputTensorMetadataIT_T0_XT2_EXT3_EEENS1_16TensorSizeStrideIS8_Lj4EEEiS8_,"axG",@progbits,_ZN2at6native12_GLOBAL__N_130CatArrayBatchedCopy_vectorizedINS1_10OpaqueTypeILj16EEEjLi1ELi128ELi1ELi16ELi1EEEvPcNS1_25CatArrInputTensorMetadataIT_T0_XT2_EXT3_EEENS1_16TensorSizeStrideIS8_Lj4EEEiS8_,comdat
	.globl	_ZN2at6native12_GLOBAL__N_130CatArrayBatchedCopy_vectorizedINS1_10OpaqueTypeILj16EEEjLi1ELi128ELi1ELi16ELi1EEEvPcNS1_25CatArrInputTensorMetadataIT_T0_XT2_EXT3_EEENS1_16TensorSizeStrideIS8_Lj4EEEiS8_ ; -- Begin function _ZN2at6native12_GLOBAL__N_130CatArrayBatchedCopy_vectorizedINS1_10OpaqueTypeILj16EEEjLi1ELi128ELi1ELi16ELi1EEEvPcNS1_25CatArrInputTensorMetadataIT_T0_XT2_EXT3_EEENS1_16TensorSizeStrideIS8_Lj4EEEiS8_
	.p2align	8
	.type	_ZN2at6native12_GLOBAL__N_130CatArrayBatchedCopy_vectorizedINS1_10OpaqueTypeILj16EEEjLi1ELi128ELi1ELi16ELi1EEEvPcNS1_25CatArrInputTensorMetadataIT_T0_XT2_EXT3_EEENS1_16TensorSizeStrideIS8_Lj4EEEiS8_,@function
_ZN2at6native12_GLOBAL__N_130CatArrayBatchedCopy_vectorizedINS1_10OpaqueTypeILj16EEEjLi1ELi128ELi1ELi16ELi1EEEvPcNS1_25CatArrInputTensorMetadataIT_T0_XT2_EXT3_EEENS1_16TensorSizeStrideIS8_Lj4EEEiS8_: ; @_ZN2at6native12_GLOBAL__N_130CatArrayBatchedCopy_vectorizedINS1_10OpaqueTypeILj16EEEjLi1ELi128ELi1ELi16ELi1EEEvPcNS1_25CatArrInputTensorMetadataIT_T0_XT2_EXT3_EEENS1_16TensorSizeStrideIS8_Lj4EEEiS8_
; %bb.0:
	s_mov_b32 s0, s7
	s_load_dword s7, s[4:5], 0xadc
	s_mov_b32 s1, 0
	s_add_u32 s8, s4, 0xad0
	s_addc_u32 s9, s5, 0
	s_lshl_b64 s[2:3], s[0:1], 2
	s_mov_b32 s11, exec_lo
	s_waitcnt lgkmcnt(0)
	s_and_b32 s10, s7, 0xffff
	s_add_u32 s12, s4, s2
	s_addc_u32 s13, s5, s3
	v_mad_u64_u32 v[0:1], null, s6, s10, v[0:1]
	s_load_dword s7, s[12:13], 0x808
	s_add_u32 s0, s12, 8
	s_addc_u32 s6, s13, 0
	s_waitcnt lgkmcnt(0)
	v_cmpx_gt_u32_e64 s7, v0
	s_cbranch_execz .LBB80_3
; %bb.1:
	s_add_u32 s12, s0, s2
	s_addc_u32 s13, s6, s3
	s_sub_u32 s0, 0, s2
	s_subb_u32 s2, 0, s3
	s_add_u32 s14, s12, s0
	s_addc_u32 s15, s13, s2
	s_clause 0x3
	s_load_dword s0, s[4:5], 0xacc
	s_load_dwordx2 s[2:3], s[12:13], 0x0
	s_load_dword s11, s[4:5], 0xab8
	s_load_dword s6, s[14:15], 0x400
	;; [unrolled: 1-line block ×3, first 2 shown]
	s_load_dwordx2 s[8:9], s[4:5], 0x0
	v_mov_b32_e32 v3, 0
	s_waitcnt lgkmcnt(0)
	v_mul_lo_u32 v2, s11, v0
	s_mul_i32 s0, s6, s0
	s_mul_i32 s4, s14, s10
	s_lshl_b64 s[12:13], s[0:1], 4
	s_add_u32 s5, s8, s12
	s_addc_u32 s6, s9, s13
	s_mul_i32 s8, s4, s11
	.p2align	6
.LBB80_2:                               ; =>This Inner Loop Header: Depth=1
	v_mov_b32_e32 v1, v3
	v_lshlrev_b64 v[8:9], 4, v[2:3]
	v_add_nc_u32_e32 v2, s8, v2
	v_lshlrev_b64 v[4:5], 4, v[0:1]
	v_add_nc_u32_e32 v0, s4, v0
	v_cmp_le_u32_e64 s0, s7, v0
	v_add_co_u32 v4, vcc_lo, s2, v4
	v_add_co_ci_u32_e64 v5, null, s3, v5, vcc_lo
	v_add_co_u32 v8, vcc_lo, s5, v8
	v_add_co_ci_u32_e64 v9, null, s6, v9, vcc_lo
	global_load_dwordx4 v[4:7], v[4:5], off
	s_or_b32 s1, s0, s1
	s_waitcnt vmcnt(0)
	global_store_dwordx4 v[8:9], v[4:7], off
	s_andn2_b32 exec_lo, exec_lo, s1
	s_cbranch_execnz .LBB80_2
.LBB80_3:
	s_endpgm
	.section	.rodata,"a",@progbits
	.p2align	6, 0x0
	.amdhsa_kernel _ZN2at6native12_GLOBAL__N_130CatArrayBatchedCopy_vectorizedINS1_10OpaqueTypeILj16EEEjLi1ELi128ELi1ELi16ELi1EEEvPcNS1_25CatArrInputTensorMetadataIT_T0_XT2_EXT3_EEENS1_16TensorSizeStrideIS8_Lj4EEEiS8_
		.amdhsa_group_segment_fixed_size 0
		.amdhsa_private_segment_fixed_size 0
		.amdhsa_kernarg_size 3024
		.amdhsa_user_sgpr_count 6
		.amdhsa_user_sgpr_private_segment_buffer 1
		.amdhsa_user_sgpr_dispatch_ptr 0
		.amdhsa_user_sgpr_queue_ptr 0
		.amdhsa_user_sgpr_kernarg_segment_ptr 1
		.amdhsa_user_sgpr_dispatch_id 0
		.amdhsa_user_sgpr_flat_scratch_init 0
		.amdhsa_user_sgpr_private_segment_size 0
		.amdhsa_wavefront_size32 1
		.amdhsa_uses_dynamic_stack 0
		.amdhsa_system_sgpr_private_segment_wavefront_offset 0
		.amdhsa_system_sgpr_workgroup_id_x 1
		.amdhsa_system_sgpr_workgroup_id_y 1
		.amdhsa_system_sgpr_workgroup_id_z 0
		.amdhsa_system_sgpr_workgroup_info 0
		.amdhsa_system_vgpr_workitem_id 0
		.amdhsa_next_free_vgpr 10
		.amdhsa_next_free_sgpr 16
		.amdhsa_reserve_vcc 1
		.amdhsa_reserve_flat_scratch 0
		.amdhsa_float_round_mode_32 0
		.amdhsa_float_round_mode_16_64 0
		.amdhsa_float_denorm_mode_32 3
		.amdhsa_float_denorm_mode_16_64 3
		.amdhsa_dx10_clamp 1
		.amdhsa_ieee_mode 1
		.amdhsa_fp16_overflow 0
		.amdhsa_workgroup_processor_mode 1
		.amdhsa_memory_ordered 1
		.amdhsa_forward_progress 1
		.amdhsa_shared_vgpr_count 0
		.amdhsa_exception_fp_ieee_invalid_op 0
		.amdhsa_exception_fp_denorm_src 0
		.amdhsa_exception_fp_ieee_div_zero 0
		.amdhsa_exception_fp_ieee_overflow 0
		.amdhsa_exception_fp_ieee_underflow 0
		.amdhsa_exception_fp_ieee_inexact 0
		.amdhsa_exception_int_div_zero 0
	.end_amdhsa_kernel
	.section	.text._ZN2at6native12_GLOBAL__N_130CatArrayBatchedCopy_vectorizedINS1_10OpaqueTypeILj16EEEjLi1ELi128ELi1ELi16ELi1EEEvPcNS1_25CatArrInputTensorMetadataIT_T0_XT2_EXT3_EEENS1_16TensorSizeStrideIS8_Lj4EEEiS8_,"axG",@progbits,_ZN2at6native12_GLOBAL__N_130CatArrayBatchedCopy_vectorizedINS1_10OpaqueTypeILj16EEEjLi1ELi128ELi1ELi16ELi1EEEvPcNS1_25CatArrInputTensorMetadataIT_T0_XT2_EXT3_EEENS1_16TensorSizeStrideIS8_Lj4EEEiS8_,comdat
.Lfunc_end80:
	.size	_ZN2at6native12_GLOBAL__N_130CatArrayBatchedCopy_vectorizedINS1_10OpaqueTypeILj16EEEjLi1ELi128ELi1ELi16ELi1EEEvPcNS1_25CatArrInputTensorMetadataIT_T0_XT2_EXT3_EEENS1_16TensorSizeStrideIS8_Lj4EEEiS8_, .Lfunc_end80-_ZN2at6native12_GLOBAL__N_130CatArrayBatchedCopy_vectorizedINS1_10OpaqueTypeILj16EEEjLi1ELi128ELi1ELi16ELi1EEEvPcNS1_25CatArrInputTensorMetadataIT_T0_XT2_EXT3_EEENS1_16TensorSizeStrideIS8_Lj4EEEiS8_
                                        ; -- End function
	.set _ZN2at6native12_GLOBAL__N_130CatArrayBatchedCopy_vectorizedINS1_10OpaqueTypeILj16EEEjLi1ELi128ELi1ELi16ELi1EEEvPcNS1_25CatArrInputTensorMetadataIT_T0_XT2_EXT3_EEENS1_16TensorSizeStrideIS8_Lj4EEEiS8_.num_vgpr, 10
	.set _ZN2at6native12_GLOBAL__N_130CatArrayBatchedCopy_vectorizedINS1_10OpaqueTypeILj16EEEjLi1ELi128ELi1ELi16ELi1EEEvPcNS1_25CatArrInputTensorMetadataIT_T0_XT2_EXT3_EEENS1_16TensorSizeStrideIS8_Lj4EEEiS8_.num_agpr, 0
	.set _ZN2at6native12_GLOBAL__N_130CatArrayBatchedCopy_vectorizedINS1_10OpaqueTypeILj16EEEjLi1ELi128ELi1ELi16ELi1EEEvPcNS1_25CatArrInputTensorMetadataIT_T0_XT2_EXT3_EEENS1_16TensorSizeStrideIS8_Lj4EEEiS8_.numbered_sgpr, 16
	.set _ZN2at6native12_GLOBAL__N_130CatArrayBatchedCopy_vectorizedINS1_10OpaqueTypeILj16EEEjLi1ELi128ELi1ELi16ELi1EEEvPcNS1_25CatArrInputTensorMetadataIT_T0_XT2_EXT3_EEENS1_16TensorSizeStrideIS8_Lj4EEEiS8_.num_named_barrier, 0
	.set _ZN2at6native12_GLOBAL__N_130CatArrayBatchedCopy_vectorizedINS1_10OpaqueTypeILj16EEEjLi1ELi128ELi1ELi16ELi1EEEvPcNS1_25CatArrInputTensorMetadataIT_T0_XT2_EXT3_EEENS1_16TensorSizeStrideIS8_Lj4EEEiS8_.private_seg_size, 0
	.set _ZN2at6native12_GLOBAL__N_130CatArrayBatchedCopy_vectorizedINS1_10OpaqueTypeILj16EEEjLi1ELi128ELi1ELi16ELi1EEEvPcNS1_25CatArrInputTensorMetadataIT_T0_XT2_EXT3_EEENS1_16TensorSizeStrideIS8_Lj4EEEiS8_.uses_vcc, 1
	.set _ZN2at6native12_GLOBAL__N_130CatArrayBatchedCopy_vectorizedINS1_10OpaqueTypeILj16EEEjLi1ELi128ELi1ELi16ELi1EEEvPcNS1_25CatArrInputTensorMetadataIT_T0_XT2_EXT3_EEENS1_16TensorSizeStrideIS8_Lj4EEEiS8_.uses_flat_scratch, 0
	.set _ZN2at6native12_GLOBAL__N_130CatArrayBatchedCopy_vectorizedINS1_10OpaqueTypeILj16EEEjLi1ELi128ELi1ELi16ELi1EEEvPcNS1_25CatArrInputTensorMetadataIT_T0_XT2_EXT3_EEENS1_16TensorSizeStrideIS8_Lj4EEEiS8_.has_dyn_sized_stack, 0
	.set _ZN2at6native12_GLOBAL__N_130CatArrayBatchedCopy_vectorizedINS1_10OpaqueTypeILj16EEEjLi1ELi128ELi1ELi16ELi1EEEvPcNS1_25CatArrInputTensorMetadataIT_T0_XT2_EXT3_EEENS1_16TensorSizeStrideIS8_Lj4EEEiS8_.has_recursion, 0
	.set _ZN2at6native12_GLOBAL__N_130CatArrayBatchedCopy_vectorizedINS1_10OpaqueTypeILj16EEEjLi1ELi128ELi1ELi16ELi1EEEvPcNS1_25CatArrInputTensorMetadataIT_T0_XT2_EXT3_EEENS1_16TensorSizeStrideIS8_Lj4EEEiS8_.has_indirect_call, 0
	.section	.AMDGPU.csdata,"",@progbits
; Kernel info:
; codeLenInByte = 360
; TotalNumSgprs: 18
; NumVgprs: 10
; ScratchSize: 0
; MemoryBound: 0
; FloatMode: 240
; IeeeMode: 1
; LDSByteSize: 0 bytes/workgroup (compile time only)
; SGPRBlocks: 0
; VGPRBlocks: 1
; NumSGPRsForWavesPerEU: 18
; NumVGPRsForWavesPerEU: 10
; Occupancy: 16
; WaveLimiterHint : 1
; COMPUTE_PGM_RSRC2:SCRATCH_EN: 0
; COMPUTE_PGM_RSRC2:USER_SGPR: 6
; COMPUTE_PGM_RSRC2:TRAP_HANDLER: 0
; COMPUTE_PGM_RSRC2:TGID_X_EN: 1
; COMPUTE_PGM_RSRC2:TGID_Y_EN: 1
; COMPUTE_PGM_RSRC2:TGID_Z_EN: 0
; COMPUTE_PGM_RSRC2:TIDIG_COMP_CNT: 0
	.section	.text._ZN2at6native12_GLOBAL__N_135CatArrayBatchedCopy_alignedK_contigINS1_10OpaqueTypeILj16EEEjLi1ELi128ELi1ELi16EEEvPT_NS1_25CatArrInputTensorMetadataIS5_T0_XT2_EXT3_EEENS1_16TensorSizeStrideIS8_Lj4EEEiS8_,"axG",@progbits,_ZN2at6native12_GLOBAL__N_135CatArrayBatchedCopy_alignedK_contigINS1_10OpaqueTypeILj16EEEjLi1ELi128ELi1ELi16EEEvPT_NS1_25CatArrInputTensorMetadataIS5_T0_XT2_EXT3_EEENS1_16TensorSizeStrideIS8_Lj4EEEiS8_,comdat
	.globl	_ZN2at6native12_GLOBAL__N_135CatArrayBatchedCopy_alignedK_contigINS1_10OpaqueTypeILj16EEEjLi1ELi128ELi1ELi16EEEvPT_NS1_25CatArrInputTensorMetadataIS5_T0_XT2_EXT3_EEENS1_16TensorSizeStrideIS8_Lj4EEEiS8_ ; -- Begin function _ZN2at6native12_GLOBAL__N_135CatArrayBatchedCopy_alignedK_contigINS1_10OpaqueTypeILj16EEEjLi1ELi128ELi1ELi16EEEvPT_NS1_25CatArrInputTensorMetadataIS5_T0_XT2_EXT3_EEENS1_16TensorSizeStrideIS8_Lj4EEEiS8_
	.p2align	8
	.type	_ZN2at6native12_GLOBAL__N_135CatArrayBatchedCopy_alignedK_contigINS1_10OpaqueTypeILj16EEEjLi1ELi128ELi1ELi16EEEvPT_NS1_25CatArrInputTensorMetadataIS5_T0_XT2_EXT3_EEENS1_16TensorSizeStrideIS8_Lj4EEEiS8_,@function
_ZN2at6native12_GLOBAL__N_135CatArrayBatchedCopy_alignedK_contigINS1_10OpaqueTypeILj16EEEjLi1ELi128ELi1ELi16EEEvPT_NS1_25CatArrInputTensorMetadataIS5_T0_XT2_EXT3_EEENS1_16TensorSizeStrideIS8_Lj4EEEiS8_: ; @_ZN2at6native12_GLOBAL__N_135CatArrayBatchedCopy_alignedK_contigINS1_10OpaqueTypeILj16EEEjLi1ELi128ELi1ELi16EEEvPT_NS1_25CatArrInputTensorMetadataIS5_T0_XT2_EXT3_EEENS1_16TensorSizeStrideIS8_Lj4EEEiS8_
; %bb.0:
	s_mov_b32 s0, s7
	s_load_dword s7, s[4:5], 0xadc
	s_mov_b32 s1, 0
	s_add_u32 s2, s4, 0xad0
	s_addc_u32 s3, s5, 0
	s_lshl_b64 s[8:9], s[0:1], 2
	s_mov_b32 s11, exec_lo
	s_waitcnt lgkmcnt(0)
	s_and_b32 s0, s7, 0xffff
	s_add_u32 s12, s4, s8
	s_addc_u32 s13, s5, s9
	v_mad_u64_u32 v[0:1], null, s6, s0, v[0:1]
	s_load_dword s10, s[12:13], 0x808
	s_add_u32 s6, s12, 8
	s_addc_u32 s7, s13, 0
	s_waitcnt lgkmcnt(0)
	v_cmpx_gt_u32_e64 s10, v0
	s_cbranch_execz .LBB81_6
; %bb.1:
	s_add_u32 s12, s6, s8
	s_addc_u32 s13, s7, s9
	s_sub_u32 s8, 0, s8
	s_clause 0x1
	s_load_dwordx2 s[6:7], s[12:13], 0x0
	s_load_dword s11, s[4:5], 0xab8
	s_subb_u32 s9, 0, s9
	s_add_u32 s8, s12, s8
	s_addc_u32 s9, s13, s9
	s_clause 0x1
	s_load_dword s12, s[4:5], 0xacc
	s_load_dword s8, s[8:9], 0x400
	;; [unrolled: 1-line block ×3, first 2 shown]
	s_load_dwordx2 s[2:3], s[4:5], 0x0
	s_waitcnt lgkmcnt(0)
	v_mul_lo_u32 v1, s11, v0
	s_mul_i32 s4, s9, s0
	s_mul_i32 s5, s4, s11
	v_mad_u64_u32 v[2:3], null, s8, s12, v[1:2]
	v_mov_b32_e32 v1, 0
	.p2align	6
.LBB81_2:                               ; =>This Inner Loop Header: Depth=1
	v_lshlrev_b64 v[3:4], 4, v[0:1]
	v_add_nc_u32_e32 v0, s4, v0
	v_add_nc_u32_e32 v10, 1, v0
	v_add_co_u32 v3, vcc_lo, s6, v3
	v_add_co_ci_u32_e64 v4, null, s7, v4, vcc_lo
	v_cmp_lt_u32_e32 vcc_lo, s10, v10
	global_load_dwordx4 v[4:7], v[3:4], off
	v_mov_b32_e32 v3, v1
	s_or_b32 s1, vcc_lo, s1
	v_lshlrev_b64 v[8:9], 4, v[2:3]
	v_add_nc_u32_e32 v2, s5, v2
	v_add_co_u32 v8, s0, s2, v8
	v_add_co_ci_u32_e64 v9, null, s3, v9, s0
	s_waitcnt vmcnt(0)
	global_store_dwordx4 v[8:9], v[4:7], off
	s_andn2_b32 exec_lo, exec_lo, s1
	s_cbranch_execnz .LBB81_2
; %bb.3:
	s_or_b32 exec_lo, exec_lo, s1
	v_cmp_gt_u32_e32 vcc_lo, s10, v0
	s_and_b32 exec_lo, exec_lo, vcc_lo
	s_cbranch_execz .LBB81_6
; %bb.4:
	v_mov_b32_e32 v3, 0
	s_mov_b32 s1, 0
	v_mov_b32_e32 v1, v3
	v_lshlrev_b64 v[4:5], 4, v[0:1]
	v_add_co_u32 v4, vcc_lo, s6, v4
	v_add_co_ci_u32_e64 v5, null, s7, v5, vcc_lo
	.p2align	6
.LBB81_5:                               ; =>This Inner Loop Header: Depth=1
	global_load_dwordx4 v[6:9], v[4:5], off
	v_lshlrev_b64 v[10:11], 4, v[2:3]
	v_add_nc_u32_e32 v0, 1, v0
	v_add_co_u32 v4, vcc_lo, v4, 16
	v_add_co_ci_u32_e64 v5, null, 0, v5, vcc_lo
	v_cmp_le_u32_e32 vcc_lo, s10, v0
	v_add_co_u32 v10, s0, s2, v10
	v_add_co_ci_u32_e64 v11, null, s3, v11, s0
	v_add_nc_u32_e32 v2, s11, v2
	s_or_b32 s1, vcc_lo, s1
	s_waitcnt vmcnt(0)
	global_store_dwordx4 v[10:11], v[6:9], off
	s_andn2_b32 exec_lo, exec_lo, s1
	s_cbranch_execnz .LBB81_5
.LBB81_6:
	s_endpgm
	.section	.rodata,"a",@progbits
	.p2align	6, 0x0
	.amdhsa_kernel _ZN2at6native12_GLOBAL__N_135CatArrayBatchedCopy_alignedK_contigINS1_10OpaqueTypeILj16EEEjLi1ELi128ELi1ELi16EEEvPT_NS1_25CatArrInputTensorMetadataIS5_T0_XT2_EXT3_EEENS1_16TensorSizeStrideIS8_Lj4EEEiS8_
		.amdhsa_group_segment_fixed_size 0
		.amdhsa_private_segment_fixed_size 0
		.amdhsa_kernarg_size 3024
		.amdhsa_user_sgpr_count 6
		.amdhsa_user_sgpr_private_segment_buffer 1
		.amdhsa_user_sgpr_dispatch_ptr 0
		.amdhsa_user_sgpr_queue_ptr 0
		.amdhsa_user_sgpr_kernarg_segment_ptr 1
		.amdhsa_user_sgpr_dispatch_id 0
		.amdhsa_user_sgpr_flat_scratch_init 0
		.amdhsa_user_sgpr_private_segment_size 0
		.amdhsa_wavefront_size32 1
		.amdhsa_uses_dynamic_stack 0
		.amdhsa_system_sgpr_private_segment_wavefront_offset 0
		.amdhsa_system_sgpr_workgroup_id_x 1
		.amdhsa_system_sgpr_workgroup_id_y 1
		.amdhsa_system_sgpr_workgroup_id_z 0
		.amdhsa_system_sgpr_workgroup_info 0
		.amdhsa_system_vgpr_workitem_id 0
		.amdhsa_next_free_vgpr 12
		.amdhsa_next_free_sgpr 14
		.amdhsa_reserve_vcc 1
		.amdhsa_reserve_flat_scratch 0
		.amdhsa_float_round_mode_32 0
		.amdhsa_float_round_mode_16_64 0
		.amdhsa_float_denorm_mode_32 3
		.amdhsa_float_denorm_mode_16_64 3
		.amdhsa_dx10_clamp 1
		.amdhsa_ieee_mode 1
		.amdhsa_fp16_overflow 0
		.amdhsa_workgroup_processor_mode 1
		.amdhsa_memory_ordered 1
		.amdhsa_forward_progress 1
		.amdhsa_shared_vgpr_count 0
		.amdhsa_exception_fp_ieee_invalid_op 0
		.amdhsa_exception_fp_denorm_src 0
		.amdhsa_exception_fp_ieee_div_zero 0
		.amdhsa_exception_fp_ieee_overflow 0
		.amdhsa_exception_fp_ieee_underflow 0
		.amdhsa_exception_fp_ieee_inexact 0
		.amdhsa_exception_int_div_zero 0
	.end_amdhsa_kernel
	.section	.text._ZN2at6native12_GLOBAL__N_135CatArrayBatchedCopy_alignedK_contigINS1_10OpaqueTypeILj16EEEjLi1ELi128ELi1ELi16EEEvPT_NS1_25CatArrInputTensorMetadataIS5_T0_XT2_EXT3_EEENS1_16TensorSizeStrideIS8_Lj4EEEiS8_,"axG",@progbits,_ZN2at6native12_GLOBAL__N_135CatArrayBatchedCopy_alignedK_contigINS1_10OpaqueTypeILj16EEEjLi1ELi128ELi1ELi16EEEvPT_NS1_25CatArrInputTensorMetadataIS5_T0_XT2_EXT3_EEENS1_16TensorSizeStrideIS8_Lj4EEEiS8_,comdat
.Lfunc_end81:
	.size	_ZN2at6native12_GLOBAL__N_135CatArrayBatchedCopy_alignedK_contigINS1_10OpaqueTypeILj16EEEjLi1ELi128ELi1ELi16EEEvPT_NS1_25CatArrInputTensorMetadataIS5_T0_XT2_EXT3_EEENS1_16TensorSizeStrideIS8_Lj4EEEiS8_, .Lfunc_end81-_ZN2at6native12_GLOBAL__N_135CatArrayBatchedCopy_alignedK_contigINS1_10OpaqueTypeILj16EEEjLi1ELi128ELi1ELi16EEEvPT_NS1_25CatArrInputTensorMetadataIS5_T0_XT2_EXT3_EEENS1_16TensorSizeStrideIS8_Lj4EEEiS8_
                                        ; -- End function
	.set _ZN2at6native12_GLOBAL__N_135CatArrayBatchedCopy_alignedK_contigINS1_10OpaqueTypeILj16EEEjLi1ELi128ELi1ELi16EEEvPT_NS1_25CatArrInputTensorMetadataIS5_T0_XT2_EXT3_EEENS1_16TensorSizeStrideIS8_Lj4EEEiS8_.num_vgpr, 12
	.set _ZN2at6native12_GLOBAL__N_135CatArrayBatchedCopy_alignedK_contigINS1_10OpaqueTypeILj16EEEjLi1ELi128ELi1ELi16EEEvPT_NS1_25CatArrInputTensorMetadataIS5_T0_XT2_EXT3_EEENS1_16TensorSizeStrideIS8_Lj4EEEiS8_.num_agpr, 0
	.set _ZN2at6native12_GLOBAL__N_135CatArrayBatchedCopy_alignedK_contigINS1_10OpaqueTypeILj16EEEjLi1ELi128ELi1ELi16EEEvPT_NS1_25CatArrInputTensorMetadataIS5_T0_XT2_EXT3_EEENS1_16TensorSizeStrideIS8_Lj4EEEiS8_.numbered_sgpr, 14
	.set _ZN2at6native12_GLOBAL__N_135CatArrayBatchedCopy_alignedK_contigINS1_10OpaqueTypeILj16EEEjLi1ELi128ELi1ELi16EEEvPT_NS1_25CatArrInputTensorMetadataIS5_T0_XT2_EXT3_EEENS1_16TensorSizeStrideIS8_Lj4EEEiS8_.num_named_barrier, 0
	.set _ZN2at6native12_GLOBAL__N_135CatArrayBatchedCopy_alignedK_contigINS1_10OpaqueTypeILj16EEEjLi1ELi128ELi1ELi16EEEvPT_NS1_25CatArrInputTensorMetadataIS5_T0_XT2_EXT3_EEENS1_16TensorSizeStrideIS8_Lj4EEEiS8_.private_seg_size, 0
	.set _ZN2at6native12_GLOBAL__N_135CatArrayBatchedCopy_alignedK_contigINS1_10OpaqueTypeILj16EEEjLi1ELi128ELi1ELi16EEEvPT_NS1_25CatArrInputTensorMetadataIS5_T0_XT2_EXT3_EEENS1_16TensorSizeStrideIS8_Lj4EEEiS8_.uses_vcc, 1
	.set _ZN2at6native12_GLOBAL__N_135CatArrayBatchedCopy_alignedK_contigINS1_10OpaqueTypeILj16EEEjLi1ELi128ELi1ELi16EEEvPT_NS1_25CatArrInputTensorMetadataIS5_T0_XT2_EXT3_EEENS1_16TensorSizeStrideIS8_Lj4EEEiS8_.uses_flat_scratch, 0
	.set _ZN2at6native12_GLOBAL__N_135CatArrayBatchedCopy_alignedK_contigINS1_10OpaqueTypeILj16EEEjLi1ELi128ELi1ELi16EEEvPT_NS1_25CatArrInputTensorMetadataIS5_T0_XT2_EXT3_EEENS1_16TensorSizeStrideIS8_Lj4EEEiS8_.has_dyn_sized_stack, 0
	.set _ZN2at6native12_GLOBAL__N_135CatArrayBatchedCopy_alignedK_contigINS1_10OpaqueTypeILj16EEEjLi1ELi128ELi1ELi16EEEvPT_NS1_25CatArrInputTensorMetadataIS5_T0_XT2_EXT3_EEENS1_16TensorSizeStrideIS8_Lj4EEEiS8_.has_recursion, 0
	.set _ZN2at6native12_GLOBAL__N_135CatArrayBatchedCopy_alignedK_contigINS1_10OpaqueTypeILj16EEEjLi1ELi128ELi1ELi16EEEvPT_NS1_25CatArrInputTensorMetadataIS5_T0_XT2_EXT3_EEENS1_16TensorSizeStrideIS8_Lj4EEEiS8_.has_indirect_call, 0
	.section	.AMDGPU.csdata,"",@progbits
; Kernel info:
; codeLenInByte = 536
; TotalNumSgprs: 16
; NumVgprs: 12
; ScratchSize: 0
; MemoryBound: 0
; FloatMode: 240
; IeeeMode: 1
; LDSByteSize: 0 bytes/workgroup (compile time only)
; SGPRBlocks: 0
; VGPRBlocks: 1
; NumSGPRsForWavesPerEU: 16
; NumVGPRsForWavesPerEU: 12
; Occupancy: 16
; WaveLimiterHint : 1
; COMPUTE_PGM_RSRC2:SCRATCH_EN: 0
; COMPUTE_PGM_RSRC2:USER_SGPR: 6
; COMPUTE_PGM_RSRC2:TRAP_HANDLER: 0
; COMPUTE_PGM_RSRC2:TGID_X_EN: 1
; COMPUTE_PGM_RSRC2:TGID_Y_EN: 1
; COMPUTE_PGM_RSRC2:TGID_Z_EN: 0
; COMPUTE_PGM_RSRC2:TIDIG_COMP_CNT: 0
	.section	.text._ZN2at6native12_GLOBAL__N_135CatArrayBatchedCopy_alignedK_contigINS1_10OpaqueTypeILj16EEEjLi1ELi128ELi1ELi8EEEvPT_NS1_25CatArrInputTensorMetadataIS5_T0_XT2_EXT3_EEENS1_16TensorSizeStrideIS8_Lj4EEEiS8_,"axG",@progbits,_ZN2at6native12_GLOBAL__N_135CatArrayBatchedCopy_alignedK_contigINS1_10OpaqueTypeILj16EEEjLi1ELi128ELi1ELi8EEEvPT_NS1_25CatArrInputTensorMetadataIS5_T0_XT2_EXT3_EEENS1_16TensorSizeStrideIS8_Lj4EEEiS8_,comdat
	.globl	_ZN2at6native12_GLOBAL__N_135CatArrayBatchedCopy_alignedK_contigINS1_10OpaqueTypeILj16EEEjLi1ELi128ELi1ELi8EEEvPT_NS1_25CatArrInputTensorMetadataIS5_T0_XT2_EXT3_EEENS1_16TensorSizeStrideIS8_Lj4EEEiS8_ ; -- Begin function _ZN2at6native12_GLOBAL__N_135CatArrayBatchedCopy_alignedK_contigINS1_10OpaqueTypeILj16EEEjLi1ELi128ELi1ELi8EEEvPT_NS1_25CatArrInputTensorMetadataIS5_T0_XT2_EXT3_EEENS1_16TensorSizeStrideIS8_Lj4EEEiS8_
	.p2align	8
	.type	_ZN2at6native12_GLOBAL__N_135CatArrayBatchedCopy_alignedK_contigINS1_10OpaqueTypeILj16EEEjLi1ELi128ELi1ELi8EEEvPT_NS1_25CatArrInputTensorMetadataIS5_T0_XT2_EXT3_EEENS1_16TensorSizeStrideIS8_Lj4EEEiS8_,@function
_ZN2at6native12_GLOBAL__N_135CatArrayBatchedCopy_alignedK_contigINS1_10OpaqueTypeILj16EEEjLi1ELi128ELi1ELi8EEEvPT_NS1_25CatArrInputTensorMetadataIS5_T0_XT2_EXT3_EEENS1_16TensorSizeStrideIS8_Lj4EEEiS8_: ; @_ZN2at6native12_GLOBAL__N_135CatArrayBatchedCopy_alignedK_contigINS1_10OpaqueTypeILj16EEEjLi1ELi128ELi1ELi8EEEvPT_NS1_25CatArrInputTensorMetadataIS5_T0_XT2_EXT3_EEENS1_16TensorSizeStrideIS8_Lj4EEEiS8_
; %bb.0:
	s_mov_b32 s0, s7
	s_load_dword s7, s[4:5], 0xadc
	s_mov_b32 s1, 0
	s_add_u32 s2, s4, 0xad0
	s_addc_u32 s3, s5, 0
	s_lshl_b64 s[8:9], s[0:1], 2
	s_mov_b32 s11, exec_lo
	s_waitcnt lgkmcnt(0)
	s_and_b32 s0, s7, 0xffff
	s_add_u32 s12, s4, s8
	s_addc_u32 s13, s5, s9
	v_mad_u64_u32 v[0:1], null, s6, s0, v[0:1]
	s_load_dword s10, s[12:13], 0x808
	s_add_u32 s6, s12, 8
	s_addc_u32 s7, s13, 0
	s_waitcnt lgkmcnt(0)
	v_cmpx_gt_u32_e64 s10, v0
	s_cbranch_execz .LBB82_6
; %bb.1:
	s_add_u32 s12, s6, s8
	s_addc_u32 s13, s7, s9
	s_sub_u32 s8, 0, s8
	s_clause 0x1
	s_load_dwordx2 s[6:7], s[12:13], 0x0
	s_load_dword s11, s[4:5], 0xab8
	s_subb_u32 s9, 0, s9
	s_add_u32 s8, s12, s8
	s_addc_u32 s9, s13, s9
	s_clause 0x1
	s_load_dword s12, s[4:5], 0xacc
	s_load_dword s8, s[8:9], 0x400
	;; [unrolled: 1-line block ×3, first 2 shown]
	s_load_dwordx2 s[2:3], s[4:5], 0x0
	s_waitcnt lgkmcnt(0)
	v_mul_lo_u32 v1, s11, v0
	s_mul_i32 s4, s9, s0
	s_mul_i32 s5, s4, s11
	v_mad_u64_u32 v[2:3], null, s8, s12, v[1:2]
	v_mov_b32_e32 v1, 0
	.p2align	6
.LBB82_2:                               ; =>This Inner Loop Header: Depth=1
	v_lshlrev_b64 v[3:4], 4, v[0:1]
	v_add_nc_u32_e32 v0, s4, v0
	v_add_nc_u32_e32 v10, 1, v0
	v_add_co_u32 v3, vcc_lo, s6, v3
	v_add_co_ci_u32_e64 v4, null, s7, v4, vcc_lo
	v_cmp_lt_u32_e32 vcc_lo, s10, v10
	global_load_dwordx4 v[4:7], v[3:4], off
	v_mov_b32_e32 v3, v1
	s_or_b32 s1, vcc_lo, s1
	v_lshlrev_b64 v[8:9], 4, v[2:3]
	v_add_nc_u32_e32 v2, s5, v2
	v_add_co_u32 v8, s0, s2, v8
	v_add_co_ci_u32_e64 v9, null, s3, v9, s0
	s_waitcnt vmcnt(0)
	global_store_dwordx4 v[8:9], v[4:7], off
	s_andn2_b32 exec_lo, exec_lo, s1
	s_cbranch_execnz .LBB82_2
; %bb.3:
	s_or_b32 exec_lo, exec_lo, s1
	v_cmp_gt_u32_e32 vcc_lo, s10, v0
	s_and_b32 exec_lo, exec_lo, vcc_lo
	s_cbranch_execz .LBB82_6
; %bb.4:
	v_mov_b32_e32 v3, 0
	s_mov_b32 s1, 0
	v_mov_b32_e32 v1, v3
	v_lshlrev_b64 v[4:5], 4, v[0:1]
	v_add_co_u32 v4, vcc_lo, s6, v4
	v_add_co_ci_u32_e64 v5, null, s7, v5, vcc_lo
	.p2align	6
.LBB82_5:                               ; =>This Inner Loop Header: Depth=1
	global_load_dwordx4 v[6:9], v[4:5], off
	v_lshlrev_b64 v[10:11], 4, v[2:3]
	v_add_nc_u32_e32 v0, 1, v0
	v_add_co_u32 v4, vcc_lo, v4, 16
	v_add_co_ci_u32_e64 v5, null, 0, v5, vcc_lo
	v_cmp_le_u32_e32 vcc_lo, s10, v0
	v_add_co_u32 v10, s0, s2, v10
	v_add_co_ci_u32_e64 v11, null, s3, v11, s0
	v_add_nc_u32_e32 v2, s11, v2
	s_or_b32 s1, vcc_lo, s1
	s_waitcnt vmcnt(0)
	global_store_dwordx4 v[10:11], v[6:9], off
	s_andn2_b32 exec_lo, exec_lo, s1
	s_cbranch_execnz .LBB82_5
.LBB82_6:
	s_endpgm
	.section	.rodata,"a",@progbits
	.p2align	6, 0x0
	.amdhsa_kernel _ZN2at6native12_GLOBAL__N_135CatArrayBatchedCopy_alignedK_contigINS1_10OpaqueTypeILj16EEEjLi1ELi128ELi1ELi8EEEvPT_NS1_25CatArrInputTensorMetadataIS5_T0_XT2_EXT3_EEENS1_16TensorSizeStrideIS8_Lj4EEEiS8_
		.amdhsa_group_segment_fixed_size 0
		.amdhsa_private_segment_fixed_size 0
		.amdhsa_kernarg_size 3024
		.amdhsa_user_sgpr_count 6
		.amdhsa_user_sgpr_private_segment_buffer 1
		.amdhsa_user_sgpr_dispatch_ptr 0
		.amdhsa_user_sgpr_queue_ptr 0
		.amdhsa_user_sgpr_kernarg_segment_ptr 1
		.amdhsa_user_sgpr_dispatch_id 0
		.amdhsa_user_sgpr_flat_scratch_init 0
		.amdhsa_user_sgpr_private_segment_size 0
		.amdhsa_wavefront_size32 1
		.amdhsa_uses_dynamic_stack 0
		.amdhsa_system_sgpr_private_segment_wavefront_offset 0
		.amdhsa_system_sgpr_workgroup_id_x 1
		.amdhsa_system_sgpr_workgroup_id_y 1
		.amdhsa_system_sgpr_workgroup_id_z 0
		.amdhsa_system_sgpr_workgroup_info 0
		.amdhsa_system_vgpr_workitem_id 0
		.amdhsa_next_free_vgpr 12
		.amdhsa_next_free_sgpr 14
		.amdhsa_reserve_vcc 1
		.amdhsa_reserve_flat_scratch 0
		.amdhsa_float_round_mode_32 0
		.amdhsa_float_round_mode_16_64 0
		.amdhsa_float_denorm_mode_32 3
		.amdhsa_float_denorm_mode_16_64 3
		.amdhsa_dx10_clamp 1
		.amdhsa_ieee_mode 1
		.amdhsa_fp16_overflow 0
		.amdhsa_workgroup_processor_mode 1
		.amdhsa_memory_ordered 1
		.amdhsa_forward_progress 1
		.amdhsa_shared_vgpr_count 0
		.amdhsa_exception_fp_ieee_invalid_op 0
		.amdhsa_exception_fp_denorm_src 0
		.amdhsa_exception_fp_ieee_div_zero 0
		.amdhsa_exception_fp_ieee_overflow 0
		.amdhsa_exception_fp_ieee_underflow 0
		.amdhsa_exception_fp_ieee_inexact 0
		.amdhsa_exception_int_div_zero 0
	.end_amdhsa_kernel
	.section	.text._ZN2at6native12_GLOBAL__N_135CatArrayBatchedCopy_alignedK_contigINS1_10OpaqueTypeILj16EEEjLi1ELi128ELi1ELi8EEEvPT_NS1_25CatArrInputTensorMetadataIS5_T0_XT2_EXT3_EEENS1_16TensorSizeStrideIS8_Lj4EEEiS8_,"axG",@progbits,_ZN2at6native12_GLOBAL__N_135CatArrayBatchedCopy_alignedK_contigINS1_10OpaqueTypeILj16EEEjLi1ELi128ELi1ELi8EEEvPT_NS1_25CatArrInputTensorMetadataIS5_T0_XT2_EXT3_EEENS1_16TensorSizeStrideIS8_Lj4EEEiS8_,comdat
.Lfunc_end82:
	.size	_ZN2at6native12_GLOBAL__N_135CatArrayBatchedCopy_alignedK_contigINS1_10OpaqueTypeILj16EEEjLi1ELi128ELi1ELi8EEEvPT_NS1_25CatArrInputTensorMetadataIS5_T0_XT2_EXT3_EEENS1_16TensorSizeStrideIS8_Lj4EEEiS8_, .Lfunc_end82-_ZN2at6native12_GLOBAL__N_135CatArrayBatchedCopy_alignedK_contigINS1_10OpaqueTypeILj16EEEjLi1ELi128ELi1ELi8EEEvPT_NS1_25CatArrInputTensorMetadataIS5_T0_XT2_EXT3_EEENS1_16TensorSizeStrideIS8_Lj4EEEiS8_
                                        ; -- End function
	.set _ZN2at6native12_GLOBAL__N_135CatArrayBatchedCopy_alignedK_contigINS1_10OpaqueTypeILj16EEEjLi1ELi128ELi1ELi8EEEvPT_NS1_25CatArrInputTensorMetadataIS5_T0_XT2_EXT3_EEENS1_16TensorSizeStrideIS8_Lj4EEEiS8_.num_vgpr, 12
	.set _ZN2at6native12_GLOBAL__N_135CatArrayBatchedCopy_alignedK_contigINS1_10OpaqueTypeILj16EEEjLi1ELi128ELi1ELi8EEEvPT_NS1_25CatArrInputTensorMetadataIS5_T0_XT2_EXT3_EEENS1_16TensorSizeStrideIS8_Lj4EEEiS8_.num_agpr, 0
	.set _ZN2at6native12_GLOBAL__N_135CatArrayBatchedCopy_alignedK_contigINS1_10OpaqueTypeILj16EEEjLi1ELi128ELi1ELi8EEEvPT_NS1_25CatArrInputTensorMetadataIS5_T0_XT2_EXT3_EEENS1_16TensorSizeStrideIS8_Lj4EEEiS8_.numbered_sgpr, 14
	.set _ZN2at6native12_GLOBAL__N_135CatArrayBatchedCopy_alignedK_contigINS1_10OpaqueTypeILj16EEEjLi1ELi128ELi1ELi8EEEvPT_NS1_25CatArrInputTensorMetadataIS5_T0_XT2_EXT3_EEENS1_16TensorSizeStrideIS8_Lj4EEEiS8_.num_named_barrier, 0
	.set _ZN2at6native12_GLOBAL__N_135CatArrayBatchedCopy_alignedK_contigINS1_10OpaqueTypeILj16EEEjLi1ELi128ELi1ELi8EEEvPT_NS1_25CatArrInputTensorMetadataIS5_T0_XT2_EXT3_EEENS1_16TensorSizeStrideIS8_Lj4EEEiS8_.private_seg_size, 0
	.set _ZN2at6native12_GLOBAL__N_135CatArrayBatchedCopy_alignedK_contigINS1_10OpaqueTypeILj16EEEjLi1ELi128ELi1ELi8EEEvPT_NS1_25CatArrInputTensorMetadataIS5_T0_XT2_EXT3_EEENS1_16TensorSizeStrideIS8_Lj4EEEiS8_.uses_vcc, 1
	.set _ZN2at6native12_GLOBAL__N_135CatArrayBatchedCopy_alignedK_contigINS1_10OpaqueTypeILj16EEEjLi1ELi128ELi1ELi8EEEvPT_NS1_25CatArrInputTensorMetadataIS5_T0_XT2_EXT3_EEENS1_16TensorSizeStrideIS8_Lj4EEEiS8_.uses_flat_scratch, 0
	.set _ZN2at6native12_GLOBAL__N_135CatArrayBatchedCopy_alignedK_contigINS1_10OpaqueTypeILj16EEEjLi1ELi128ELi1ELi8EEEvPT_NS1_25CatArrInputTensorMetadataIS5_T0_XT2_EXT3_EEENS1_16TensorSizeStrideIS8_Lj4EEEiS8_.has_dyn_sized_stack, 0
	.set _ZN2at6native12_GLOBAL__N_135CatArrayBatchedCopy_alignedK_contigINS1_10OpaqueTypeILj16EEEjLi1ELi128ELi1ELi8EEEvPT_NS1_25CatArrInputTensorMetadataIS5_T0_XT2_EXT3_EEENS1_16TensorSizeStrideIS8_Lj4EEEiS8_.has_recursion, 0
	.set _ZN2at6native12_GLOBAL__N_135CatArrayBatchedCopy_alignedK_contigINS1_10OpaqueTypeILj16EEEjLi1ELi128ELi1ELi8EEEvPT_NS1_25CatArrInputTensorMetadataIS5_T0_XT2_EXT3_EEENS1_16TensorSizeStrideIS8_Lj4EEEiS8_.has_indirect_call, 0
	.section	.AMDGPU.csdata,"",@progbits
; Kernel info:
; codeLenInByte = 536
; TotalNumSgprs: 16
; NumVgprs: 12
; ScratchSize: 0
; MemoryBound: 0
; FloatMode: 240
; IeeeMode: 1
; LDSByteSize: 0 bytes/workgroup (compile time only)
; SGPRBlocks: 0
; VGPRBlocks: 1
; NumSGPRsForWavesPerEU: 16
; NumVGPRsForWavesPerEU: 12
; Occupancy: 16
; WaveLimiterHint : 1
; COMPUTE_PGM_RSRC2:SCRATCH_EN: 0
; COMPUTE_PGM_RSRC2:USER_SGPR: 6
; COMPUTE_PGM_RSRC2:TRAP_HANDLER: 0
; COMPUTE_PGM_RSRC2:TGID_X_EN: 1
; COMPUTE_PGM_RSRC2:TGID_Y_EN: 1
; COMPUTE_PGM_RSRC2:TGID_Z_EN: 0
; COMPUTE_PGM_RSRC2:TIDIG_COMP_CNT: 0
	.section	.text._ZN2at6native12_GLOBAL__N_126CatArrayBatchedCopy_contigINS1_10OpaqueTypeILj16EEEjLi1ELi128ELi1EEEvPT_NS1_25CatArrInputTensorMetadataIS5_T0_XT2_EXT3_EEENS1_16TensorSizeStrideIS8_Lj4EEEiS8_,"axG",@progbits,_ZN2at6native12_GLOBAL__N_126CatArrayBatchedCopy_contigINS1_10OpaqueTypeILj16EEEjLi1ELi128ELi1EEEvPT_NS1_25CatArrInputTensorMetadataIS5_T0_XT2_EXT3_EEENS1_16TensorSizeStrideIS8_Lj4EEEiS8_,comdat
	.globl	_ZN2at6native12_GLOBAL__N_126CatArrayBatchedCopy_contigINS1_10OpaqueTypeILj16EEEjLi1ELi128ELi1EEEvPT_NS1_25CatArrInputTensorMetadataIS5_T0_XT2_EXT3_EEENS1_16TensorSizeStrideIS8_Lj4EEEiS8_ ; -- Begin function _ZN2at6native12_GLOBAL__N_126CatArrayBatchedCopy_contigINS1_10OpaqueTypeILj16EEEjLi1ELi128ELi1EEEvPT_NS1_25CatArrInputTensorMetadataIS5_T0_XT2_EXT3_EEENS1_16TensorSizeStrideIS8_Lj4EEEiS8_
	.p2align	8
	.type	_ZN2at6native12_GLOBAL__N_126CatArrayBatchedCopy_contigINS1_10OpaqueTypeILj16EEEjLi1ELi128ELi1EEEvPT_NS1_25CatArrInputTensorMetadataIS5_T0_XT2_EXT3_EEENS1_16TensorSizeStrideIS8_Lj4EEEiS8_,@function
_ZN2at6native12_GLOBAL__N_126CatArrayBatchedCopy_contigINS1_10OpaqueTypeILj16EEEjLi1ELi128ELi1EEEvPT_NS1_25CatArrInputTensorMetadataIS5_T0_XT2_EXT3_EEENS1_16TensorSizeStrideIS8_Lj4EEEiS8_: ; @_ZN2at6native12_GLOBAL__N_126CatArrayBatchedCopy_contigINS1_10OpaqueTypeILj16EEEjLi1ELi128ELi1EEEvPT_NS1_25CatArrInputTensorMetadataIS5_T0_XT2_EXT3_EEENS1_16TensorSizeStrideIS8_Lj4EEEiS8_
; %bb.0:
	s_load_dword s2, s[4:5], 0xadc
	s_mov_b32 s0, s7
	s_mov_b32 s1, 0
	s_add_u32 s8, s4, 0xad0
	s_addc_u32 s9, s5, 0
	s_lshl_b64 s[10:11], s[0:1], 2
	s_waitcnt lgkmcnt(0)
	s_and_b32 s0, s2, 0xffff
	s_add_u32 s2, s4, s10
	s_addc_u32 s3, s5, s11
	v_mad_u64_u32 v[0:1], null, s6, s0, v[0:1]
	s_load_dword s7, s[2:3], 0x808
	s_add_u32 s2, s2, 8
	s_addc_u32 s3, s3, 0
	s_mov_b32 s6, exec_lo
	s_waitcnt lgkmcnt(0)
	v_cmpx_gt_u32_e64 s7, v0
	s_cbranch_execz .LBB83_3
; %bb.1:
	s_add_u32 s12, s2, s10
	s_addc_u32 s13, s3, s11
	s_sub_u32 s6, 0, s10
	s_clause 0x1
	s_load_dwordx2 s[2:3], s[12:13], 0x0
	s_load_dword s14, s[4:5], 0xab8
	s_subb_u32 s11, 0, s11
	s_add_u32 s10, s12, s6
	s_addc_u32 s11, s13, s11
	s_clause 0x1
	s_load_dword s6, s[4:5], 0xacc
	s_load_dword s10, s[10:11], 0x400
	;; [unrolled: 1-line block ×3, first 2 shown]
	s_load_dwordx2 s[4:5], s[4:5], 0x0
	s_waitcnt lgkmcnt(0)
	v_mul_lo_u32 v1, s14, v0
	v_mad_u64_u32 v[2:3], null, s10, s6, v[1:2]
	v_mov_b32_e32 v1, 0
	s_mul_i32 s6, s8, s0
	s_mul_i32 s8, s6, s14
	.p2align	6
.LBB83_2:                               ; =>This Inner Loop Header: Depth=1
	v_lshlrev_b64 v[3:4], 4, v[0:1]
	v_add_nc_u32_e32 v0, s6, v0
	v_add_co_u32 v3, vcc_lo, s2, v3
	v_add_co_ci_u32_e64 v4, null, s3, v4, vcc_lo
	v_cmp_le_u32_e32 vcc_lo, s7, v0
	global_load_dwordx4 v[4:7], v[3:4], off
	v_mov_b32_e32 v3, v1
	s_or_b32 s1, vcc_lo, s1
	v_lshlrev_b64 v[8:9], 4, v[2:3]
	v_add_nc_u32_e32 v2, s8, v2
	v_add_co_u32 v8, s0, s4, v8
	v_add_co_ci_u32_e64 v9, null, s5, v9, s0
	s_waitcnt vmcnt(0)
	global_store_dwordx4 v[8:9], v[4:7], off
	s_andn2_b32 exec_lo, exec_lo, s1
	s_cbranch_execnz .LBB83_2
.LBB83_3:
	s_endpgm
	.section	.rodata,"a",@progbits
	.p2align	6, 0x0
	.amdhsa_kernel _ZN2at6native12_GLOBAL__N_126CatArrayBatchedCopy_contigINS1_10OpaqueTypeILj16EEEjLi1ELi128ELi1EEEvPT_NS1_25CatArrInputTensorMetadataIS5_T0_XT2_EXT3_EEENS1_16TensorSizeStrideIS8_Lj4EEEiS8_
		.amdhsa_group_segment_fixed_size 0
		.amdhsa_private_segment_fixed_size 0
		.amdhsa_kernarg_size 3024
		.amdhsa_user_sgpr_count 6
		.amdhsa_user_sgpr_private_segment_buffer 1
		.amdhsa_user_sgpr_dispatch_ptr 0
		.amdhsa_user_sgpr_queue_ptr 0
		.amdhsa_user_sgpr_kernarg_segment_ptr 1
		.amdhsa_user_sgpr_dispatch_id 0
		.amdhsa_user_sgpr_flat_scratch_init 0
		.amdhsa_user_sgpr_private_segment_size 0
		.amdhsa_wavefront_size32 1
		.amdhsa_uses_dynamic_stack 0
		.amdhsa_system_sgpr_private_segment_wavefront_offset 0
		.amdhsa_system_sgpr_workgroup_id_x 1
		.amdhsa_system_sgpr_workgroup_id_y 1
		.amdhsa_system_sgpr_workgroup_id_z 0
		.amdhsa_system_sgpr_workgroup_info 0
		.amdhsa_system_vgpr_workitem_id 0
		.amdhsa_next_free_vgpr 10
		.amdhsa_next_free_sgpr 15
		.amdhsa_reserve_vcc 1
		.amdhsa_reserve_flat_scratch 0
		.amdhsa_float_round_mode_32 0
		.amdhsa_float_round_mode_16_64 0
		.amdhsa_float_denorm_mode_32 3
		.amdhsa_float_denorm_mode_16_64 3
		.amdhsa_dx10_clamp 1
		.amdhsa_ieee_mode 1
		.amdhsa_fp16_overflow 0
		.amdhsa_workgroup_processor_mode 1
		.amdhsa_memory_ordered 1
		.amdhsa_forward_progress 1
		.amdhsa_shared_vgpr_count 0
		.amdhsa_exception_fp_ieee_invalid_op 0
		.amdhsa_exception_fp_denorm_src 0
		.amdhsa_exception_fp_ieee_div_zero 0
		.amdhsa_exception_fp_ieee_overflow 0
		.amdhsa_exception_fp_ieee_underflow 0
		.amdhsa_exception_fp_ieee_inexact 0
		.amdhsa_exception_int_div_zero 0
	.end_amdhsa_kernel
	.section	.text._ZN2at6native12_GLOBAL__N_126CatArrayBatchedCopy_contigINS1_10OpaqueTypeILj16EEEjLi1ELi128ELi1EEEvPT_NS1_25CatArrInputTensorMetadataIS5_T0_XT2_EXT3_EEENS1_16TensorSizeStrideIS8_Lj4EEEiS8_,"axG",@progbits,_ZN2at6native12_GLOBAL__N_126CatArrayBatchedCopy_contigINS1_10OpaqueTypeILj16EEEjLi1ELi128ELi1EEEvPT_NS1_25CatArrInputTensorMetadataIS5_T0_XT2_EXT3_EEENS1_16TensorSizeStrideIS8_Lj4EEEiS8_,comdat
.Lfunc_end83:
	.size	_ZN2at6native12_GLOBAL__N_126CatArrayBatchedCopy_contigINS1_10OpaqueTypeILj16EEEjLi1ELi128ELi1EEEvPT_NS1_25CatArrInputTensorMetadataIS5_T0_XT2_EXT3_EEENS1_16TensorSizeStrideIS8_Lj4EEEiS8_, .Lfunc_end83-_ZN2at6native12_GLOBAL__N_126CatArrayBatchedCopy_contigINS1_10OpaqueTypeILj16EEEjLi1ELi128ELi1EEEvPT_NS1_25CatArrInputTensorMetadataIS5_T0_XT2_EXT3_EEENS1_16TensorSizeStrideIS8_Lj4EEEiS8_
                                        ; -- End function
	.set _ZN2at6native12_GLOBAL__N_126CatArrayBatchedCopy_contigINS1_10OpaqueTypeILj16EEEjLi1ELi128ELi1EEEvPT_NS1_25CatArrInputTensorMetadataIS5_T0_XT2_EXT3_EEENS1_16TensorSizeStrideIS8_Lj4EEEiS8_.num_vgpr, 10
	.set _ZN2at6native12_GLOBAL__N_126CatArrayBatchedCopy_contigINS1_10OpaqueTypeILj16EEEjLi1ELi128ELi1EEEvPT_NS1_25CatArrInputTensorMetadataIS5_T0_XT2_EXT3_EEENS1_16TensorSizeStrideIS8_Lj4EEEiS8_.num_agpr, 0
	.set _ZN2at6native12_GLOBAL__N_126CatArrayBatchedCopy_contigINS1_10OpaqueTypeILj16EEEjLi1ELi128ELi1EEEvPT_NS1_25CatArrInputTensorMetadataIS5_T0_XT2_EXT3_EEENS1_16TensorSizeStrideIS8_Lj4EEEiS8_.numbered_sgpr, 15
	.set _ZN2at6native12_GLOBAL__N_126CatArrayBatchedCopy_contigINS1_10OpaqueTypeILj16EEEjLi1ELi128ELi1EEEvPT_NS1_25CatArrInputTensorMetadataIS5_T0_XT2_EXT3_EEENS1_16TensorSizeStrideIS8_Lj4EEEiS8_.num_named_barrier, 0
	.set _ZN2at6native12_GLOBAL__N_126CatArrayBatchedCopy_contigINS1_10OpaqueTypeILj16EEEjLi1ELi128ELi1EEEvPT_NS1_25CatArrInputTensorMetadataIS5_T0_XT2_EXT3_EEENS1_16TensorSizeStrideIS8_Lj4EEEiS8_.private_seg_size, 0
	.set _ZN2at6native12_GLOBAL__N_126CatArrayBatchedCopy_contigINS1_10OpaqueTypeILj16EEEjLi1ELi128ELi1EEEvPT_NS1_25CatArrInputTensorMetadataIS5_T0_XT2_EXT3_EEENS1_16TensorSizeStrideIS8_Lj4EEEiS8_.uses_vcc, 1
	.set _ZN2at6native12_GLOBAL__N_126CatArrayBatchedCopy_contigINS1_10OpaqueTypeILj16EEEjLi1ELi128ELi1EEEvPT_NS1_25CatArrInputTensorMetadataIS5_T0_XT2_EXT3_EEENS1_16TensorSizeStrideIS8_Lj4EEEiS8_.uses_flat_scratch, 0
	.set _ZN2at6native12_GLOBAL__N_126CatArrayBatchedCopy_contigINS1_10OpaqueTypeILj16EEEjLi1ELi128ELi1EEEvPT_NS1_25CatArrInputTensorMetadataIS5_T0_XT2_EXT3_EEENS1_16TensorSizeStrideIS8_Lj4EEEiS8_.has_dyn_sized_stack, 0
	.set _ZN2at6native12_GLOBAL__N_126CatArrayBatchedCopy_contigINS1_10OpaqueTypeILj16EEEjLi1ELi128ELi1EEEvPT_NS1_25CatArrInputTensorMetadataIS5_T0_XT2_EXT3_EEENS1_16TensorSizeStrideIS8_Lj4EEEiS8_.has_recursion, 0
	.set _ZN2at6native12_GLOBAL__N_126CatArrayBatchedCopy_contigINS1_10OpaqueTypeILj16EEEjLi1ELi128ELi1EEEvPT_NS1_25CatArrInputTensorMetadataIS5_T0_XT2_EXT3_EEENS1_16TensorSizeStrideIS8_Lj4EEEiS8_.has_indirect_call, 0
	.section	.AMDGPU.csdata,"",@progbits
; Kernel info:
; codeLenInByte = 356
; TotalNumSgprs: 17
; NumVgprs: 10
; ScratchSize: 0
; MemoryBound: 0
; FloatMode: 240
; IeeeMode: 1
; LDSByteSize: 0 bytes/workgroup (compile time only)
; SGPRBlocks: 0
; VGPRBlocks: 1
; NumSGPRsForWavesPerEU: 17
; NumVGPRsForWavesPerEU: 10
; Occupancy: 16
; WaveLimiterHint : 1
; COMPUTE_PGM_RSRC2:SCRATCH_EN: 0
; COMPUTE_PGM_RSRC2:USER_SGPR: 6
; COMPUTE_PGM_RSRC2:TRAP_HANDLER: 0
; COMPUTE_PGM_RSRC2:TGID_X_EN: 1
; COMPUTE_PGM_RSRC2:TGID_Y_EN: 1
; COMPUTE_PGM_RSRC2:TGID_Z_EN: 0
; COMPUTE_PGM_RSRC2:TIDIG_COMP_CNT: 0
	.section	.text._ZN2at6native12_GLOBAL__N_119CatArrayBatchedCopyINS1_10OpaqueTypeILj16EEEjLi1ELi128ELi1EEEvPT_NS1_25CatArrInputTensorMetadataIS5_T0_XT2_EXT3_EEENS1_16TensorSizeStrideIS8_Lj4EEEiS8_,"axG",@progbits,_ZN2at6native12_GLOBAL__N_119CatArrayBatchedCopyINS1_10OpaqueTypeILj16EEEjLi1ELi128ELi1EEEvPT_NS1_25CatArrInputTensorMetadataIS5_T0_XT2_EXT3_EEENS1_16TensorSizeStrideIS8_Lj4EEEiS8_,comdat
	.globl	_ZN2at6native12_GLOBAL__N_119CatArrayBatchedCopyINS1_10OpaqueTypeILj16EEEjLi1ELi128ELi1EEEvPT_NS1_25CatArrInputTensorMetadataIS5_T0_XT2_EXT3_EEENS1_16TensorSizeStrideIS8_Lj4EEEiS8_ ; -- Begin function _ZN2at6native12_GLOBAL__N_119CatArrayBatchedCopyINS1_10OpaqueTypeILj16EEEjLi1ELi128ELi1EEEvPT_NS1_25CatArrInputTensorMetadataIS5_T0_XT2_EXT3_EEENS1_16TensorSizeStrideIS8_Lj4EEEiS8_
	.p2align	8
	.type	_ZN2at6native12_GLOBAL__N_119CatArrayBatchedCopyINS1_10OpaqueTypeILj16EEEjLi1ELi128ELi1EEEvPT_NS1_25CatArrInputTensorMetadataIS5_T0_XT2_EXT3_EEENS1_16TensorSizeStrideIS8_Lj4EEEiS8_,@function
_ZN2at6native12_GLOBAL__N_119CatArrayBatchedCopyINS1_10OpaqueTypeILj16EEEjLi1ELi128ELi1EEEvPT_NS1_25CatArrInputTensorMetadataIS5_T0_XT2_EXT3_EEENS1_16TensorSizeStrideIS8_Lj4EEEiS8_: ; @_ZN2at6native12_GLOBAL__N_119CatArrayBatchedCopyINS1_10OpaqueTypeILj16EEEjLi1ELi128ELi1EEEvPT_NS1_25CatArrInputTensorMetadataIS5_T0_XT2_EXT3_EEENS1_16TensorSizeStrideIS8_Lj4EEEiS8_
; %bb.0:
	s_mov_b32 s0, s7
	s_load_dword s7, s[4:5], 0xadc
	s_or_b32 s8, s4, 8
	s_mov_b32 s1, 0
	s_add_u32 s2, s4, 0xad0
	s_addc_u32 s3, s5, 0
	s_lshl_b64 s[10:11], s[0:1], 2
	s_waitcnt lgkmcnt(0)
	s_and_b32 s14, s7, 0xffff
	s_add_u32 s12, s8, s10
	s_addc_u32 s13, s5, s11
	v_mad_u64_u32 v[0:1], null, s6, s14, v[0:1]
	s_load_dword s7, s[12:13], 0x800
	s_mov_b32 s6, exec_lo
	s_waitcnt lgkmcnt(0)
	v_cmpx_gt_u32_e64 s7, v0
	s_cbranch_execz .LBB84_3
; %bb.1:
	v_mov_b32_e32 v1, 0x800
	s_add_u32 s16, s8, s0
	s_addc_u32 s17, s5, 0
	s_mov_b32 s9, s5
	global_load_ubyte v1, v1, s[16:17] offset:512
	s_clause 0x1
	s_load_dword s6, s[8:9], 0xa90
	s_load_dword s15, s[4:5], 0xab8
	s_waitcnt lgkmcnt(0)
	v_mul_lo_u32 v2, s15, v0
	s_waitcnt vmcnt(0)
	v_readfirstlane_b32 s0, v1
	s_and_b32 s0, 1, s0
	s_add_u32 s8, s12, s10
	s_addc_u32 s9, s13, s11
	s_sub_u32 s10, 0, s10
	s_subb_u32 s11, 0, s11
	s_add_u32 s10, s8, s10
	s_addc_u32 s11, s9, s11
	s_clause 0x1
	s_load_dword s12, s[4:5], 0xacc
	s_load_dword s10, s[10:11], 0x400
	;; [unrolled: 1-line block ×3, first 2 shown]
	s_clause 0x1
	s_load_dwordx2 s[2:3], s[4:5], 0x0
	s_load_dwordx2 s[4:5], s[8:9], 0x0
	s_cmp_eq_u32 s0, 1
	s_cselect_b32 s0, 1, s6
	v_mul_lo_u32 v1, s0, v0
	s_waitcnt lgkmcnt(0)
	v_mad_u64_u32 v[3:4], null, s10, s12, v[2:3]
	v_mov_b32_e32 v2, 0
	s_mul_i32 s6, s11, s14
	s_mul_i32 s8, s6, s0
	;; [unrolled: 1-line block ×3, first 2 shown]
	.p2align	6
.LBB84_2:                               ; =>This Inner Loop Header: Depth=1
	v_lshlrev_b64 v[4:5], 4, v[1:2]
	v_add_nc_u32_e32 v0, s6, v0
	v_add_nc_u32_e32 v1, s8, v1
	v_add_co_u32 v4, vcc_lo, s4, v4
	v_add_co_ci_u32_e64 v5, null, s5, v5, vcc_lo
	v_cmp_le_u32_e32 vcc_lo, s7, v0
	global_load_dwordx4 v[5:8], v[4:5], off
	v_mov_b32_e32 v4, v2
	s_or_b32 s1, vcc_lo, s1
	v_lshlrev_b64 v[9:10], 4, v[3:4]
	v_add_nc_u32_e32 v3, s9, v3
	v_add_co_u32 v9, s0, s2, v9
	v_add_co_ci_u32_e64 v10, null, s3, v10, s0
	s_waitcnt vmcnt(0)
	global_store_dwordx4 v[9:10], v[5:8], off
	s_andn2_b32 exec_lo, exec_lo, s1
	s_cbranch_execnz .LBB84_2
.LBB84_3:
	s_endpgm
	.section	.rodata,"a",@progbits
	.p2align	6, 0x0
	.amdhsa_kernel _ZN2at6native12_GLOBAL__N_119CatArrayBatchedCopyINS1_10OpaqueTypeILj16EEEjLi1ELi128ELi1EEEvPT_NS1_25CatArrInputTensorMetadataIS5_T0_XT2_EXT3_EEENS1_16TensorSizeStrideIS8_Lj4EEEiS8_
		.amdhsa_group_segment_fixed_size 0
		.amdhsa_private_segment_fixed_size 0
		.amdhsa_kernarg_size 3024
		.amdhsa_user_sgpr_count 6
		.amdhsa_user_sgpr_private_segment_buffer 1
		.amdhsa_user_sgpr_dispatch_ptr 0
		.amdhsa_user_sgpr_queue_ptr 0
		.amdhsa_user_sgpr_kernarg_segment_ptr 1
		.amdhsa_user_sgpr_dispatch_id 0
		.amdhsa_user_sgpr_flat_scratch_init 0
		.amdhsa_user_sgpr_private_segment_size 0
		.amdhsa_wavefront_size32 1
		.amdhsa_uses_dynamic_stack 0
		.amdhsa_system_sgpr_private_segment_wavefront_offset 0
		.amdhsa_system_sgpr_workgroup_id_x 1
		.amdhsa_system_sgpr_workgroup_id_y 1
		.amdhsa_system_sgpr_workgroup_id_z 0
		.amdhsa_system_sgpr_workgroup_info 0
		.amdhsa_system_vgpr_workitem_id 0
		.amdhsa_next_free_vgpr 11
		.amdhsa_next_free_sgpr 18
		.amdhsa_reserve_vcc 1
		.amdhsa_reserve_flat_scratch 0
		.amdhsa_float_round_mode_32 0
		.amdhsa_float_round_mode_16_64 0
		.amdhsa_float_denorm_mode_32 3
		.amdhsa_float_denorm_mode_16_64 3
		.amdhsa_dx10_clamp 1
		.amdhsa_ieee_mode 1
		.amdhsa_fp16_overflow 0
		.amdhsa_workgroup_processor_mode 1
		.amdhsa_memory_ordered 1
		.amdhsa_forward_progress 1
		.amdhsa_shared_vgpr_count 0
		.amdhsa_exception_fp_ieee_invalid_op 0
		.amdhsa_exception_fp_denorm_src 0
		.amdhsa_exception_fp_ieee_div_zero 0
		.amdhsa_exception_fp_ieee_overflow 0
		.amdhsa_exception_fp_ieee_underflow 0
		.amdhsa_exception_fp_ieee_inexact 0
		.amdhsa_exception_int_div_zero 0
	.end_amdhsa_kernel
	.section	.text._ZN2at6native12_GLOBAL__N_119CatArrayBatchedCopyINS1_10OpaqueTypeILj16EEEjLi1ELi128ELi1EEEvPT_NS1_25CatArrInputTensorMetadataIS5_T0_XT2_EXT3_EEENS1_16TensorSizeStrideIS8_Lj4EEEiS8_,"axG",@progbits,_ZN2at6native12_GLOBAL__N_119CatArrayBatchedCopyINS1_10OpaqueTypeILj16EEEjLi1ELi128ELi1EEEvPT_NS1_25CatArrInputTensorMetadataIS5_T0_XT2_EXT3_EEENS1_16TensorSizeStrideIS8_Lj4EEEiS8_,comdat
.Lfunc_end84:
	.size	_ZN2at6native12_GLOBAL__N_119CatArrayBatchedCopyINS1_10OpaqueTypeILj16EEEjLi1ELi128ELi1EEEvPT_NS1_25CatArrInputTensorMetadataIS5_T0_XT2_EXT3_EEENS1_16TensorSizeStrideIS8_Lj4EEEiS8_, .Lfunc_end84-_ZN2at6native12_GLOBAL__N_119CatArrayBatchedCopyINS1_10OpaqueTypeILj16EEEjLi1ELi128ELi1EEEvPT_NS1_25CatArrInputTensorMetadataIS5_T0_XT2_EXT3_EEENS1_16TensorSizeStrideIS8_Lj4EEEiS8_
                                        ; -- End function
	.set _ZN2at6native12_GLOBAL__N_119CatArrayBatchedCopyINS1_10OpaqueTypeILj16EEEjLi1ELi128ELi1EEEvPT_NS1_25CatArrInputTensorMetadataIS5_T0_XT2_EXT3_EEENS1_16TensorSizeStrideIS8_Lj4EEEiS8_.num_vgpr, 11
	.set _ZN2at6native12_GLOBAL__N_119CatArrayBatchedCopyINS1_10OpaqueTypeILj16EEEjLi1ELi128ELi1EEEvPT_NS1_25CatArrInputTensorMetadataIS5_T0_XT2_EXT3_EEENS1_16TensorSizeStrideIS8_Lj4EEEiS8_.num_agpr, 0
	.set _ZN2at6native12_GLOBAL__N_119CatArrayBatchedCopyINS1_10OpaqueTypeILj16EEEjLi1ELi128ELi1EEEvPT_NS1_25CatArrInputTensorMetadataIS5_T0_XT2_EXT3_EEENS1_16TensorSizeStrideIS8_Lj4EEEiS8_.numbered_sgpr, 18
	.set _ZN2at6native12_GLOBAL__N_119CatArrayBatchedCopyINS1_10OpaqueTypeILj16EEEjLi1ELi128ELi1EEEvPT_NS1_25CatArrInputTensorMetadataIS5_T0_XT2_EXT3_EEENS1_16TensorSizeStrideIS8_Lj4EEEiS8_.num_named_barrier, 0
	.set _ZN2at6native12_GLOBAL__N_119CatArrayBatchedCopyINS1_10OpaqueTypeILj16EEEjLi1ELi128ELi1EEEvPT_NS1_25CatArrInputTensorMetadataIS5_T0_XT2_EXT3_EEENS1_16TensorSizeStrideIS8_Lj4EEEiS8_.private_seg_size, 0
	.set _ZN2at6native12_GLOBAL__N_119CatArrayBatchedCopyINS1_10OpaqueTypeILj16EEEjLi1ELi128ELi1EEEvPT_NS1_25CatArrInputTensorMetadataIS5_T0_XT2_EXT3_EEENS1_16TensorSizeStrideIS8_Lj4EEEiS8_.uses_vcc, 1
	.set _ZN2at6native12_GLOBAL__N_119CatArrayBatchedCopyINS1_10OpaqueTypeILj16EEEjLi1ELi128ELi1EEEvPT_NS1_25CatArrInputTensorMetadataIS5_T0_XT2_EXT3_EEENS1_16TensorSizeStrideIS8_Lj4EEEiS8_.uses_flat_scratch, 0
	.set _ZN2at6native12_GLOBAL__N_119CatArrayBatchedCopyINS1_10OpaqueTypeILj16EEEjLi1ELi128ELi1EEEvPT_NS1_25CatArrInputTensorMetadataIS5_T0_XT2_EXT3_EEENS1_16TensorSizeStrideIS8_Lj4EEEiS8_.has_dyn_sized_stack, 0
	.set _ZN2at6native12_GLOBAL__N_119CatArrayBatchedCopyINS1_10OpaqueTypeILj16EEEjLi1ELi128ELi1EEEvPT_NS1_25CatArrInputTensorMetadataIS5_T0_XT2_EXT3_EEENS1_16TensorSizeStrideIS8_Lj4EEEiS8_.has_recursion, 0
	.set _ZN2at6native12_GLOBAL__N_119CatArrayBatchedCopyINS1_10OpaqueTypeILj16EEEjLi1ELi128ELi1EEEvPT_NS1_25CatArrInputTensorMetadataIS5_T0_XT2_EXT3_EEENS1_16TensorSizeStrideIS8_Lj4EEEiS8_.has_indirect_call, 0
	.section	.AMDGPU.csdata,"",@progbits
; Kernel info:
; codeLenInByte = 424
; TotalNumSgprs: 20
; NumVgprs: 11
; ScratchSize: 0
; MemoryBound: 0
; FloatMode: 240
; IeeeMode: 1
; LDSByteSize: 0 bytes/workgroup (compile time only)
; SGPRBlocks: 0
; VGPRBlocks: 1
; NumSGPRsForWavesPerEU: 20
; NumVGPRsForWavesPerEU: 11
; Occupancy: 16
; WaveLimiterHint : 1
; COMPUTE_PGM_RSRC2:SCRATCH_EN: 0
; COMPUTE_PGM_RSRC2:USER_SGPR: 6
; COMPUTE_PGM_RSRC2:TRAP_HANDLER: 0
; COMPUTE_PGM_RSRC2:TGID_X_EN: 1
; COMPUTE_PGM_RSRC2:TGID_Y_EN: 1
; COMPUTE_PGM_RSRC2:TGID_Z_EN: 0
; COMPUTE_PGM_RSRC2:TIDIG_COMP_CNT: 0
	.section	.text._ZN2at6native12_GLOBAL__N_130CatArrayBatchedCopy_vectorizedINS1_10OpaqueTypeILj16EEEjLi2ELi128ELi1ELi16ELi1EEEvPcNS1_25CatArrInputTensorMetadataIT_T0_XT2_EXT3_EEENS1_16TensorSizeStrideIS8_Lj4EEEiS8_,"axG",@progbits,_ZN2at6native12_GLOBAL__N_130CatArrayBatchedCopy_vectorizedINS1_10OpaqueTypeILj16EEEjLi2ELi128ELi1ELi16ELi1EEEvPcNS1_25CatArrInputTensorMetadataIT_T0_XT2_EXT3_EEENS1_16TensorSizeStrideIS8_Lj4EEEiS8_,comdat
	.globl	_ZN2at6native12_GLOBAL__N_130CatArrayBatchedCopy_vectorizedINS1_10OpaqueTypeILj16EEEjLi2ELi128ELi1ELi16ELi1EEEvPcNS1_25CatArrInputTensorMetadataIT_T0_XT2_EXT3_EEENS1_16TensorSizeStrideIS8_Lj4EEEiS8_ ; -- Begin function _ZN2at6native12_GLOBAL__N_130CatArrayBatchedCopy_vectorizedINS1_10OpaqueTypeILj16EEEjLi2ELi128ELi1ELi16ELi1EEEvPcNS1_25CatArrInputTensorMetadataIT_T0_XT2_EXT3_EEENS1_16TensorSizeStrideIS8_Lj4EEEiS8_
	.p2align	8
	.type	_ZN2at6native12_GLOBAL__N_130CatArrayBatchedCopy_vectorizedINS1_10OpaqueTypeILj16EEEjLi2ELi128ELi1ELi16ELi1EEEvPcNS1_25CatArrInputTensorMetadataIT_T0_XT2_EXT3_EEENS1_16TensorSizeStrideIS8_Lj4EEEiS8_,@function
_ZN2at6native12_GLOBAL__N_130CatArrayBatchedCopy_vectorizedINS1_10OpaqueTypeILj16EEEjLi2ELi128ELi1ELi16ELi1EEEvPcNS1_25CatArrInputTensorMetadataIT_T0_XT2_EXT3_EEENS1_16TensorSizeStrideIS8_Lj4EEEiS8_: ; @_ZN2at6native12_GLOBAL__N_130CatArrayBatchedCopy_vectorizedINS1_10OpaqueTypeILj16EEEjLi2ELi128ELi1ELi16ELi1EEEvPcNS1_25CatArrInputTensorMetadataIT_T0_XT2_EXT3_EEENS1_16TensorSizeStrideIS8_Lj4EEEiS8_
; %bb.0:
	s_mov_b32 s0, s7
	s_load_dword s7, s[4:5], 0xadc
	s_mov_b32 s1, 0
	s_add_u32 s8, s4, 0xad0
	s_addc_u32 s9, s5, 0
	s_lshl_b64 s[2:3], s[0:1], 2
	s_waitcnt lgkmcnt(0)
	s_and_b32 s13, s7, 0xffff
	s_add_u32 s10, s4, s2
	s_addc_u32 s11, s5, s3
	v_mad_u64_u32 v[0:1], null, s6, s13, v[0:1]
	s_load_dword s7, s[10:11], 0x808
	s_add_u32 s0, s10, 8
	s_addc_u32 s6, s11, 0
	s_mov_b32 s10, exec_lo
	s_waitcnt lgkmcnt(0)
	v_cmpx_gt_u32_e64 s7, v0
	s_cbranch_execz .LBB85_3
; %bb.1:
	s_add_u32 s14, s0, s2
	s_addc_u32 s15, s6, s3
	s_sub_u32 s0, 0, s2
	s_subb_u32 s3, 0, s3
	s_add_u32 s2, s14, s0
	s_addc_u32 s3, s15, s3
	s_clause 0x5
	s_load_dwordx2 s[10:11], s[4:5], 0xac8
	s_load_dword s0, s[2:3], 0x400
	s_load_dword s6, s[2:3], 0x600
	s_load_dword s12, s[4:5], 0xaac
	s_load_dwordx2 s[2:3], s[4:5], 0xab8
	s_load_dwordx2 s[4:5], s[4:5], 0x0
	s_load_dword s8, s[8:9], 0x0
	s_waitcnt lgkmcnt(0)
	s_mul_i32 s0, s0, s11
	s_mul_i32 s6, s6, s11
	s_lshl_b64 s[16:17], s[0:1], 4
	s_cmp_eq_u32 s10, 1
	s_mul_i32 s8, s8, s13
	s_cselect_b32 s6, s6, s12
	s_add_u32 s10, s4, s16
	v_cvt_f32_u32_e32 v1, s6
	s_addc_u32 s11, s5, s17
	s_sub_i32 s12, 0, s6
	s_load_dwordx2 s[4:5], s[14:15], 0x0
	v_rcp_iflag_f32_e32 v1, v1
	v_mul_f32_e32 v1, 0x4f7ffffe, v1
	v_cvt_u32_f32_e32 v1, v1
	v_mul_lo_u32 v2, s12, v1
	v_mul_hi_u32 v2, v1, v2
	v_add_nc_u32_e32 v2, v1, v2
	v_mov_b32_e32 v1, 0
	s_inst_prefetch 0x1
	.p2align	6
.LBB85_2:                               ; =>This Inner Loop Header: Depth=1
	v_lshlrev_b64 v[3:4], 4, v[0:1]
	v_mul_hi_u32 v9, v2, v0
	s_waitcnt lgkmcnt(0)
	v_add_co_u32 v3, vcc_lo, s4, v3
	v_add_co_ci_u32_e64 v4, null, s5, v4, vcc_lo
	v_mul_lo_u32 v10, s6, v9
	v_not_b32_e32 v7, v9
	v_add_nc_u32_e32 v11, 1, v9
	global_load_dwordx4 v[3:6], v[3:4], off
	v_mad_u64_u32 v[7:8], null, s6, v7, v[0:1]
	v_sub_nc_u32_e32 v8, v0, v10
	v_cmp_le_u32_e32 vcc_lo, s6, v8
	v_cndmask_b32_e32 v9, v9, v11, vcc_lo
	v_cndmask_b32_e32 v7, v8, v7, vcc_lo
	v_add_nc_u32_e32 v8, 1, v9
	v_cmp_le_u32_e32 vcc_lo, s6, v7
	v_cndmask_b32_e32 v9, v9, v8, vcc_lo
	v_mad_u64_u32 v[7:8], null, s12, v9, v[0:1]
	v_mul_lo_u32 v8, v9, s2
	v_add_nc_u32_e32 v0, s8, v0
	v_cmp_le_u32_e32 vcc_lo, s7, v0
	v_mad_u64_u32 v[7:8], null, v7, s3, v[8:9]
	v_mov_b32_e32 v8, v1
	s_or_b32 s1, vcc_lo, s1
	v_lshlrev_b64 v[7:8], 4, v[7:8]
	v_add_co_u32 v7, s0, s10, v7
	v_add_co_ci_u32_e64 v8, null, s11, v8, s0
	s_waitcnt vmcnt(0)
	global_store_dwordx4 v[7:8], v[3:6], off
	s_andn2_b32 exec_lo, exec_lo, s1
	s_cbranch_execnz .LBB85_2
.LBB85_3:
	s_inst_prefetch 0x2
	s_endpgm
	.section	.rodata,"a",@progbits
	.p2align	6, 0x0
	.amdhsa_kernel _ZN2at6native12_GLOBAL__N_130CatArrayBatchedCopy_vectorizedINS1_10OpaqueTypeILj16EEEjLi2ELi128ELi1ELi16ELi1EEEvPcNS1_25CatArrInputTensorMetadataIT_T0_XT2_EXT3_EEENS1_16TensorSizeStrideIS8_Lj4EEEiS8_
		.amdhsa_group_segment_fixed_size 0
		.amdhsa_private_segment_fixed_size 0
		.amdhsa_kernarg_size 3024
		.amdhsa_user_sgpr_count 6
		.amdhsa_user_sgpr_private_segment_buffer 1
		.amdhsa_user_sgpr_dispatch_ptr 0
		.amdhsa_user_sgpr_queue_ptr 0
		.amdhsa_user_sgpr_kernarg_segment_ptr 1
		.amdhsa_user_sgpr_dispatch_id 0
		.amdhsa_user_sgpr_flat_scratch_init 0
		.amdhsa_user_sgpr_private_segment_size 0
		.amdhsa_wavefront_size32 1
		.amdhsa_uses_dynamic_stack 0
		.amdhsa_system_sgpr_private_segment_wavefront_offset 0
		.amdhsa_system_sgpr_workgroup_id_x 1
		.amdhsa_system_sgpr_workgroup_id_y 1
		.amdhsa_system_sgpr_workgroup_id_z 0
		.amdhsa_system_sgpr_workgroup_info 0
		.amdhsa_system_vgpr_workitem_id 0
		.amdhsa_next_free_vgpr 12
		.amdhsa_next_free_sgpr 18
		.amdhsa_reserve_vcc 1
		.amdhsa_reserve_flat_scratch 0
		.amdhsa_float_round_mode_32 0
		.amdhsa_float_round_mode_16_64 0
		.amdhsa_float_denorm_mode_32 3
		.amdhsa_float_denorm_mode_16_64 3
		.amdhsa_dx10_clamp 1
		.amdhsa_ieee_mode 1
		.amdhsa_fp16_overflow 0
		.amdhsa_workgroup_processor_mode 1
		.amdhsa_memory_ordered 1
		.amdhsa_forward_progress 1
		.amdhsa_shared_vgpr_count 0
		.amdhsa_exception_fp_ieee_invalid_op 0
		.amdhsa_exception_fp_denorm_src 0
		.amdhsa_exception_fp_ieee_div_zero 0
		.amdhsa_exception_fp_ieee_overflow 0
		.amdhsa_exception_fp_ieee_underflow 0
		.amdhsa_exception_fp_ieee_inexact 0
		.amdhsa_exception_int_div_zero 0
	.end_amdhsa_kernel
	.section	.text._ZN2at6native12_GLOBAL__N_130CatArrayBatchedCopy_vectorizedINS1_10OpaqueTypeILj16EEEjLi2ELi128ELi1ELi16ELi1EEEvPcNS1_25CatArrInputTensorMetadataIT_T0_XT2_EXT3_EEENS1_16TensorSizeStrideIS8_Lj4EEEiS8_,"axG",@progbits,_ZN2at6native12_GLOBAL__N_130CatArrayBatchedCopy_vectorizedINS1_10OpaqueTypeILj16EEEjLi2ELi128ELi1ELi16ELi1EEEvPcNS1_25CatArrInputTensorMetadataIT_T0_XT2_EXT3_EEENS1_16TensorSizeStrideIS8_Lj4EEEiS8_,comdat
.Lfunc_end85:
	.size	_ZN2at6native12_GLOBAL__N_130CatArrayBatchedCopy_vectorizedINS1_10OpaqueTypeILj16EEEjLi2ELi128ELi1ELi16ELi1EEEvPcNS1_25CatArrInputTensorMetadataIT_T0_XT2_EXT3_EEENS1_16TensorSizeStrideIS8_Lj4EEEiS8_, .Lfunc_end85-_ZN2at6native12_GLOBAL__N_130CatArrayBatchedCopy_vectorizedINS1_10OpaqueTypeILj16EEEjLi2ELi128ELi1ELi16ELi1EEEvPcNS1_25CatArrInputTensorMetadataIT_T0_XT2_EXT3_EEENS1_16TensorSizeStrideIS8_Lj4EEEiS8_
                                        ; -- End function
	.set _ZN2at6native12_GLOBAL__N_130CatArrayBatchedCopy_vectorizedINS1_10OpaqueTypeILj16EEEjLi2ELi128ELi1ELi16ELi1EEEvPcNS1_25CatArrInputTensorMetadataIT_T0_XT2_EXT3_EEENS1_16TensorSizeStrideIS8_Lj4EEEiS8_.num_vgpr, 12
	.set _ZN2at6native12_GLOBAL__N_130CatArrayBatchedCopy_vectorizedINS1_10OpaqueTypeILj16EEEjLi2ELi128ELi1ELi16ELi1EEEvPcNS1_25CatArrInputTensorMetadataIT_T0_XT2_EXT3_EEENS1_16TensorSizeStrideIS8_Lj4EEEiS8_.num_agpr, 0
	.set _ZN2at6native12_GLOBAL__N_130CatArrayBatchedCopy_vectorizedINS1_10OpaqueTypeILj16EEEjLi2ELi128ELi1ELi16ELi1EEEvPcNS1_25CatArrInputTensorMetadataIT_T0_XT2_EXT3_EEENS1_16TensorSizeStrideIS8_Lj4EEEiS8_.numbered_sgpr, 18
	.set _ZN2at6native12_GLOBAL__N_130CatArrayBatchedCopy_vectorizedINS1_10OpaqueTypeILj16EEEjLi2ELi128ELi1ELi16ELi1EEEvPcNS1_25CatArrInputTensorMetadataIT_T0_XT2_EXT3_EEENS1_16TensorSizeStrideIS8_Lj4EEEiS8_.num_named_barrier, 0
	.set _ZN2at6native12_GLOBAL__N_130CatArrayBatchedCopy_vectorizedINS1_10OpaqueTypeILj16EEEjLi2ELi128ELi1ELi16ELi1EEEvPcNS1_25CatArrInputTensorMetadataIT_T0_XT2_EXT3_EEENS1_16TensorSizeStrideIS8_Lj4EEEiS8_.private_seg_size, 0
	.set _ZN2at6native12_GLOBAL__N_130CatArrayBatchedCopy_vectorizedINS1_10OpaqueTypeILj16EEEjLi2ELi128ELi1ELi16ELi1EEEvPcNS1_25CatArrInputTensorMetadataIT_T0_XT2_EXT3_EEENS1_16TensorSizeStrideIS8_Lj4EEEiS8_.uses_vcc, 1
	.set _ZN2at6native12_GLOBAL__N_130CatArrayBatchedCopy_vectorizedINS1_10OpaqueTypeILj16EEEjLi2ELi128ELi1ELi16ELi1EEEvPcNS1_25CatArrInputTensorMetadataIT_T0_XT2_EXT3_EEENS1_16TensorSizeStrideIS8_Lj4EEEiS8_.uses_flat_scratch, 0
	.set _ZN2at6native12_GLOBAL__N_130CatArrayBatchedCopy_vectorizedINS1_10OpaqueTypeILj16EEEjLi2ELi128ELi1ELi16ELi1EEEvPcNS1_25CatArrInputTensorMetadataIT_T0_XT2_EXT3_EEENS1_16TensorSizeStrideIS8_Lj4EEEiS8_.has_dyn_sized_stack, 0
	.set _ZN2at6native12_GLOBAL__N_130CatArrayBatchedCopy_vectorizedINS1_10OpaqueTypeILj16EEEjLi2ELi128ELi1ELi16ELi1EEEvPcNS1_25CatArrInputTensorMetadataIT_T0_XT2_EXT3_EEENS1_16TensorSizeStrideIS8_Lj4EEEiS8_.has_recursion, 0
	.set _ZN2at6native12_GLOBAL__N_130CatArrayBatchedCopy_vectorizedINS1_10OpaqueTypeILj16EEEjLi2ELi128ELi1ELi16ELi1EEEvPcNS1_25CatArrInputTensorMetadataIT_T0_XT2_EXT3_EEENS1_16TensorSizeStrideIS8_Lj4EEEiS8_.has_indirect_call, 0
	.section	.AMDGPU.csdata,"",@progbits
; Kernel info:
; codeLenInByte = 508
; TotalNumSgprs: 20
; NumVgprs: 12
; ScratchSize: 0
; MemoryBound: 0
; FloatMode: 240
; IeeeMode: 1
; LDSByteSize: 0 bytes/workgroup (compile time only)
; SGPRBlocks: 0
; VGPRBlocks: 1
; NumSGPRsForWavesPerEU: 20
; NumVGPRsForWavesPerEU: 12
; Occupancy: 16
; WaveLimiterHint : 1
; COMPUTE_PGM_RSRC2:SCRATCH_EN: 0
; COMPUTE_PGM_RSRC2:USER_SGPR: 6
; COMPUTE_PGM_RSRC2:TRAP_HANDLER: 0
; COMPUTE_PGM_RSRC2:TGID_X_EN: 1
; COMPUTE_PGM_RSRC2:TGID_Y_EN: 1
; COMPUTE_PGM_RSRC2:TGID_Z_EN: 0
; COMPUTE_PGM_RSRC2:TIDIG_COMP_CNT: 0
	.section	.text._ZN2at6native12_GLOBAL__N_135CatArrayBatchedCopy_alignedK_contigINS1_10OpaqueTypeILj16EEEjLi2ELi128ELi1ELi16EEEvPT_NS1_25CatArrInputTensorMetadataIS5_T0_XT2_EXT3_EEENS1_16TensorSizeStrideIS8_Lj4EEEiS8_,"axG",@progbits,_ZN2at6native12_GLOBAL__N_135CatArrayBatchedCopy_alignedK_contigINS1_10OpaqueTypeILj16EEEjLi2ELi128ELi1ELi16EEEvPT_NS1_25CatArrInputTensorMetadataIS5_T0_XT2_EXT3_EEENS1_16TensorSizeStrideIS8_Lj4EEEiS8_,comdat
	.globl	_ZN2at6native12_GLOBAL__N_135CatArrayBatchedCopy_alignedK_contigINS1_10OpaqueTypeILj16EEEjLi2ELi128ELi1ELi16EEEvPT_NS1_25CatArrInputTensorMetadataIS5_T0_XT2_EXT3_EEENS1_16TensorSizeStrideIS8_Lj4EEEiS8_ ; -- Begin function _ZN2at6native12_GLOBAL__N_135CatArrayBatchedCopy_alignedK_contigINS1_10OpaqueTypeILj16EEEjLi2ELi128ELi1ELi16EEEvPT_NS1_25CatArrInputTensorMetadataIS5_T0_XT2_EXT3_EEENS1_16TensorSizeStrideIS8_Lj4EEEiS8_
	.p2align	8
	.type	_ZN2at6native12_GLOBAL__N_135CatArrayBatchedCopy_alignedK_contigINS1_10OpaqueTypeILj16EEEjLi2ELi128ELi1ELi16EEEvPT_NS1_25CatArrInputTensorMetadataIS5_T0_XT2_EXT3_EEENS1_16TensorSizeStrideIS8_Lj4EEEiS8_,@function
_ZN2at6native12_GLOBAL__N_135CatArrayBatchedCopy_alignedK_contigINS1_10OpaqueTypeILj16EEEjLi2ELi128ELi1ELi16EEEvPT_NS1_25CatArrInputTensorMetadataIS5_T0_XT2_EXT3_EEENS1_16TensorSizeStrideIS8_Lj4EEEiS8_: ; @_ZN2at6native12_GLOBAL__N_135CatArrayBatchedCopy_alignedK_contigINS1_10OpaqueTypeILj16EEEjLi2ELi128ELi1ELi16EEEvPT_NS1_25CatArrInputTensorMetadataIS5_T0_XT2_EXT3_EEENS1_16TensorSizeStrideIS8_Lj4EEEiS8_
; %bb.0:
	s_mov_b32 s0, s7
	s_load_dword s7, s[4:5], 0xadc
	s_mov_b32 s1, 0
	s_add_u32 s8, s4, 0xad0
	s_addc_u32 s9, s5, 0
	s_lshl_b64 s[2:3], s[0:1], 2
	s_mov_b32 s11, exec_lo
	s_waitcnt lgkmcnt(0)
	s_and_b32 s0, s7, 0xffff
	s_add_u32 s12, s4, s2
	s_addc_u32 s13, s5, s3
	v_mad_u64_u32 v[0:1], null, s6, s0, v[0:1]
	s_load_dword s10, s[12:13], 0x808
	s_add_u32 s6, s12, 8
	s_addc_u32 s7, s13, 0
	s_waitcnt lgkmcnt(0)
	v_cmpx_gt_u32_e64 s10, v0
	s_cbranch_execz .LBB86_6
; %bb.1:
	s_add_u32 s6, s6, s2
	s_addc_u32 s7, s7, s3
	s_sub_u32 s2, 0, s2
	s_subb_u32 s3, 0, s3
	s_add_u32 s12, s6, s2
	s_addc_u32 s13, s7, s3
	s_clause 0x4
	s_load_dwordx2 s[14:15], s[4:5], 0xac8
	s_load_dword s11, s[12:13], 0x600
	s_load_dword s16, s[4:5], 0xaac
	s_load_dwordx2 s[2:3], s[4:5], 0xab8
	s_load_dword s13, s[12:13], 0x400
	s_load_dword s9, s[8:9], 0x0
	s_clause 0x1
	s_load_dwordx2 s[4:5], s[4:5], 0x0
	s_load_dwordx2 s[6:7], s[6:7], 0x0
	s_waitcnt lgkmcnt(0)
	s_cmp_eq_u32 s14, 1
	s_cselect_b32 s11, s11, s16
	v_cvt_f32_u32_e32 v1, s11
	s_sub_i32 s12, 0, s11
	s_mul_i32 s9, s9, s0
	s_mul_i32 s8, s13, s15
	v_rcp_iflag_f32_e32 v1, v1
	v_mul_f32_e32 v1, 0x4f7ffffe, v1
	v_cvt_u32_f32_e32 v1, v1
	v_mul_lo_u32 v2, s12, v1
	v_mul_hi_u32 v3, v1, v2
	v_mov_b32_e32 v2, 0
	v_add_nc_u32_e32 v7, v1, v3
	v_add_nc_u32_e32 v3, 1, v0
	s_inst_prefetch 0x1
	.p2align	6
.LBB86_2:                               ; =>This Inner Loop Header: Depth=1
	v_add_nc_u32_e32 v1, -1, v3
	v_add_nc_u32_e32 v3, s9, v3
	v_lshlrev_b64 v[4:5], 4, v[1:2]
	v_mul_hi_u32 v6, v1, v7
	v_add_co_u32 v4, vcc_lo, s6, v4
	v_add_co_ci_u32_e64 v5, null, s7, v5, vcc_lo
	v_add_nc_u32_e32 v12, 1, v6
	global_load_dwordx4 v[8:11], v[4:5], off
	v_mul_hi_u32 v4, v7, v0
	v_mul_lo_u32 v5, s11, v4
	v_not_b32_e32 v4, v4
	v_sub_nc_u32_e32 v13, v0, v5
	v_mad_u64_u32 v[4:5], null, s11, v4, v[0:1]
	v_add_nc_u32_e32 v0, s9, v0
	v_cmp_le_u32_e32 vcc_lo, s11, v13
	v_cndmask_b32_e32 v5, v6, v12, vcc_lo
	v_cndmask_b32_e32 v4, v13, v4, vcc_lo
	v_add_nc_u32_e32 v6, 1, v5
	v_cmp_le_u32_e32 vcc_lo, s11, v4
	v_cndmask_b32_e32 v6, v5, v6, vcc_lo
	v_cmp_lt_u32_e32 vcc_lo, s10, v3
	v_mad_u64_u32 v[4:5], null, s12, v6, v[1:2]
	v_mul_lo_u32 v1, v6, s2
	s_or_b32 s1, vcc_lo, s1
	v_mul_lo_u32 v4, v4, s3
	v_add3_u32 v1, v4, v1, s8
	v_lshlrev_b64 v[4:5], 4, v[1:2]
	v_add_co_u32 v4, s0, s4, v4
	v_add_co_ci_u32_e64 v5, null, s5, v5, s0
	s_waitcnt vmcnt(0)
	global_store_dwordx4 v[4:5], v[8:11], off
	s_andn2_b32 exec_lo, exec_lo, s1
	s_cbranch_execnz .LBB86_2
; %bb.3:
	s_inst_prefetch 0x2
	s_or_b32 exec_lo, exec_lo, s1
	v_add_nc_u32_e32 v0, -1, v3
	v_cmp_gt_u32_e32 vcc_lo, s10, v0
	s_and_b32 exec_lo, exec_lo, vcc_lo
	s_cbranch_execz .LBB86_6
; %bb.4:
	v_mov_b32_e32 v2, 0
	v_mad_u64_u32 v[3:4], null, v7, v0, 0
	v_mov_b32_e32 v1, v2
	v_lshlrev_b64 v[5:6], 4, v[0:1]
	v_add_co_u32 v5, vcc_lo, s6, v5
	v_add_co_ci_u32_e64 v6, null, s7, v6, vcc_lo
	s_mov_b32 s6, 0
	s_inst_prefetch 0x1
	.p2align	6
.LBB86_5:                               ; =>This Inner Loop Header: Depth=1
	global_load_dwordx4 v[8:11], v[5:6], off
	v_mul_lo_u32 v1, s11, v4
	v_not_b32_e32 v12, v4
	v_add_nc_u32_e32 v14, 1, v4
	v_add_co_u32 v5, s0, v5, 16
	v_add_co_ci_u32_e64 v6, null, 0, v6, s0
	v_mad_u64_u32 v[12:13], null, s11, v12, v[0:1]
	v_sub_nc_u32_e32 v1, v0, v1
	v_cmp_le_u32_e32 vcc_lo, s11, v1
	v_cndmask_b32_e32 v13, v4, v14, vcc_lo
	v_cndmask_b32_e32 v1, v1, v12, vcc_lo
	v_add_nc_u32_e32 v12, 1, v13
	v_cmp_le_u32_e32 vcc_lo, s11, v1
	v_cndmask_b32_e32 v1, v13, v12, vcc_lo
	v_add_co_u32 v3, vcc_lo, v3, v7
	v_add_co_ci_u32_e64 v4, null, 0, v4, vcc_lo
	v_mad_u64_u32 v[12:13], null, s12, v1, v[0:1]
	v_mul_lo_u32 v1, v1, s2
	v_add_nc_u32_e32 v0, 1, v0
	v_mul_lo_u32 v12, v12, s3
	v_cmp_le_u32_e64 s0, s10, v0
	s_or_b32 s6, s0, s6
	v_add3_u32 v1, v1, s8, v12
	v_lshlrev_b64 v[12:13], 4, v[1:2]
	v_add_co_u32 v12, s1, s4, v12
	v_add_co_ci_u32_e64 v13, null, s5, v13, s1
	s_waitcnt vmcnt(0)
	global_store_dwordx4 v[12:13], v[8:11], off
	s_andn2_b32 exec_lo, exec_lo, s6
	s_cbranch_execnz .LBB86_5
.LBB86_6:
	s_inst_prefetch 0x2
	s_endpgm
	.section	.rodata,"a",@progbits
	.p2align	6, 0x0
	.amdhsa_kernel _ZN2at6native12_GLOBAL__N_135CatArrayBatchedCopy_alignedK_contigINS1_10OpaqueTypeILj16EEEjLi2ELi128ELi1ELi16EEEvPT_NS1_25CatArrInputTensorMetadataIS5_T0_XT2_EXT3_EEENS1_16TensorSizeStrideIS8_Lj4EEEiS8_
		.amdhsa_group_segment_fixed_size 0
		.amdhsa_private_segment_fixed_size 0
		.amdhsa_kernarg_size 3024
		.amdhsa_user_sgpr_count 6
		.amdhsa_user_sgpr_private_segment_buffer 1
		.amdhsa_user_sgpr_dispatch_ptr 0
		.amdhsa_user_sgpr_queue_ptr 0
		.amdhsa_user_sgpr_kernarg_segment_ptr 1
		.amdhsa_user_sgpr_dispatch_id 0
		.amdhsa_user_sgpr_flat_scratch_init 0
		.amdhsa_user_sgpr_private_segment_size 0
		.amdhsa_wavefront_size32 1
		.amdhsa_uses_dynamic_stack 0
		.amdhsa_system_sgpr_private_segment_wavefront_offset 0
		.amdhsa_system_sgpr_workgroup_id_x 1
		.amdhsa_system_sgpr_workgroup_id_y 1
		.amdhsa_system_sgpr_workgroup_id_z 0
		.amdhsa_system_sgpr_workgroup_info 0
		.amdhsa_system_vgpr_workitem_id 0
		.amdhsa_next_free_vgpr 15
		.amdhsa_next_free_sgpr 17
		.amdhsa_reserve_vcc 1
		.amdhsa_reserve_flat_scratch 0
		.amdhsa_float_round_mode_32 0
		.amdhsa_float_round_mode_16_64 0
		.amdhsa_float_denorm_mode_32 3
		.amdhsa_float_denorm_mode_16_64 3
		.amdhsa_dx10_clamp 1
		.amdhsa_ieee_mode 1
		.amdhsa_fp16_overflow 0
		.amdhsa_workgroup_processor_mode 1
		.amdhsa_memory_ordered 1
		.amdhsa_forward_progress 1
		.amdhsa_shared_vgpr_count 0
		.amdhsa_exception_fp_ieee_invalid_op 0
		.amdhsa_exception_fp_denorm_src 0
		.amdhsa_exception_fp_ieee_div_zero 0
		.amdhsa_exception_fp_ieee_overflow 0
		.amdhsa_exception_fp_ieee_underflow 0
		.amdhsa_exception_fp_ieee_inexact 0
		.amdhsa_exception_int_div_zero 0
	.end_amdhsa_kernel
	.section	.text._ZN2at6native12_GLOBAL__N_135CatArrayBatchedCopy_alignedK_contigINS1_10OpaqueTypeILj16EEEjLi2ELi128ELi1ELi16EEEvPT_NS1_25CatArrInputTensorMetadataIS5_T0_XT2_EXT3_EEENS1_16TensorSizeStrideIS8_Lj4EEEiS8_,"axG",@progbits,_ZN2at6native12_GLOBAL__N_135CatArrayBatchedCopy_alignedK_contigINS1_10OpaqueTypeILj16EEEjLi2ELi128ELi1ELi16EEEvPT_NS1_25CatArrInputTensorMetadataIS5_T0_XT2_EXT3_EEENS1_16TensorSizeStrideIS8_Lj4EEEiS8_,comdat
.Lfunc_end86:
	.size	_ZN2at6native12_GLOBAL__N_135CatArrayBatchedCopy_alignedK_contigINS1_10OpaqueTypeILj16EEEjLi2ELi128ELi1ELi16EEEvPT_NS1_25CatArrInputTensorMetadataIS5_T0_XT2_EXT3_EEENS1_16TensorSizeStrideIS8_Lj4EEEiS8_, .Lfunc_end86-_ZN2at6native12_GLOBAL__N_135CatArrayBatchedCopy_alignedK_contigINS1_10OpaqueTypeILj16EEEjLi2ELi128ELi1ELi16EEEvPT_NS1_25CatArrInputTensorMetadataIS5_T0_XT2_EXT3_EEENS1_16TensorSizeStrideIS8_Lj4EEEiS8_
                                        ; -- End function
	.set _ZN2at6native12_GLOBAL__N_135CatArrayBatchedCopy_alignedK_contigINS1_10OpaqueTypeILj16EEEjLi2ELi128ELi1ELi16EEEvPT_NS1_25CatArrInputTensorMetadataIS5_T0_XT2_EXT3_EEENS1_16TensorSizeStrideIS8_Lj4EEEiS8_.num_vgpr, 15
	.set _ZN2at6native12_GLOBAL__N_135CatArrayBatchedCopy_alignedK_contigINS1_10OpaqueTypeILj16EEEjLi2ELi128ELi1ELi16EEEvPT_NS1_25CatArrInputTensorMetadataIS5_T0_XT2_EXT3_EEENS1_16TensorSizeStrideIS8_Lj4EEEiS8_.num_agpr, 0
	.set _ZN2at6native12_GLOBAL__N_135CatArrayBatchedCopy_alignedK_contigINS1_10OpaqueTypeILj16EEEjLi2ELi128ELi1ELi16EEEvPT_NS1_25CatArrInputTensorMetadataIS5_T0_XT2_EXT3_EEENS1_16TensorSizeStrideIS8_Lj4EEEiS8_.numbered_sgpr, 17
	.set _ZN2at6native12_GLOBAL__N_135CatArrayBatchedCopy_alignedK_contigINS1_10OpaqueTypeILj16EEEjLi2ELi128ELi1ELi16EEEvPT_NS1_25CatArrInputTensorMetadataIS5_T0_XT2_EXT3_EEENS1_16TensorSizeStrideIS8_Lj4EEEiS8_.num_named_barrier, 0
	.set _ZN2at6native12_GLOBAL__N_135CatArrayBatchedCopy_alignedK_contigINS1_10OpaqueTypeILj16EEEjLi2ELi128ELi1ELi16EEEvPT_NS1_25CatArrInputTensorMetadataIS5_T0_XT2_EXT3_EEENS1_16TensorSizeStrideIS8_Lj4EEEiS8_.private_seg_size, 0
	.set _ZN2at6native12_GLOBAL__N_135CatArrayBatchedCopy_alignedK_contigINS1_10OpaqueTypeILj16EEEjLi2ELi128ELi1ELi16EEEvPT_NS1_25CatArrInputTensorMetadataIS5_T0_XT2_EXT3_EEENS1_16TensorSizeStrideIS8_Lj4EEEiS8_.uses_vcc, 1
	.set _ZN2at6native12_GLOBAL__N_135CatArrayBatchedCopy_alignedK_contigINS1_10OpaqueTypeILj16EEEjLi2ELi128ELi1ELi16EEEvPT_NS1_25CatArrInputTensorMetadataIS5_T0_XT2_EXT3_EEENS1_16TensorSizeStrideIS8_Lj4EEEiS8_.uses_flat_scratch, 0
	.set _ZN2at6native12_GLOBAL__N_135CatArrayBatchedCopy_alignedK_contigINS1_10OpaqueTypeILj16EEEjLi2ELi128ELi1ELi16EEEvPT_NS1_25CatArrInputTensorMetadataIS5_T0_XT2_EXT3_EEENS1_16TensorSizeStrideIS8_Lj4EEEiS8_.has_dyn_sized_stack, 0
	.set _ZN2at6native12_GLOBAL__N_135CatArrayBatchedCopy_alignedK_contigINS1_10OpaqueTypeILj16EEEjLi2ELi128ELi1ELi16EEEvPT_NS1_25CatArrInputTensorMetadataIS5_T0_XT2_EXT3_EEENS1_16TensorSizeStrideIS8_Lj4EEEiS8_.has_recursion, 0
	.set _ZN2at6native12_GLOBAL__N_135CatArrayBatchedCopy_alignedK_contigINS1_10OpaqueTypeILj16EEEjLi2ELi128ELi1ELi16EEEvPT_NS1_25CatArrInputTensorMetadataIS5_T0_XT2_EXT3_EEENS1_16TensorSizeStrideIS8_Lj4EEEiS8_.has_indirect_call, 0
	.section	.AMDGPU.csdata,"",@progbits
; Kernel info:
; codeLenInByte = 832
; TotalNumSgprs: 19
; NumVgprs: 15
; ScratchSize: 0
; MemoryBound: 0
; FloatMode: 240
; IeeeMode: 1
; LDSByteSize: 0 bytes/workgroup (compile time only)
; SGPRBlocks: 0
; VGPRBlocks: 1
; NumSGPRsForWavesPerEU: 19
; NumVGPRsForWavesPerEU: 15
; Occupancy: 16
; WaveLimiterHint : 1
; COMPUTE_PGM_RSRC2:SCRATCH_EN: 0
; COMPUTE_PGM_RSRC2:USER_SGPR: 6
; COMPUTE_PGM_RSRC2:TRAP_HANDLER: 0
; COMPUTE_PGM_RSRC2:TGID_X_EN: 1
; COMPUTE_PGM_RSRC2:TGID_Y_EN: 1
; COMPUTE_PGM_RSRC2:TGID_Z_EN: 0
; COMPUTE_PGM_RSRC2:TIDIG_COMP_CNT: 0
	.section	.text._ZN2at6native12_GLOBAL__N_135CatArrayBatchedCopy_alignedK_contigINS1_10OpaqueTypeILj16EEEjLi2ELi128ELi1ELi8EEEvPT_NS1_25CatArrInputTensorMetadataIS5_T0_XT2_EXT3_EEENS1_16TensorSizeStrideIS8_Lj4EEEiS8_,"axG",@progbits,_ZN2at6native12_GLOBAL__N_135CatArrayBatchedCopy_alignedK_contigINS1_10OpaqueTypeILj16EEEjLi2ELi128ELi1ELi8EEEvPT_NS1_25CatArrInputTensorMetadataIS5_T0_XT2_EXT3_EEENS1_16TensorSizeStrideIS8_Lj4EEEiS8_,comdat
	.globl	_ZN2at6native12_GLOBAL__N_135CatArrayBatchedCopy_alignedK_contigINS1_10OpaqueTypeILj16EEEjLi2ELi128ELi1ELi8EEEvPT_NS1_25CatArrInputTensorMetadataIS5_T0_XT2_EXT3_EEENS1_16TensorSizeStrideIS8_Lj4EEEiS8_ ; -- Begin function _ZN2at6native12_GLOBAL__N_135CatArrayBatchedCopy_alignedK_contigINS1_10OpaqueTypeILj16EEEjLi2ELi128ELi1ELi8EEEvPT_NS1_25CatArrInputTensorMetadataIS5_T0_XT2_EXT3_EEENS1_16TensorSizeStrideIS8_Lj4EEEiS8_
	.p2align	8
	.type	_ZN2at6native12_GLOBAL__N_135CatArrayBatchedCopy_alignedK_contigINS1_10OpaqueTypeILj16EEEjLi2ELi128ELi1ELi8EEEvPT_NS1_25CatArrInputTensorMetadataIS5_T0_XT2_EXT3_EEENS1_16TensorSizeStrideIS8_Lj4EEEiS8_,@function
_ZN2at6native12_GLOBAL__N_135CatArrayBatchedCopy_alignedK_contigINS1_10OpaqueTypeILj16EEEjLi2ELi128ELi1ELi8EEEvPT_NS1_25CatArrInputTensorMetadataIS5_T0_XT2_EXT3_EEENS1_16TensorSizeStrideIS8_Lj4EEEiS8_: ; @_ZN2at6native12_GLOBAL__N_135CatArrayBatchedCopy_alignedK_contigINS1_10OpaqueTypeILj16EEEjLi2ELi128ELi1ELi8EEEvPT_NS1_25CatArrInputTensorMetadataIS5_T0_XT2_EXT3_EEENS1_16TensorSizeStrideIS8_Lj4EEEiS8_
; %bb.0:
	s_mov_b32 s0, s7
	s_load_dword s7, s[4:5], 0xadc
	s_mov_b32 s1, 0
	s_add_u32 s8, s4, 0xad0
	s_addc_u32 s9, s5, 0
	s_lshl_b64 s[2:3], s[0:1], 2
	s_mov_b32 s11, exec_lo
	s_waitcnt lgkmcnt(0)
	s_and_b32 s0, s7, 0xffff
	s_add_u32 s12, s4, s2
	s_addc_u32 s13, s5, s3
	v_mad_u64_u32 v[0:1], null, s6, s0, v[0:1]
	s_load_dword s10, s[12:13], 0x808
	s_add_u32 s6, s12, 8
	s_addc_u32 s7, s13, 0
	s_waitcnt lgkmcnt(0)
	v_cmpx_gt_u32_e64 s10, v0
	s_cbranch_execz .LBB87_6
; %bb.1:
	s_add_u32 s6, s6, s2
	s_addc_u32 s7, s7, s3
	s_sub_u32 s2, 0, s2
	s_subb_u32 s3, 0, s3
	s_add_u32 s12, s6, s2
	s_addc_u32 s13, s7, s3
	s_clause 0x4
	s_load_dwordx2 s[14:15], s[4:5], 0xac8
	s_load_dword s11, s[12:13], 0x600
	s_load_dword s16, s[4:5], 0xaac
	s_load_dwordx2 s[2:3], s[4:5], 0xab8
	s_load_dword s13, s[12:13], 0x400
	s_load_dword s9, s[8:9], 0x0
	s_clause 0x1
	s_load_dwordx2 s[4:5], s[4:5], 0x0
	s_load_dwordx2 s[6:7], s[6:7], 0x0
	s_waitcnt lgkmcnt(0)
	s_cmp_eq_u32 s14, 1
	s_cselect_b32 s11, s11, s16
	v_cvt_f32_u32_e32 v1, s11
	s_sub_i32 s12, 0, s11
	s_mul_i32 s9, s9, s0
	s_mul_i32 s8, s13, s15
	v_rcp_iflag_f32_e32 v1, v1
	v_mul_f32_e32 v1, 0x4f7ffffe, v1
	v_cvt_u32_f32_e32 v1, v1
	v_mul_lo_u32 v2, s12, v1
	v_mul_hi_u32 v3, v1, v2
	v_mov_b32_e32 v2, 0
	v_add_nc_u32_e32 v7, v1, v3
	v_add_nc_u32_e32 v3, 1, v0
	s_inst_prefetch 0x1
	.p2align	6
.LBB87_2:                               ; =>This Inner Loop Header: Depth=1
	v_add_nc_u32_e32 v1, -1, v3
	v_add_nc_u32_e32 v3, s9, v3
	v_lshlrev_b64 v[4:5], 4, v[1:2]
	v_mul_hi_u32 v6, v1, v7
	v_add_co_u32 v4, vcc_lo, s6, v4
	v_add_co_ci_u32_e64 v5, null, s7, v5, vcc_lo
	v_add_nc_u32_e32 v12, 1, v6
	global_load_dwordx4 v[8:11], v[4:5], off
	v_mul_hi_u32 v4, v7, v0
	v_mul_lo_u32 v5, s11, v4
	v_not_b32_e32 v4, v4
	v_sub_nc_u32_e32 v13, v0, v5
	v_mad_u64_u32 v[4:5], null, s11, v4, v[0:1]
	v_add_nc_u32_e32 v0, s9, v0
	v_cmp_le_u32_e32 vcc_lo, s11, v13
	v_cndmask_b32_e32 v5, v6, v12, vcc_lo
	v_cndmask_b32_e32 v4, v13, v4, vcc_lo
	v_add_nc_u32_e32 v6, 1, v5
	v_cmp_le_u32_e32 vcc_lo, s11, v4
	v_cndmask_b32_e32 v6, v5, v6, vcc_lo
	v_cmp_lt_u32_e32 vcc_lo, s10, v3
	v_mad_u64_u32 v[4:5], null, s12, v6, v[1:2]
	v_mul_lo_u32 v1, v6, s2
	s_or_b32 s1, vcc_lo, s1
	v_mul_lo_u32 v4, v4, s3
	v_add3_u32 v1, v4, v1, s8
	v_lshlrev_b64 v[4:5], 4, v[1:2]
	v_add_co_u32 v4, s0, s4, v4
	v_add_co_ci_u32_e64 v5, null, s5, v5, s0
	s_waitcnt vmcnt(0)
	global_store_dwordx4 v[4:5], v[8:11], off
	s_andn2_b32 exec_lo, exec_lo, s1
	s_cbranch_execnz .LBB87_2
; %bb.3:
	s_inst_prefetch 0x2
	s_or_b32 exec_lo, exec_lo, s1
	v_add_nc_u32_e32 v0, -1, v3
	v_cmp_gt_u32_e32 vcc_lo, s10, v0
	s_and_b32 exec_lo, exec_lo, vcc_lo
	s_cbranch_execz .LBB87_6
; %bb.4:
	v_mov_b32_e32 v2, 0
	v_mad_u64_u32 v[3:4], null, v7, v0, 0
	v_mov_b32_e32 v1, v2
	v_lshlrev_b64 v[5:6], 4, v[0:1]
	v_add_co_u32 v5, vcc_lo, s6, v5
	v_add_co_ci_u32_e64 v6, null, s7, v6, vcc_lo
	s_mov_b32 s6, 0
	s_inst_prefetch 0x1
	.p2align	6
.LBB87_5:                               ; =>This Inner Loop Header: Depth=1
	global_load_dwordx4 v[8:11], v[5:6], off
	v_mul_lo_u32 v1, s11, v4
	v_not_b32_e32 v12, v4
	v_add_nc_u32_e32 v14, 1, v4
	v_add_co_u32 v5, s0, v5, 16
	v_add_co_ci_u32_e64 v6, null, 0, v6, s0
	v_mad_u64_u32 v[12:13], null, s11, v12, v[0:1]
	v_sub_nc_u32_e32 v1, v0, v1
	v_cmp_le_u32_e32 vcc_lo, s11, v1
	v_cndmask_b32_e32 v13, v4, v14, vcc_lo
	v_cndmask_b32_e32 v1, v1, v12, vcc_lo
	v_add_nc_u32_e32 v12, 1, v13
	v_cmp_le_u32_e32 vcc_lo, s11, v1
	v_cndmask_b32_e32 v1, v13, v12, vcc_lo
	v_add_co_u32 v3, vcc_lo, v3, v7
	v_add_co_ci_u32_e64 v4, null, 0, v4, vcc_lo
	v_mad_u64_u32 v[12:13], null, s12, v1, v[0:1]
	v_mul_lo_u32 v1, v1, s2
	v_add_nc_u32_e32 v0, 1, v0
	v_mul_lo_u32 v12, v12, s3
	v_cmp_le_u32_e64 s0, s10, v0
	s_or_b32 s6, s0, s6
	v_add3_u32 v1, v1, s8, v12
	v_lshlrev_b64 v[12:13], 4, v[1:2]
	v_add_co_u32 v12, s1, s4, v12
	v_add_co_ci_u32_e64 v13, null, s5, v13, s1
	s_waitcnt vmcnt(0)
	global_store_dwordx4 v[12:13], v[8:11], off
	s_andn2_b32 exec_lo, exec_lo, s6
	s_cbranch_execnz .LBB87_5
.LBB87_6:
	s_inst_prefetch 0x2
	s_endpgm
	.section	.rodata,"a",@progbits
	.p2align	6, 0x0
	.amdhsa_kernel _ZN2at6native12_GLOBAL__N_135CatArrayBatchedCopy_alignedK_contigINS1_10OpaqueTypeILj16EEEjLi2ELi128ELi1ELi8EEEvPT_NS1_25CatArrInputTensorMetadataIS5_T0_XT2_EXT3_EEENS1_16TensorSizeStrideIS8_Lj4EEEiS8_
		.amdhsa_group_segment_fixed_size 0
		.amdhsa_private_segment_fixed_size 0
		.amdhsa_kernarg_size 3024
		.amdhsa_user_sgpr_count 6
		.amdhsa_user_sgpr_private_segment_buffer 1
		.amdhsa_user_sgpr_dispatch_ptr 0
		.amdhsa_user_sgpr_queue_ptr 0
		.amdhsa_user_sgpr_kernarg_segment_ptr 1
		.amdhsa_user_sgpr_dispatch_id 0
		.amdhsa_user_sgpr_flat_scratch_init 0
		.amdhsa_user_sgpr_private_segment_size 0
		.amdhsa_wavefront_size32 1
		.amdhsa_uses_dynamic_stack 0
		.amdhsa_system_sgpr_private_segment_wavefront_offset 0
		.amdhsa_system_sgpr_workgroup_id_x 1
		.amdhsa_system_sgpr_workgroup_id_y 1
		.amdhsa_system_sgpr_workgroup_id_z 0
		.amdhsa_system_sgpr_workgroup_info 0
		.amdhsa_system_vgpr_workitem_id 0
		.amdhsa_next_free_vgpr 15
		.amdhsa_next_free_sgpr 17
		.amdhsa_reserve_vcc 1
		.amdhsa_reserve_flat_scratch 0
		.amdhsa_float_round_mode_32 0
		.amdhsa_float_round_mode_16_64 0
		.amdhsa_float_denorm_mode_32 3
		.amdhsa_float_denorm_mode_16_64 3
		.amdhsa_dx10_clamp 1
		.amdhsa_ieee_mode 1
		.amdhsa_fp16_overflow 0
		.amdhsa_workgroup_processor_mode 1
		.amdhsa_memory_ordered 1
		.amdhsa_forward_progress 1
		.amdhsa_shared_vgpr_count 0
		.amdhsa_exception_fp_ieee_invalid_op 0
		.amdhsa_exception_fp_denorm_src 0
		.amdhsa_exception_fp_ieee_div_zero 0
		.amdhsa_exception_fp_ieee_overflow 0
		.amdhsa_exception_fp_ieee_underflow 0
		.amdhsa_exception_fp_ieee_inexact 0
		.amdhsa_exception_int_div_zero 0
	.end_amdhsa_kernel
	.section	.text._ZN2at6native12_GLOBAL__N_135CatArrayBatchedCopy_alignedK_contigINS1_10OpaqueTypeILj16EEEjLi2ELi128ELi1ELi8EEEvPT_NS1_25CatArrInputTensorMetadataIS5_T0_XT2_EXT3_EEENS1_16TensorSizeStrideIS8_Lj4EEEiS8_,"axG",@progbits,_ZN2at6native12_GLOBAL__N_135CatArrayBatchedCopy_alignedK_contigINS1_10OpaqueTypeILj16EEEjLi2ELi128ELi1ELi8EEEvPT_NS1_25CatArrInputTensorMetadataIS5_T0_XT2_EXT3_EEENS1_16TensorSizeStrideIS8_Lj4EEEiS8_,comdat
.Lfunc_end87:
	.size	_ZN2at6native12_GLOBAL__N_135CatArrayBatchedCopy_alignedK_contigINS1_10OpaqueTypeILj16EEEjLi2ELi128ELi1ELi8EEEvPT_NS1_25CatArrInputTensorMetadataIS5_T0_XT2_EXT3_EEENS1_16TensorSizeStrideIS8_Lj4EEEiS8_, .Lfunc_end87-_ZN2at6native12_GLOBAL__N_135CatArrayBatchedCopy_alignedK_contigINS1_10OpaqueTypeILj16EEEjLi2ELi128ELi1ELi8EEEvPT_NS1_25CatArrInputTensorMetadataIS5_T0_XT2_EXT3_EEENS1_16TensorSizeStrideIS8_Lj4EEEiS8_
                                        ; -- End function
	.set _ZN2at6native12_GLOBAL__N_135CatArrayBatchedCopy_alignedK_contigINS1_10OpaqueTypeILj16EEEjLi2ELi128ELi1ELi8EEEvPT_NS1_25CatArrInputTensorMetadataIS5_T0_XT2_EXT3_EEENS1_16TensorSizeStrideIS8_Lj4EEEiS8_.num_vgpr, 15
	.set _ZN2at6native12_GLOBAL__N_135CatArrayBatchedCopy_alignedK_contigINS1_10OpaqueTypeILj16EEEjLi2ELi128ELi1ELi8EEEvPT_NS1_25CatArrInputTensorMetadataIS5_T0_XT2_EXT3_EEENS1_16TensorSizeStrideIS8_Lj4EEEiS8_.num_agpr, 0
	.set _ZN2at6native12_GLOBAL__N_135CatArrayBatchedCopy_alignedK_contigINS1_10OpaqueTypeILj16EEEjLi2ELi128ELi1ELi8EEEvPT_NS1_25CatArrInputTensorMetadataIS5_T0_XT2_EXT3_EEENS1_16TensorSizeStrideIS8_Lj4EEEiS8_.numbered_sgpr, 17
	.set _ZN2at6native12_GLOBAL__N_135CatArrayBatchedCopy_alignedK_contigINS1_10OpaqueTypeILj16EEEjLi2ELi128ELi1ELi8EEEvPT_NS1_25CatArrInputTensorMetadataIS5_T0_XT2_EXT3_EEENS1_16TensorSizeStrideIS8_Lj4EEEiS8_.num_named_barrier, 0
	.set _ZN2at6native12_GLOBAL__N_135CatArrayBatchedCopy_alignedK_contigINS1_10OpaqueTypeILj16EEEjLi2ELi128ELi1ELi8EEEvPT_NS1_25CatArrInputTensorMetadataIS5_T0_XT2_EXT3_EEENS1_16TensorSizeStrideIS8_Lj4EEEiS8_.private_seg_size, 0
	.set _ZN2at6native12_GLOBAL__N_135CatArrayBatchedCopy_alignedK_contigINS1_10OpaqueTypeILj16EEEjLi2ELi128ELi1ELi8EEEvPT_NS1_25CatArrInputTensorMetadataIS5_T0_XT2_EXT3_EEENS1_16TensorSizeStrideIS8_Lj4EEEiS8_.uses_vcc, 1
	.set _ZN2at6native12_GLOBAL__N_135CatArrayBatchedCopy_alignedK_contigINS1_10OpaqueTypeILj16EEEjLi2ELi128ELi1ELi8EEEvPT_NS1_25CatArrInputTensorMetadataIS5_T0_XT2_EXT3_EEENS1_16TensorSizeStrideIS8_Lj4EEEiS8_.uses_flat_scratch, 0
	.set _ZN2at6native12_GLOBAL__N_135CatArrayBatchedCopy_alignedK_contigINS1_10OpaqueTypeILj16EEEjLi2ELi128ELi1ELi8EEEvPT_NS1_25CatArrInputTensorMetadataIS5_T0_XT2_EXT3_EEENS1_16TensorSizeStrideIS8_Lj4EEEiS8_.has_dyn_sized_stack, 0
	.set _ZN2at6native12_GLOBAL__N_135CatArrayBatchedCopy_alignedK_contigINS1_10OpaqueTypeILj16EEEjLi2ELi128ELi1ELi8EEEvPT_NS1_25CatArrInputTensorMetadataIS5_T0_XT2_EXT3_EEENS1_16TensorSizeStrideIS8_Lj4EEEiS8_.has_recursion, 0
	.set _ZN2at6native12_GLOBAL__N_135CatArrayBatchedCopy_alignedK_contigINS1_10OpaqueTypeILj16EEEjLi2ELi128ELi1ELi8EEEvPT_NS1_25CatArrInputTensorMetadataIS5_T0_XT2_EXT3_EEENS1_16TensorSizeStrideIS8_Lj4EEEiS8_.has_indirect_call, 0
	.section	.AMDGPU.csdata,"",@progbits
; Kernel info:
; codeLenInByte = 832
; TotalNumSgprs: 19
; NumVgprs: 15
; ScratchSize: 0
; MemoryBound: 0
; FloatMode: 240
; IeeeMode: 1
; LDSByteSize: 0 bytes/workgroup (compile time only)
; SGPRBlocks: 0
; VGPRBlocks: 1
; NumSGPRsForWavesPerEU: 19
; NumVGPRsForWavesPerEU: 15
; Occupancy: 16
; WaveLimiterHint : 1
; COMPUTE_PGM_RSRC2:SCRATCH_EN: 0
; COMPUTE_PGM_RSRC2:USER_SGPR: 6
; COMPUTE_PGM_RSRC2:TRAP_HANDLER: 0
; COMPUTE_PGM_RSRC2:TGID_X_EN: 1
; COMPUTE_PGM_RSRC2:TGID_Y_EN: 1
; COMPUTE_PGM_RSRC2:TGID_Z_EN: 0
; COMPUTE_PGM_RSRC2:TIDIG_COMP_CNT: 0
	.section	.text._ZN2at6native12_GLOBAL__N_126CatArrayBatchedCopy_contigINS1_10OpaqueTypeILj16EEEjLi2ELi128ELi1EEEvPT_NS1_25CatArrInputTensorMetadataIS5_T0_XT2_EXT3_EEENS1_16TensorSizeStrideIS8_Lj4EEEiS8_,"axG",@progbits,_ZN2at6native12_GLOBAL__N_126CatArrayBatchedCopy_contigINS1_10OpaqueTypeILj16EEEjLi2ELi128ELi1EEEvPT_NS1_25CatArrInputTensorMetadataIS5_T0_XT2_EXT3_EEENS1_16TensorSizeStrideIS8_Lj4EEEiS8_,comdat
	.globl	_ZN2at6native12_GLOBAL__N_126CatArrayBatchedCopy_contigINS1_10OpaqueTypeILj16EEEjLi2ELi128ELi1EEEvPT_NS1_25CatArrInputTensorMetadataIS5_T0_XT2_EXT3_EEENS1_16TensorSizeStrideIS8_Lj4EEEiS8_ ; -- Begin function _ZN2at6native12_GLOBAL__N_126CatArrayBatchedCopy_contigINS1_10OpaqueTypeILj16EEEjLi2ELi128ELi1EEEvPT_NS1_25CatArrInputTensorMetadataIS5_T0_XT2_EXT3_EEENS1_16TensorSizeStrideIS8_Lj4EEEiS8_
	.p2align	8
	.type	_ZN2at6native12_GLOBAL__N_126CatArrayBatchedCopy_contigINS1_10OpaqueTypeILj16EEEjLi2ELi128ELi1EEEvPT_NS1_25CatArrInputTensorMetadataIS5_T0_XT2_EXT3_EEENS1_16TensorSizeStrideIS8_Lj4EEEiS8_,@function
_ZN2at6native12_GLOBAL__N_126CatArrayBatchedCopy_contigINS1_10OpaqueTypeILj16EEEjLi2ELi128ELi1EEEvPT_NS1_25CatArrInputTensorMetadataIS5_T0_XT2_EXT3_EEENS1_16TensorSizeStrideIS8_Lj4EEEiS8_: ; @_ZN2at6native12_GLOBAL__N_126CatArrayBatchedCopy_contigINS1_10OpaqueTypeILj16EEEjLi2ELi128ELi1EEEvPT_NS1_25CatArrInputTensorMetadataIS5_T0_XT2_EXT3_EEENS1_16TensorSizeStrideIS8_Lj4EEEiS8_
; %bb.0:
	s_mov_b32 s0, s7
	s_load_dword s7, s[4:5], 0xadc
	s_mov_b32 s1, 0
	s_add_u32 s8, s4, 0xad0
	s_addc_u32 s9, s5, 0
	s_lshl_b64 s[2:3], s[0:1], 2
	s_mov_b32 s11, exec_lo
	s_waitcnt lgkmcnt(0)
	s_and_b32 s0, s7, 0xffff
	s_add_u32 s12, s4, s2
	s_addc_u32 s13, s5, s3
	v_mad_u64_u32 v[0:1], null, s6, s0, v[0:1]
	s_load_dword s10, s[12:13], 0x808
	s_add_u32 s6, s12, 8
	s_addc_u32 s7, s13, 0
	s_waitcnt lgkmcnt(0)
	v_cmpx_gt_u32_e64 s10, v0
	s_cbranch_execz .LBB88_3
; %bb.1:
	s_add_u32 s6, s6, s2
	s_addc_u32 s7, s7, s3
	s_sub_u32 s2, 0, s2
	s_subb_u32 s3, 0, s3
	s_add_u32 s12, s6, s2
	s_addc_u32 s13, s7, s3
	s_clause 0x4
	s_load_dwordx2 s[14:15], s[4:5], 0xac8
	s_load_dword s11, s[12:13], 0x600
	s_load_dword s16, s[4:5], 0xaac
	s_load_dwordx2 s[2:3], s[4:5], 0xab8
	s_load_dword s13, s[12:13], 0x400
	s_load_dword s9, s[8:9], 0x0
	s_clause 0x1
	s_load_dwordx2 s[4:5], s[4:5], 0x0
	s_load_dwordx2 s[6:7], s[6:7], 0x0
	s_waitcnt lgkmcnt(0)
	s_cmp_eq_u32 s14, 1
	s_cselect_b32 s11, s11, s16
	v_cvt_f32_u32_e32 v1, s11
	s_sub_i32 s12, 0, s11
	s_mul_i32 s8, s13, s15
	s_mul_i32 s9, s9, s0
	v_rcp_iflag_f32_e32 v1, v1
	v_mul_f32_e32 v1, 0x4f7ffffe, v1
	v_cvt_u32_f32_e32 v1, v1
	v_mul_lo_u32 v2, s12, v1
	v_mul_hi_u32 v2, v1, v2
	v_add_nc_u32_e32 v2, v1, v2
	v_mov_b32_e32 v1, 0
	s_inst_prefetch 0x1
	.p2align	6
.LBB88_2:                               ; =>This Inner Loop Header: Depth=1
	v_lshlrev_b64 v[3:4], 4, v[0:1]
	v_mul_hi_u32 v9, v2, v0
	v_add_co_u32 v3, vcc_lo, s6, v3
	v_add_co_ci_u32_e64 v4, null, s7, v4, vcc_lo
	v_mul_lo_u32 v7, s11, v9
	v_not_b32_e32 v8, v9
	v_add_nc_u32_e32 v10, 1, v9
	global_load_dwordx4 v[3:6], v[3:4], off
	v_sub_nc_u32_e32 v11, v0, v7
	v_mad_u64_u32 v[7:8], null, s11, v8, v[0:1]
	v_cmp_le_u32_e32 vcc_lo, s11, v11
	v_cndmask_b32_e32 v8, v9, v10, vcc_lo
	v_cndmask_b32_e32 v7, v11, v7, vcc_lo
	v_add_nc_u32_e32 v9, 1, v8
	v_cmp_le_u32_e32 vcc_lo, s11, v7
	v_cndmask_b32_e32 v9, v8, v9, vcc_lo
	v_mad_u64_u32 v[7:8], null, s12, v9, v[0:1]
	v_mul_lo_u32 v9, v9, s2
	v_mov_b32_e32 v8, v1
	v_add_nc_u32_e32 v0, s9, v0
	v_mul_lo_u32 v7, v7, s3
	v_cmp_le_u32_e32 vcc_lo, s10, v0
	s_or_b32 s1, vcc_lo, s1
	v_add3_u32 v7, v9, s8, v7
	v_lshlrev_b64 v[7:8], 4, v[7:8]
	v_add_co_u32 v7, s0, s4, v7
	v_add_co_ci_u32_e64 v8, null, s5, v8, s0
	s_waitcnt vmcnt(0)
	global_store_dwordx4 v[7:8], v[3:6], off
	s_andn2_b32 exec_lo, exec_lo, s1
	s_cbranch_execnz .LBB88_2
.LBB88_3:
	s_inst_prefetch 0x2
	s_endpgm
	.section	.rodata,"a",@progbits
	.p2align	6, 0x0
	.amdhsa_kernel _ZN2at6native12_GLOBAL__N_126CatArrayBatchedCopy_contigINS1_10OpaqueTypeILj16EEEjLi2ELi128ELi1EEEvPT_NS1_25CatArrInputTensorMetadataIS5_T0_XT2_EXT3_EEENS1_16TensorSizeStrideIS8_Lj4EEEiS8_
		.amdhsa_group_segment_fixed_size 0
		.amdhsa_private_segment_fixed_size 0
		.amdhsa_kernarg_size 3024
		.amdhsa_user_sgpr_count 6
		.amdhsa_user_sgpr_private_segment_buffer 1
		.amdhsa_user_sgpr_dispatch_ptr 0
		.amdhsa_user_sgpr_queue_ptr 0
		.amdhsa_user_sgpr_kernarg_segment_ptr 1
		.amdhsa_user_sgpr_dispatch_id 0
		.amdhsa_user_sgpr_flat_scratch_init 0
		.amdhsa_user_sgpr_private_segment_size 0
		.amdhsa_wavefront_size32 1
		.amdhsa_uses_dynamic_stack 0
		.amdhsa_system_sgpr_private_segment_wavefront_offset 0
		.amdhsa_system_sgpr_workgroup_id_x 1
		.amdhsa_system_sgpr_workgroup_id_y 1
		.amdhsa_system_sgpr_workgroup_id_z 0
		.amdhsa_system_sgpr_workgroup_info 0
		.amdhsa_system_vgpr_workitem_id 0
		.amdhsa_next_free_vgpr 12
		.amdhsa_next_free_sgpr 17
		.amdhsa_reserve_vcc 1
		.amdhsa_reserve_flat_scratch 0
		.amdhsa_float_round_mode_32 0
		.amdhsa_float_round_mode_16_64 0
		.amdhsa_float_denorm_mode_32 3
		.amdhsa_float_denorm_mode_16_64 3
		.amdhsa_dx10_clamp 1
		.amdhsa_ieee_mode 1
		.amdhsa_fp16_overflow 0
		.amdhsa_workgroup_processor_mode 1
		.amdhsa_memory_ordered 1
		.amdhsa_forward_progress 1
		.amdhsa_shared_vgpr_count 0
		.amdhsa_exception_fp_ieee_invalid_op 0
		.amdhsa_exception_fp_denorm_src 0
		.amdhsa_exception_fp_ieee_div_zero 0
		.amdhsa_exception_fp_ieee_overflow 0
		.amdhsa_exception_fp_ieee_underflow 0
		.amdhsa_exception_fp_ieee_inexact 0
		.amdhsa_exception_int_div_zero 0
	.end_amdhsa_kernel
	.section	.text._ZN2at6native12_GLOBAL__N_126CatArrayBatchedCopy_contigINS1_10OpaqueTypeILj16EEEjLi2ELi128ELi1EEEvPT_NS1_25CatArrInputTensorMetadataIS5_T0_XT2_EXT3_EEENS1_16TensorSizeStrideIS8_Lj4EEEiS8_,"axG",@progbits,_ZN2at6native12_GLOBAL__N_126CatArrayBatchedCopy_contigINS1_10OpaqueTypeILj16EEEjLi2ELi128ELi1EEEvPT_NS1_25CatArrInputTensorMetadataIS5_T0_XT2_EXT3_EEENS1_16TensorSizeStrideIS8_Lj4EEEiS8_,comdat
.Lfunc_end88:
	.size	_ZN2at6native12_GLOBAL__N_126CatArrayBatchedCopy_contigINS1_10OpaqueTypeILj16EEEjLi2ELi128ELi1EEEvPT_NS1_25CatArrInputTensorMetadataIS5_T0_XT2_EXT3_EEENS1_16TensorSizeStrideIS8_Lj4EEEiS8_, .Lfunc_end88-_ZN2at6native12_GLOBAL__N_126CatArrayBatchedCopy_contigINS1_10OpaqueTypeILj16EEEjLi2ELi128ELi1EEEvPT_NS1_25CatArrInputTensorMetadataIS5_T0_XT2_EXT3_EEENS1_16TensorSizeStrideIS8_Lj4EEEiS8_
                                        ; -- End function
	.set _ZN2at6native12_GLOBAL__N_126CatArrayBatchedCopy_contigINS1_10OpaqueTypeILj16EEEjLi2ELi128ELi1EEEvPT_NS1_25CatArrInputTensorMetadataIS5_T0_XT2_EXT3_EEENS1_16TensorSizeStrideIS8_Lj4EEEiS8_.num_vgpr, 12
	.set _ZN2at6native12_GLOBAL__N_126CatArrayBatchedCopy_contigINS1_10OpaqueTypeILj16EEEjLi2ELi128ELi1EEEvPT_NS1_25CatArrInputTensorMetadataIS5_T0_XT2_EXT3_EEENS1_16TensorSizeStrideIS8_Lj4EEEiS8_.num_agpr, 0
	.set _ZN2at6native12_GLOBAL__N_126CatArrayBatchedCopy_contigINS1_10OpaqueTypeILj16EEEjLi2ELi128ELi1EEEvPT_NS1_25CatArrInputTensorMetadataIS5_T0_XT2_EXT3_EEENS1_16TensorSizeStrideIS8_Lj4EEEiS8_.numbered_sgpr, 17
	.set _ZN2at6native12_GLOBAL__N_126CatArrayBatchedCopy_contigINS1_10OpaqueTypeILj16EEEjLi2ELi128ELi1EEEvPT_NS1_25CatArrInputTensorMetadataIS5_T0_XT2_EXT3_EEENS1_16TensorSizeStrideIS8_Lj4EEEiS8_.num_named_barrier, 0
	.set _ZN2at6native12_GLOBAL__N_126CatArrayBatchedCopy_contigINS1_10OpaqueTypeILj16EEEjLi2ELi128ELi1EEEvPT_NS1_25CatArrInputTensorMetadataIS5_T0_XT2_EXT3_EEENS1_16TensorSizeStrideIS8_Lj4EEEiS8_.private_seg_size, 0
	.set _ZN2at6native12_GLOBAL__N_126CatArrayBatchedCopy_contigINS1_10OpaqueTypeILj16EEEjLi2ELi128ELi1EEEvPT_NS1_25CatArrInputTensorMetadataIS5_T0_XT2_EXT3_EEENS1_16TensorSizeStrideIS8_Lj4EEEiS8_.uses_vcc, 1
	.set _ZN2at6native12_GLOBAL__N_126CatArrayBatchedCopy_contigINS1_10OpaqueTypeILj16EEEjLi2ELi128ELi1EEEvPT_NS1_25CatArrInputTensorMetadataIS5_T0_XT2_EXT3_EEENS1_16TensorSizeStrideIS8_Lj4EEEiS8_.uses_flat_scratch, 0
	.set _ZN2at6native12_GLOBAL__N_126CatArrayBatchedCopy_contigINS1_10OpaqueTypeILj16EEEjLi2ELi128ELi1EEEvPT_NS1_25CatArrInputTensorMetadataIS5_T0_XT2_EXT3_EEENS1_16TensorSizeStrideIS8_Lj4EEEiS8_.has_dyn_sized_stack, 0
	.set _ZN2at6native12_GLOBAL__N_126CatArrayBatchedCopy_contigINS1_10OpaqueTypeILj16EEEjLi2ELi128ELi1EEEvPT_NS1_25CatArrInputTensorMetadataIS5_T0_XT2_EXT3_EEENS1_16TensorSizeStrideIS8_Lj4EEEiS8_.has_recursion, 0
	.set _ZN2at6native12_GLOBAL__N_126CatArrayBatchedCopy_contigINS1_10OpaqueTypeILj16EEEjLi2ELi128ELi1EEEvPT_NS1_25CatArrInputTensorMetadataIS5_T0_XT2_EXT3_EEENS1_16TensorSizeStrideIS8_Lj4EEEiS8_.has_indirect_call, 0
	.section	.AMDGPU.csdata,"",@progbits
; Kernel info:
; codeLenInByte = 512
; TotalNumSgprs: 19
; NumVgprs: 12
; ScratchSize: 0
; MemoryBound: 0
; FloatMode: 240
; IeeeMode: 1
; LDSByteSize: 0 bytes/workgroup (compile time only)
; SGPRBlocks: 0
; VGPRBlocks: 1
; NumSGPRsForWavesPerEU: 19
; NumVGPRsForWavesPerEU: 12
; Occupancy: 16
; WaveLimiterHint : 1
; COMPUTE_PGM_RSRC2:SCRATCH_EN: 0
; COMPUTE_PGM_RSRC2:USER_SGPR: 6
; COMPUTE_PGM_RSRC2:TRAP_HANDLER: 0
; COMPUTE_PGM_RSRC2:TGID_X_EN: 1
; COMPUTE_PGM_RSRC2:TGID_Y_EN: 1
; COMPUTE_PGM_RSRC2:TGID_Z_EN: 0
; COMPUTE_PGM_RSRC2:TIDIG_COMP_CNT: 0
	.section	.text._ZN2at6native12_GLOBAL__N_119CatArrayBatchedCopyINS1_10OpaqueTypeILj16EEEjLi2ELi128ELi1EEEvPT_NS1_25CatArrInputTensorMetadataIS5_T0_XT2_EXT3_EEENS1_16TensorSizeStrideIS8_Lj4EEEiS8_,"axG",@progbits,_ZN2at6native12_GLOBAL__N_119CatArrayBatchedCopyINS1_10OpaqueTypeILj16EEEjLi2ELi128ELi1EEEvPT_NS1_25CatArrInputTensorMetadataIS5_T0_XT2_EXT3_EEENS1_16TensorSizeStrideIS8_Lj4EEEiS8_,comdat
	.globl	_ZN2at6native12_GLOBAL__N_119CatArrayBatchedCopyINS1_10OpaqueTypeILj16EEEjLi2ELi128ELi1EEEvPT_NS1_25CatArrInputTensorMetadataIS5_T0_XT2_EXT3_EEENS1_16TensorSizeStrideIS8_Lj4EEEiS8_ ; -- Begin function _ZN2at6native12_GLOBAL__N_119CatArrayBatchedCopyINS1_10OpaqueTypeILj16EEEjLi2ELi128ELi1EEEvPT_NS1_25CatArrInputTensorMetadataIS5_T0_XT2_EXT3_EEENS1_16TensorSizeStrideIS8_Lj4EEEiS8_
	.p2align	8
	.type	_ZN2at6native12_GLOBAL__N_119CatArrayBatchedCopyINS1_10OpaqueTypeILj16EEEjLi2ELi128ELi1EEEvPT_NS1_25CatArrInputTensorMetadataIS5_T0_XT2_EXT3_EEENS1_16TensorSizeStrideIS8_Lj4EEEiS8_,@function
_ZN2at6native12_GLOBAL__N_119CatArrayBatchedCopyINS1_10OpaqueTypeILj16EEEjLi2ELi128ELi1EEEvPT_NS1_25CatArrInputTensorMetadataIS5_T0_XT2_EXT3_EEENS1_16TensorSizeStrideIS8_Lj4EEEiS8_: ; @_ZN2at6native12_GLOBAL__N_119CatArrayBatchedCopyINS1_10OpaqueTypeILj16EEEjLi2ELi128ELi1EEEvPT_NS1_25CatArrInputTensorMetadataIS5_T0_XT2_EXT3_EEENS1_16TensorSizeStrideIS8_Lj4EEEiS8_
; %bb.0:
	s_load_dword s3, s[4:5], 0xadc
	s_mov_b32 s0, s7
	s_or_b32 s2, s4, 8
	s_mov_b32 s1, 0
	s_add_u32 s8, s4, 0xad0
	s_addc_u32 s9, s5, 0
	s_lshl_b64 s[10:11], s[0:1], 2
	s_waitcnt lgkmcnt(0)
	s_and_b32 s17, s3, 0xffff
	s_add_u32 s12, s2, s10
	s_addc_u32 s13, s5, s11
	v_mad_u64_u32 v[0:1], null, s6, s17, v[0:1]
	s_load_dword s14, s[12:13], 0x800
	s_mov_b32 s6, exec_lo
	s_waitcnt lgkmcnt(0)
	v_cmpx_gt_u32_e64 s14, v0
	s_cbranch_execz .LBB89_5
; %bb.1:
	v_mov_b32_e32 v1, 0x800
	s_add_u32 s6, s2, s0
	s_addc_u32 s7, s5, 0
	s_mov_b32 s3, s5
	global_load_ubyte v1, v1, s[6:7] offset:512
	s_waitcnt vmcnt(0)
	v_and_b32_e32 v1, 1, v1
	v_cmp_eq_u32_e32 vcc_lo, 1, v1
	s_xor_b32 s15, vcc_lo, -1
	s_add_u32 s18, s12, s10
	s_addc_u32 s19, s13, s11
	s_sub_u32 s0, 0, s10
	s_subb_u32 s7, 0, s11
	s_add_u32 s6, s18, s0
	s_addc_u32 s7, s19, s7
	s_clause 0x5
	s_load_dwordx2 s[20:21], s[4:5], 0xac8
	s_load_dword s0, s[6:7], 0x600
	s_load_dword s10, s[4:5], 0xaac
	;; [unrolled: 1-line block ×3, first 2 shown]
	s_load_dwordx2 s[2:3], s[2:3], 0xa90
	s_load_dword s16, s[6:7], 0x400
	s_waitcnt lgkmcnt(0)
	s_cmp_eq_u32 s20, 1
	s_cselect_b32 s10, s0, s10
	s_cselect_b32 s11, s0, s11
	v_cvt_f32_u32_e32 v1, s10
	v_cvt_f32_u32_e32 v2, s11
	s_sub_i32 s12, 0, s10
	s_sub_i32 s13, 0, s11
	s_load_dword s0, s[8:9], 0x0
	v_rcp_iflag_f32_e32 v1, v1
	v_rcp_iflag_f32_e32 v2, v2
	s_clause 0x2
	s_load_dwordx2 s[6:7], s[4:5], 0x0
	s_load_dwordx2 s[4:5], s[4:5], 0xab8
	;; [unrolled: 1-line block ×3, first 2 shown]
	s_mul_i32 s16, s16, s21
	v_mul_f32_e32 v1, 0x4f7ffffe, v1
	v_mul_f32_e32 v2, 0x4f7ffffe, v2
	v_cvt_u32_f32_e32 v3, v1
	v_cvt_u32_f32_e32 v2, v2
	s_waitcnt lgkmcnt(0)
	s_mul_i32 s17, s0, s17
	v_mul_lo_u32 v1, s12, v3
	v_mul_lo_u32 v4, s13, v2
	v_mul_hi_u32 v5, v3, v1
	v_mul_hi_u32 v6, v2, v4
	v_mov_b32_e32 v1, 0
	v_add_nc_u32_e32 v4, v3, v5
	v_add_nc_u32_e32 v5, v2, v6
	s_branch .LBB89_3
.LBB89_2:                               ;   in Loop: Header=BB89_3 Depth=1
	v_lshlrev_b64 v[2:3], 4, v[2:3]
	v_mul_hi_u32 v12, v4, v0
	v_add_co_u32 v2, vcc_lo, s8, v2
	v_add_co_ci_u32_e64 v3, null, s9, v3, vcc_lo
	v_not_b32_e32 v10, v12
	global_load_dwordx4 v[6:9], v[2:3], off
	v_mad_u64_u32 v[2:3], null, s12, v12, v[0:1]
	v_mad_u64_u32 v[10:11], null, s10, v10, v[0:1]
	v_add_nc_u32_e32 v3, 1, v12
	v_cmp_le_u32_e32 vcc_lo, s10, v2
	v_cndmask_b32_e32 v3, v12, v3, vcc_lo
	v_cndmask_b32_e32 v2, v2, v10, vcc_lo
	v_add_nc_u32_e32 v10, 1, v3
	v_cmp_le_u32_e32 vcc_lo, s10, v2
	v_cndmask_b32_e32 v10, v3, v10, vcc_lo
	v_mad_u64_u32 v[2:3], null, s12, v10, v[0:1]
	v_mul_lo_u32 v3, v10, s4
	v_add_nc_u32_e32 v0, s17, v0
	v_cmp_le_u32_e32 vcc_lo, s14, v0
	v_mul_lo_u32 v2, v2, s5
	s_or_b32 s1, vcc_lo, s1
	v_add3_u32 v2, v2, v3, s16
	v_mov_b32_e32 v3, v1
	v_lshlrev_b64 v[2:3], 4, v[2:3]
	v_add_co_u32 v2, s0, s6, v2
	v_add_co_ci_u32_e64 v3, null, s7, v3, s0
	s_waitcnt vmcnt(0)
	global_store_dwordx4 v[2:3], v[6:9], off
	s_andn2_b32 exec_lo, exec_lo, s1
	s_cbranch_execz .LBB89_5
.LBB89_3:                               ; =>This Inner Loop Header: Depth=1
	v_mov_b32_e32 v3, v1
	v_mov_b32_e32 v2, v0
	s_andn2_b32 vcc_lo, exec_lo, s15
	s_cbranch_vccnz .LBB89_2
; %bb.4:                                ;   in Loop: Header=BB89_3 Depth=1
	v_mul_hi_u32 v8, v5, v0
	v_not_b32_e32 v6, v8
	v_mad_u64_u32 v[2:3], null, s13, v8, v[0:1]
	v_add_nc_u32_e32 v3, 1, v8
	v_mad_u64_u32 v[6:7], null, s11, v6, v[0:1]
	v_cmp_le_u32_e32 vcc_lo, s11, v2
	v_cndmask_b32_e32 v3, v8, v3, vcc_lo
	v_cndmask_b32_e32 v2, v2, v6, vcc_lo
	v_add_nc_u32_e32 v6, 1, v3
	v_cmp_le_u32_e32 vcc_lo, s11, v2
	v_cndmask_b32_e32 v6, v3, v6, vcc_lo
	v_mad_u64_u32 v[2:3], null, s13, v6, v[0:1]
	v_mul_lo_u32 v3, v6, s2
	v_mad_u64_u32 v[2:3], null, v2, s3, v[3:4]
	v_mov_b32_e32 v3, v1
	s_branch .LBB89_2
.LBB89_5:
	s_endpgm
	.section	.rodata,"a",@progbits
	.p2align	6, 0x0
	.amdhsa_kernel _ZN2at6native12_GLOBAL__N_119CatArrayBatchedCopyINS1_10OpaqueTypeILj16EEEjLi2ELi128ELi1EEEvPT_NS1_25CatArrInputTensorMetadataIS5_T0_XT2_EXT3_EEENS1_16TensorSizeStrideIS8_Lj4EEEiS8_
		.amdhsa_group_segment_fixed_size 0
		.amdhsa_private_segment_fixed_size 0
		.amdhsa_kernarg_size 3024
		.amdhsa_user_sgpr_count 6
		.amdhsa_user_sgpr_private_segment_buffer 1
		.amdhsa_user_sgpr_dispatch_ptr 0
		.amdhsa_user_sgpr_queue_ptr 0
		.amdhsa_user_sgpr_kernarg_segment_ptr 1
		.amdhsa_user_sgpr_dispatch_id 0
		.amdhsa_user_sgpr_flat_scratch_init 0
		.amdhsa_user_sgpr_private_segment_size 0
		.amdhsa_wavefront_size32 1
		.amdhsa_uses_dynamic_stack 0
		.amdhsa_system_sgpr_private_segment_wavefront_offset 0
		.amdhsa_system_sgpr_workgroup_id_x 1
		.amdhsa_system_sgpr_workgroup_id_y 1
		.amdhsa_system_sgpr_workgroup_id_z 0
		.amdhsa_system_sgpr_workgroup_info 0
		.amdhsa_system_vgpr_workitem_id 0
		.amdhsa_next_free_vgpr 13
		.amdhsa_next_free_sgpr 22
		.amdhsa_reserve_vcc 1
		.amdhsa_reserve_flat_scratch 0
		.amdhsa_float_round_mode_32 0
		.amdhsa_float_round_mode_16_64 0
		.amdhsa_float_denorm_mode_32 3
		.amdhsa_float_denorm_mode_16_64 3
		.amdhsa_dx10_clamp 1
		.amdhsa_ieee_mode 1
		.amdhsa_fp16_overflow 0
		.amdhsa_workgroup_processor_mode 1
		.amdhsa_memory_ordered 1
		.amdhsa_forward_progress 1
		.amdhsa_shared_vgpr_count 0
		.amdhsa_exception_fp_ieee_invalid_op 0
		.amdhsa_exception_fp_denorm_src 0
		.amdhsa_exception_fp_ieee_div_zero 0
		.amdhsa_exception_fp_ieee_overflow 0
		.amdhsa_exception_fp_ieee_underflow 0
		.amdhsa_exception_fp_ieee_inexact 0
		.amdhsa_exception_int_div_zero 0
	.end_amdhsa_kernel
	.section	.text._ZN2at6native12_GLOBAL__N_119CatArrayBatchedCopyINS1_10OpaqueTypeILj16EEEjLi2ELi128ELi1EEEvPT_NS1_25CatArrInputTensorMetadataIS5_T0_XT2_EXT3_EEENS1_16TensorSizeStrideIS8_Lj4EEEiS8_,"axG",@progbits,_ZN2at6native12_GLOBAL__N_119CatArrayBatchedCopyINS1_10OpaqueTypeILj16EEEjLi2ELi128ELi1EEEvPT_NS1_25CatArrInputTensorMetadataIS5_T0_XT2_EXT3_EEENS1_16TensorSizeStrideIS8_Lj4EEEiS8_,comdat
.Lfunc_end89:
	.size	_ZN2at6native12_GLOBAL__N_119CatArrayBatchedCopyINS1_10OpaqueTypeILj16EEEjLi2ELi128ELi1EEEvPT_NS1_25CatArrInputTensorMetadataIS5_T0_XT2_EXT3_EEENS1_16TensorSizeStrideIS8_Lj4EEEiS8_, .Lfunc_end89-_ZN2at6native12_GLOBAL__N_119CatArrayBatchedCopyINS1_10OpaqueTypeILj16EEEjLi2ELi128ELi1EEEvPT_NS1_25CatArrInputTensorMetadataIS5_T0_XT2_EXT3_EEENS1_16TensorSizeStrideIS8_Lj4EEEiS8_
                                        ; -- End function
	.set _ZN2at6native12_GLOBAL__N_119CatArrayBatchedCopyINS1_10OpaqueTypeILj16EEEjLi2ELi128ELi1EEEvPT_NS1_25CatArrInputTensorMetadataIS5_T0_XT2_EXT3_EEENS1_16TensorSizeStrideIS8_Lj4EEEiS8_.num_vgpr, 13
	.set _ZN2at6native12_GLOBAL__N_119CatArrayBatchedCopyINS1_10OpaqueTypeILj16EEEjLi2ELi128ELi1EEEvPT_NS1_25CatArrInputTensorMetadataIS5_T0_XT2_EXT3_EEENS1_16TensorSizeStrideIS8_Lj4EEEiS8_.num_agpr, 0
	.set _ZN2at6native12_GLOBAL__N_119CatArrayBatchedCopyINS1_10OpaqueTypeILj16EEEjLi2ELi128ELi1EEEvPT_NS1_25CatArrInputTensorMetadataIS5_T0_XT2_EXT3_EEENS1_16TensorSizeStrideIS8_Lj4EEEiS8_.numbered_sgpr, 22
	.set _ZN2at6native12_GLOBAL__N_119CatArrayBatchedCopyINS1_10OpaqueTypeILj16EEEjLi2ELi128ELi1EEEvPT_NS1_25CatArrInputTensorMetadataIS5_T0_XT2_EXT3_EEENS1_16TensorSizeStrideIS8_Lj4EEEiS8_.num_named_barrier, 0
	.set _ZN2at6native12_GLOBAL__N_119CatArrayBatchedCopyINS1_10OpaqueTypeILj16EEEjLi2ELi128ELi1EEEvPT_NS1_25CatArrInputTensorMetadataIS5_T0_XT2_EXT3_EEENS1_16TensorSizeStrideIS8_Lj4EEEiS8_.private_seg_size, 0
	.set _ZN2at6native12_GLOBAL__N_119CatArrayBatchedCopyINS1_10OpaqueTypeILj16EEEjLi2ELi128ELi1EEEvPT_NS1_25CatArrInputTensorMetadataIS5_T0_XT2_EXT3_EEENS1_16TensorSizeStrideIS8_Lj4EEEiS8_.uses_vcc, 1
	.set _ZN2at6native12_GLOBAL__N_119CatArrayBatchedCopyINS1_10OpaqueTypeILj16EEEjLi2ELi128ELi1EEEvPT_NS1_25CatArrInputTensorMetadataIS5_T0_XT2_EXT3_EEENS1_16TensorSizeStrideIS8_Lj4EEEiS8_.uses_flat_scratch, 0
	.set _ZN2at6native12_GLOBAL__N_119CatArrayBatchedCopyINS1_10OpaqueTypeILj16EEEjLi2ELi128ELi1EEEvPT_NS1_25CatArrInputTensorMetadataIS5_T0_XT2_EXT3_EEENS1_16TensorSizeStrideIS8_Lj4EEEiS8_.has_dyn_sized_stack, 0
	.set _ZN2at6native12_GLOBAL__N_119CatArrayBatchedCopyINS1_10OpaqueTypeILj16EEEjLi2ELi128ELi1EEEvPT_NS1_25CatArrInputTensorMetadataIS5_T0_XT2_EXT3_EEENS1_16TensorSizeStrideIS8_Lj4EEEiS8_.has_recursion, 0
	.set _ZN2at6native12_GLOBAL__N_119CatArrayBatchedCopyINS1_10OpaqueTypeILj16EEEjLi2ELi128ELi1EEEvPT_NS1_25CatArrInputTensorMetadataIS5_T0_XT2_EXT3_EEENS1_16TensorSizeStrideIS8_Lj4EEEiS8_.has_indirect_call, 0
	.section	.AMDGPU.csdata,"",@progbits
; Kernel info:
; codeLenInByte = 660
; TotalNumSgprs: 24
; NumVgprs: 13
; ScratchSize: 0
; MemoryBound: 0
; FloatMode: 240
; IeeeMode: 1
; LDSByteSize: 0 bytes/workgroup (compile time only)
; SGPRBlocks: 0
; VGPRBlocks: 1
; NumSGPRsForWavesPerEU: 24
; NumVGPRsForWavesPerEU: 13
; Occupancy: 16
; WaveLimiterHint : 1
; COMPUTE_PGM_RSRC2:SCRATCH_EN: 0
; COMPUTE_PGM_RSRC2:USER_SGPR: 6
; COMPUTE_PGM_RSRC2:TRAP_HANDLER: 0
; COMPUTE_PGM_RSRC2:TGID_X_EN: 1
; COMPUTE_PGM_RSRC2:TGID_Y_EN: 1
; COMPUTE_PGM_RSRC2:TGID_Z_EN: 0
; COMPUTE_PGM_RSRC2:TIDIG_COMP_CNT: 0
	.section	.text._ZN2at6native12_GLOBAL__N_130CatArrayBatchedCopy_vectorizedINS1_10OpaqueTypeILj16EEEjLi3ELi128ELi1ELi16ELi1EEEvPcNS1_25CatArrInputTensorMetadataIT_T0_XT2_EXT3_EEENS1_16TensorSizeStrideIS8_Lj4EEEiS8_,"axG",@progbits,_ZN2at6native12_GLOBAL__N_130CatArrayBatchedCopy_vectorizedINS1_10OpaqueTypeILj16EEEjLi3ELi128ELi1ELi16ELi1EEEvPcNS1_25CatArrInputTensorMetadataIT_T0_XT2_EXT3_EEENS1_16TensorSizeStrideIS8_Lj4EEEiS8_,comdat
	.globl	_ZN2at6native12_GLOBAL__N_130CatArrayBatchedCopy_vectorizedINS1_10OpaqueTypeILj16EEEjLi3ELi128ELi1ELi16ELi1EEEvPcNS1_25CatArrInputTensorMetadataIT_T0_XT2_EXT3_EEENS1_16TensorSizeStrideIS8_Lj4EEEiS8_ ; -- Begin function _ZN2at6native12_GLOBAL__N_130CatArrayBatchedCopy_vectorizedINS1_10OpaqueTypeILj16EEEjLi3ELi128ELi1ELi16ELi1EEEvPcNS1_25CatArrInputTensorMetadataIT_T0_XT2_EXT3_EEENS1_16TensorSizeStrideIS8_Lj4EEEiS8_
	.p2align	8
	.type	_ZN2at6native12_GLOBAL__N_130CatArrayBatchedCopy_vectorizedINS1_10OpaqueTypeILj16EEEjLi3ELi128ELi1ELi16ELi1EEEvPcNS1_25CatArrInputTensorMetadataIT_T0_XT2_EXT3_EEENS1_16TensorSizeStrideIS8_Lj4EEEiS8_,@function
_ZN2at6native12_GLOBAL__N_130CatArrayBatchedCopy_vectorizedINS1_10OpaqueTypeILj16EEEjLi3ELi128ELi1ELi16ELi1EEEvPcNS1_25CatArrInputTensorMetadataIT_T0_XT2_EXT3_EEENS1_16TensorSizeStrideIS8_Lj4EEEiS8_: ; @_ZN2at6native12_GLOBAL__N_130CatArrayBatchedCopy_vectorizedINS1_10OpaqueTypeILj16EEEjLi3ELi128ELi1ELi16ELi1EEEvPcNS1_25CatArrInputTensorMetadataIT_T0_XT2_EXT3_EEENS1_16TensorSizeStrideIS8_Lj4EEEiS8_
; %bb.0:
	s_mov_b32 s0, s7
	s_load_dword s7, s[4:5], 0xadc
	s_mov_b32 s1, 0
	s_add_u32 s2, s4, 0xad0
	s_addc_u32 s3, s5, 0
	s_lshl_b64 s[8:9], s[0:1], 2
	s_waitcnt lgkmcnt(0)
	s_and_b32 s13, s7, 0xffff
	s_add_u32 s10, s4, s8
	s_addc_u32 s11, s5, s9
	v_mad_u64_u32 v[0:1], null, s6, s13, v[0:1]
	s_load_dword s7, s[10:11], 0x808
	s_add_u32 s0, s10, 8
	s_addc_u32 s6, s11, 0
	s_mov_b32 s10, exec_lo
	s_waitcnt lgkmcnt(0)
	v_cmpx_gt_u32_e64 s7, v0
	s_cbranch_execz .LBB90_3
; %bb.1:
	s_add_u32 s14, s0, s8
	s_addc_u32 s15, s6, s9
	s_sub_u32 s0, 0, s8
	s_subb_u32 s6, 0, s9
	s_add_u32 s8, s14, s0
	s_addc_u32 s9, s15, s6
	s_clause 0x5
	s_load_dwordx2 s[16:17], s[4:5], 0xac8
	s_load_dword s0, s[8:9], 0x400
	s_load_dword s6, s[8:9], 0x600
	s_load_dwordx2 s[18:19], s[4:5], 0xaac
	s_load_dwordx4 s[8:11], s[4:5], 0xab8
	s_load_dwordx2 s[22:23], s[4:5], 0x0
	s_waitcnt lgkmcnt(0)
	s_mul_i32 s0, s0, s17
	s_mul_i32 s6, s6, s17
	s_lshl_b64 s[20:21], s[0:1], 4
	s_cmp_eq_u32 s16, 2
	s_cselect_b32 s4, s6, s19
	s_cmp_eq_u32 s16, 1
	v_cvt_f32_u32_e32 v1, s4
	s_cselect_b32 s5, s6, s18
	s_add_u32 s6, s22, s20
	v_cvt_f32_u32_e32 v2, s5
	s_addc_u32 s11, s23, s21
	v_rcp_iflag_f32_e32 v1, v1
	s_sub_i32 s12, 0, s4
	s_sub_i32 s0, 0, s5
	v_rcp_iflag_f32_e32 v2, v2
	s_load_dword s16, s[2:3], 0x0
	s_load_dwordx2 s[2:3], s[14:15], 0x0
	v_mul_f32_e32 v1, 0x4f7ffffe, v1
	v_mul_f32_e32 v2, 0x4f7ffffe, v2
	v_cvt_u32_f32_e32 v1, v1
	v_cvt_u32_f32_e32 v3, v2
	v_mul_lo_u32 v2, s12, v1
	v_mul_lo_u32 v4, s0, v3
	s_waitcnt lgkmcnt(0)
	s_mul_i32 s13, s16, s13
	v_mul_hi_u32 v2, v1, v2
	v_mul_hi_u32 v4, v3, v4
	v_add_nc_u32_e32 v2, v1, v2
	v_mov_b32_e32 v1, 0
	v_add_nc_u32_e32 v3, v3, v4
.LBB90_2:                               ; =>This Inner Loop Header: Depth=1
	v_lshlrev_b64 v[4:5], 4, v[0:1]
	v_mul_hi_u32 v10, v2, v0
	v_add_co_u32 v4, vcc_lo, s2, v4
	v_add_co_ci_u32_e64 v5, null, s3, v5, vcc_lo
	v_mul_lo_u32 v11, s4, v10
	v_not_b32_e32 v8, v10
	v_add_nc_u32_e32 v12, 1, v10
	global_load_dwordx4 v[4:7], v[4:5], off
	v_mad_u64_u32 v[8:9], null, s4, v8, v[0:1]
	v_sub_nc_u32_e32 v9, v0, v11
	v_cmp_le_u32_e32 vcc_lo, s4, v9
	v_cndmask_b32_e32 v10, v10, v12, vcc_lo
	v_cndmask_b32_e32 v8, v9, v8, vcc_lo
	v_add_nc_u32_e32 v9, 1, v10
	v_cmp_le_u32_e32 vcc_lo, s4, v8
	v_cndmask_b32_e32 v10, v10, v9, vcc_lo
	v_mul_hi_u32 v8, v10, v3
	v_mul_lo_u32 v9, v8, s5
	v_add_nc_u32_e32 v11, 1, v8
	v_sub_nc_u32_e32 v9, v10, v9
	v_subrev_nc_u32_e32 v12, s5, v9
	v_cmp_le_u32_e32 vcc_lo, s5, v9
	v_cndmask_b32_e32 v8, v8, v11, vcc_lo
	v_cndmask_b32_e32 v9, v9, v12, vcc_lo
	v_add_nc_u32_e32 v11, 1, v8
	v_cmp_le_u32_e32 vcc_lo, s5, v9
	v_cndmask_b32_e32 v11, v8, v11, vcc_lo
	v_mad_u64_u32 v[8:9], null, s12, v10, v[0:1]
	v_add_nc_u32_e32 v0, s13, v0
	v_mul_lo_u32 v12, v11, s5
	v_cmp_le_u32_e32 vcc_lo, s7, v0
	v_mul_lo_u32 v8, v8, s10
	v_sub_nc_u32_e32 v9, v10, v12
	v_mul_lo_u32 v10, v11, s8
	s_or_b32 s1, vcc_lo, s1
	v_mul_lo_u32 v11, v9, s9
	v_mov_b32_e32 v9, v1
	v_add3_u32 v8, v8, v10, v11
	v_lshlrev_b64 v[8:9], 4, v[8:9]
	v_add_co_u32 v8, s0, s6, v8
	v_add_co_ci_u32_e64 v9, null, s11, v9, s0
	s_waitcnt vmcnt(0)
	global_store_dwordx4 v[8:9], v[4:7], off
	s_andn2_b32 exec_lo, exec_lo, s1
	s_cbranch_execnz .LBB90_2
.LBB90_3:
	s_endpgm
	.section	.rodata,"a",@progbits
	.p2align	6, 0x0
	.amdhsa_kernel _ZN2at6native12_GLOBAL__N_130CatArrayBatchedCopy_vectorizedINS1_10OpaqueTypeILj16EEEjLi3ELi128ELi1ELi16ELi1EEEvPcNS1_25CatArrInputTensorMetadataIT_T0_XT2_EXT3_EEENS1_16TensorSizeStrideIS8_Lj4EEEiS8_
		.amdhsa_group_segment_fixed_size 0
		.amdhsa_private_segment_fixed_size 0
		.amdhsa_kernarg_size 3024
		.amdhsa_user_sgpr_count 6
		.amdhsa_user_sgpr_private_segment_buffer 1
		.amdhsa_user_sgpr_dispatch_ptr 0
		.amdhsa_user_sgpr_queue_ptr 0
		.amdhsa_user_sgpr_kernarg_segment_ptr 1
		.amdhsa_user_sgpr_dispatch_id 0
		.amdhsa_user_sgpr_flat_scratch_init 0
		.amdhsa_user_sgpr_private_segment_size 0
		.amdhsa_wavefront_size32 1
		.amdhsa_uses_dynamic_stack 0
		.amdhsa_system_sgpr_private_segment_wavefront_offset 0
		.amdhsa_system_sgpr_workgroup_id_x 1
		.amdhsa_system_sgpr_workgroup_id_y 1
		.amdhsa_system_sgpr_workgroup_id_z 0
		.amdhsa_system_sgpr_workgroup_info 0
		.amdhsa_system_vgpr_workitem_id 0
		.amdhsa_next_free_vgpr 13
		.amdhsa_next_free_sgpr 24
		.amdhsa_reserve_vcc 1
		.amdhsa_reserve_flat_scratch 0
		.amdhsa_float_round_mode_32 0
		.amdhsa_float_round_mode_16_64 0
		.amdhsa_float_denorm_mode_32 3
		.amdhsa_float_denorm_mode_16_64 3
		.amdhsa_dx10_clamp 1
		.amdhsa_ieee_mode 1
		.amdhsa_fp16_overflow 0
		.amdhsa_workgroup_processor_mode 1
		.amdhsa_memory_ordered 1
		.amdhsa_forward_progress 1
		.amdhsa_shared_vgpr_count 0
		.amdhsa_exception_fp_ieee_invalid_op 0
		.amdhsa_exception_fp_denorm_src 0
		.amdhsa_exception_fp_ieee_div_zero 0
		.amdhsa_exception_fp_ieee_overflow 0
		.amdhsa_exception_fp_ieee_underflow 0
		.amdhsa_exception_fp_ieee_inexact 0
		.amdhsa_exception_int_div_zero 0
	.end_amdhsa_kernel
	.section	.text._ZN2at6native12_GLOBAL__N_130CatArrayBatchedCopy_vectorizedINS1_10OpaqueTypeILj16EEEjLi3ELi128ELi1ELi16ELi1EEEvPcNS1_25CatArrInputTensorMetadataIT_T0_XT2_EXT3_EEENS1_16TensorSizeStrideIS8_Lj4EEEiS8_,"axG",@progbits,_ZN2at6native12_GLOBAL__N_130CatArrayBatchedCopy_vectorizedINS1_10OpaqueTypeILj16EEEjLi3ELi128ELi1ELi16ELi1EEEvPcNS1_25CatArrInputTensorMetadataIT_T0_XT2_EXT3_EEENS1_16TensorSizeStrideIS8_Lj4EEEiS8_,comdat
.Lfunc_end90:
	.size	_ZN2at6native12_GLOBAL__N_130CatArrayBatchedCopy_vectorizedINS1_10OpaqueTypeILj16EEEjLi3ELi128ELi1ELi16ELi1EEEvPcNS1_25CatArrInputTensorMetadataIT_T0_XT2_EXT3_EEENS1_16TensorSizeStrideIS8_Lj4EEEiS8_, .Lfunc_end90-_ZN2at6native12_GLOBAL__N_130CatArrayBatchedCopy_vectorizedINS1_10OpaqueTypeILj16EEEjLi3ELi128ELi1ELi16ELi1EEEvPcNS1_25CatArrInputTensorMetadataIT_T0_XT2_EXT3_EEENS1_16TensorSizeStrideIS8_Lj4EEEiS8_
                                        ; -- End function
	.set _ZN2at6native12_GLOBAL__N_130CatArrayBatchedCopy_vectorizedINS1_10OpaqueTypeILj16EEEjLi3ELi128ELi1ELi16ELi1EEEvPcNS1_25CatArrInputTensorMetadataIT_T0_XT2_EXT3_EEENS1_16TensorSizeStrideIS8_Lj4EEEiS8_.num_vgpr, 13
	.set _ZN2at6native12_GLOBAL__N_130CatArrayBatchedCopy_vectorizedINS1_10OpaqueTypeILj16EEEjLi3ELi128ELi1ELi16ELi1EEEvPcNS1_25CatArrInputTensorMetadataIT_T0_XT2_EXT3_EEENS1_16TensorSizeStrideIS8_Lj4EEEiS8_.num_agpr, 0
	.set _ZN2at6native12_GLOBAL__N_130CatArrayBatchedCopy_vectorizedINS1_10OpaqueTypeILj16EEEjLi3ELi128ELi1ELi16ELi1EEEvPcNS1_25CatArrInputTensorMetadataIT_T0_XT2_EXT3_EEENS1_16TensorSizeStrideIS8_Lj4EEEiS8_.numbered_sgpr, 24
	.set _ZN2at6native12_GLOBAL__N_130CatArrayBatchedCopy_vectorizedINS1_10OpaqueTypeILj16EEEjLi3ELi128ELi1ELi16ELi1EEEvPcNS1_25CatArrInputTensorMetadataIT_T0_XT2_EXT3_EEENS1_16TensorSizeStrideIS8_Lj4EEEiS8_.num_named_barrier, 0
	.set _ZN2at6native12_GLOBAL__N_130CatArrayBatchedCopy_vectorizedINS1_10OpaqueTypeILj16EEEjLi3ELi128ELi1ELi16ELi1EEEvPcNS1_25CatArrInputTensorMetadataIT_T0_XT2_EXT3_EEENS1_16TensorSizeStrideIS8_Lj4EEEiS8_.private_seg_size, 0
	.set _ZN2at6native12_GLOBAL__N_130CatArrayBatchedCopy_vectorizedINS1_10OpaqueTypeILj16EEEjLi3ELi128ELi1ELi16ELi1EEEvPcNS1_25CatArrInputTensorMetadataIT_T0_XT2_EXT3_EEENS1_16TensorSizeStrideIS8_Lj4EEEiS8_.uses_vcc, 1
	.set _ZN2at6native12_GLOBAL__N_130CatArrayBatchedCopy_vectorizedINS1_10OpaqueTypeILj16EEEjLi3ELi128ELi1ELi16ELi1EEEvPcNS1_25CatArrInputTensorMetadataIT_T0_XT2_EXT3_EEENS1_16TensorSizeStrideIS8_Lj4EEEiS8_.uses_flat_scratch, 0
	.set _ZN2at6native12_GLOBAL__N_130CatArrayBatchedCopy_vectorizedINS1_10OpaqueTypeILj16EEEjLi3ELi128ELi1ELi16ELi1EEEvPcNS1_25CatArrInputTensorMetadataIT_T0_XT2_EXT3_EEENS1_16TensorSizeStrideIS8_Lj4EEEiS8_.has_dyn_sized_stack, 0
	.set _ZN2at6native12_GLOBAL__N_130CatArrayBatchedCopy_vectorizedINS1_10OpaqueTypeILj16EEEjLi3ELi128ELi1ELi16ELi1EEEvPcNS1_25CatArrInputTensorMetadataIT_T0_XT2_EXT3_EEENS1_16TensorSizeStrideIS8_Lj4EEEiS8_.has_recursion, 0
	.set _ZN2at6native12_GLOBAL__N_130CatArrayBatchedCopy_vectorizedINS1_10OpaqueTypeILj16EEEjLi3ELi128ELi1ELi16ELi1EEEvPcNS1_25CatArrInputTensorMetadataIT_T0_XT2_EXT3_EEENS1_16TensorSizeStrideIS8_Lj4EEEiS8_.has_indirect_call, 0
	.section	.AMDGPU.csdata,"",@progbits
; Kernel info:
; codeLenInByte = 588
; TotalNumSgprs: 26
; NumVgprs: 13
; ScratchSize: 0
; MemoryBound: 0
; FloatMode: 240
; IeeeMode: 1
; LDSByteSize: 0 bytes/workgroup (compile time only)
; SGPRBlocks: 0
; VGPRBlocks: 1
; NumSGPRsForWavesPerEU: 26
; NumVGPRsForWavesPerEU: 13
; Occupancy: 16
; WaveLimiterHint : 1
; COMPUTE_PGM_RSRC2:SCRATCH_EN: 0
; COMPUTE_PGM_RSRC2:USER_SGPR: 6
; COMPUTE_PGM_RSRC2:TRAP_HANDLER: 0
; COMPUTE_PGM_RSRC2:TGID_X_EN: 1
; COMPUTE_PGM_RSRC2:TGID_Y_EN: 1
; COMPUTE_PGM_RSRC2:TGID_Z_EN: 0
; COMPUTE_PGM_RSRC2:TIDIG_COMP_CNT: 0
	.section	.text._ZN2at6native12_GLOBAL__N_135CatArrayBatchedCopy_alignedK_contigINS1_10OpaqueTypeILj16EEEjLi3ELi128ELi1ELi16EEEvPT_NS1_25CatArrInputTensorMetadataIS5_T0_XT2_EXT3_EEENS1_16TensorSizeStrideIS8_Lj4EEEiS8_,"axG",@progbits,_ZN2at6native12_GLOBAL__N_135CatArrayBatchedCopy_alignedK_contigINS1_10OpaqueTypeILj16EEEjLi3ELi128ELi1ELi16EEEvPT_NS1_25CatArrInputTensorMetadataIS5_T0_XT2_EXT3_EEENS1_16TensorSizeStrideIS8_Lj4EEEiS8_,comdat
	.globl	_ZN2at6native12_GLOBAL__N_135CatArrayBatchedCopy_alignedK_contigINS1_10OpaqueTypeILj16EEEjLi3ELi128ELi1ELi16EEEvPT_NS1_25CatArrInputTensorMetadataIS5_T0_XT2_EXT3_EEENS1_16TensorSizeStrideIS8_Lj4EEEiS8_ ; -- Begin function _ZN2at6native12_GLOBAL__N_135CatArrayBatchedCopy_alignedK_contigINS1_10OpaqueTypeILj16EEEjLi3ELi128ELi1ELi16EEEvPT_NS1_25CatArrInputTensorMetadataIS5_T0_XT2_EXT3_EEENS1_16TensorSizeStrideIS8_Lj4EEEiS8_
	.p2align	8
	.type	_ZN2at6native12_GLOBAL__N_135CatArrayBatchedCopy_alignedK_contigINS1_10OpaqueTypeILj16EEEjLi3ELi128ELi1ELi16EEEvPT_NS1_25CatArrInputTensorMetadataIS5_T0_XT2_EXT3_EEENS1_16TensorSizeStrideIS8_Lj4EEEiS8_,@function
_ZN2at6native12_GLOBAL__N_135CatArrayBatchedCopy_alignedK_contigINS1_10OpaqueTypeILj16EEEjLi3ELi128ELi1ELi16EEEvPT_NS1_25CatArrInputTensorMetadataIS5_T0_XT2_EXT3_EEENS1_16TensorSizeStrideIS8_Lj4EEEiS8_: ; @_ZN2at6native12_GLOBAL__N_135CatArrayBatchedCopy_alignedK_contigINS1_10OpaqueTypeILj16EEEjLi3ELi128ELi1ELi16EEEvPT_NS1_25CatArrInputTensorMetadataIS5_T0_XT2_EXT3_EEENS1_16TensorSizeStrideIS8_Lj4EEEiS8_
; %bb.0:
	s_mov_b32 s0, s7
	s_load_dword s7, s[4:5], 0xadc
	s_mov_b32 s1, 0
	s_add_u32 s2, s4, 0xad0
	s_addc_u32 s3, s5, 0
	s_lshl_b64 s[8:9], s[0:1], 2
	s_waitcnt lgkmcnt(0)
	s_and_b32 s0, s7, 0xffff
	s_add_u32 s10, s4, s8
	s_addc_u32 s11, s5, s9
	v_mad_u64_u32 v[0:1], null, s6, s0, v[0:1]
	s_load_dword s12, s[10:11], 0x808
	s_add_u32 s6, s10, 8
	s_addc_u32 s7, s11, 0
	s_mov_b32 s10, exec_lo
	s_waitcnt lgkmcnt(0)
	v_cmpx_gt_u32_e64 s12, v0
	s_cbranch_execz .LBB91_6
; %bb.1:
	s_add_u32 s6, s6, s8
	s_addc_u32 s7, s7, s9
	s_sub_u32 s8, 0, s8
	s_load_dwordx2 s[14:15], s[4:5], 0xac8
	s_subb_u32 s9, 0, s9
	s_add_u32 s16, s6, s8
	s_addc_u32 s17, s7, s9
	s_clause 0x3
	s_load_dwordx2 s[18:19], s[4:5], 0xaac
	s_load_dword s13, s[16:17], 0x600
	s_load_dwordx4 s[8:11], s[4:5], 0xab8
	s_load_dword s16, s[16:17], 0x400
	s_load_dword s17, s[2:3], 0x0
	s_waitcnt lgkmcnt(0)
	s_cmp_eq_u32 s14, 2
	s_cselect_b32 s11, s13, s19
	s_cmp_eq_u32 s14, 1
	v_cvt_f32_u32_e32 v1, s11
	s_cselect_b32 s13, s13, s18
	s_sub_i32 s14, 0, s11
	v_cvt_f32_u32_e32 v2, s13
	s_sub_i32 s2, 0, s13
	v_rcp_iflag_f32_e32 v1, v1
	v_rcp_iflag_f32_e32 v2, v2
	v_mul_f32_e32 v1, 0x4f7ffffe, v1
	v_mul_f32_e32 v2, 0x4f7ffffe, v2
	v_cvt_u32_f32_e32 v1, v1
	v_cvt_u32_f32_e32 v3, v2
	v_mul_lo_u32 v2, s14, v1
	v_mul_lo_u32 v4, s2, v3
	s_clause 0x1
	s_load_dwordx2 s[2:3], s[4:5], 0x0
	s_load_dwordx2 s[6:7], s[6:7], 0x0
	s_mul_i32 s5, s17, s0
	s_mul_i32 s4, s16, s15
	v_mul_hi_u32 v5, v1, v2
	v_mov_b32_e32 v2, 0
	v_mul_hi_u32 v4, v3, v4
	v_add_nc_u32_e32 v7, v1, v5
	v_add_nc_u32_e32 v8, v3, v4
	;; [unrolled: 1-line block ×3, first 2 shown]
.LBB91_2:                               ; =>This Inner Loop Header: Depth=1
	v_add_nc_u32_e32 v1, -1, v3
	v_add_nc_u32_e32 v3, s5, v3
	v_lshlrev_b64 v[4:5], 4, v[1:2]
	v_mul_hi_u32 v6, v1, v7
	s_waitcnt lgkmcnt(0)
	v_add_co_u32 v4, vcc_lo, s6, v4
	v_add_co_ci_u32_e64 v5, null, s7, v5, vcc_lo
	global_load_dwordx4 v[9:12], v[4:5], off
	v_mul_hi_u32 v4, v7, v0
	v_mul_lo_u32 v13, s11, v4
	v_not_b32_e32 v4, v4
	v_mad_u64_u32 v[4:5], null, s11, v4, v[0:1]
	v_sub_nc_u32_e32 v13, v0, v13
	v_add_nc_u32_e32 v5, 1, v6
	v_add_nc_u32_e32 v0, s5, v0
	v_cmp_le_u32_e32 vcc_lo, s11, v13
	v_cndmask_b32_e32 v5, v6, v5, vcc_lo
	v_cndmask_b32_e32 v4, v13, v4, vcc_lo
	v_add_nc_u32_e32 v6, 1, v5
	v_cmp_le_u32_e32 vcc_lo, s11, v4
	v_cndmask_b32_e32 v6, v5, v6, vcc_lo
	v_mul_hi_u32 v4, v6, v8
	v_mul_lo_u32 v5, v4, s13
	v_add_nc_u32_e32 v13, 1, v4
	v_sub_nc_u32_e32 v5, v6, v5
	v_subrev_nc_u32_e32 v14, s13, v5
	v_cmp_le_u32_e32 vcc_lo, s13, v5
	v_cndmask_b32_e32 v4, v4, v13, vcc_lo
	v_cndmask_b32_e32 v5, v5, v14, vcc_lo
	v_add_nc_u32_e32 v13, 1, v4
	v_cmp_le_u32_e32 vcc_lo, s13, v5
	v_cndmask_b32_e32 v13, v4, v13, vcc_lo
	v_mad_u64_u32 v[4:5], null, s14, v6, v[1:2]
	v_cmp_lt_u32_e32 vcc_lo, s12, v3
	v_mul_lo_u32 v14, v13, s13
	v_mul_lo_u32 v1, v13, s8
	s_or_b32 s1, vcc_lo, s1
	v_sub_nc_u32_e32 v6, v6, v14
	v_mad_u64_u32 v[4:5], null, v4, s10, v[1:2]
	v_mul_lo_u32 v1, v6, s9
	v_add3_u32 v1, v4, v1, s4
	v_lshlrev_b64 v[4:5], 4, v[1:2]
	v_add_co_u32 v4, s0, s2, v4
	v_add_co_ci_u32_e64 v5, null, s3, v5, s0
	s_waitcnt vmcnt(0)
	global_store_dwordx4 v[4:5], v[9:12], off
	s_andn2_b32 exec_lo, exec_lo, s1
	s_cbranch_execnz .LBB91_2
; %bb.3:
	s_or_b32 exec_lo, exec_lo, s1
	v_add_nc_u32_e32 v0, -1, v3
	v_cmp_gt_u32_e32 vcc_lo, s12, v0
	s_and_b32 exec_lo, exec_lo, vcc_lo
	s_cbranch_execz .LBB91_6
; %bb.4:
	v_mov_b32_e32 v2, 0
	v_mad_u64_u32 v[3:4], null, v7, v0, 0
	s_mov_b32 s5, 0
	v_mov_b32_e32 v1, v2
	v_lshlrev_b64 v[5:6], 4, v[0:1]
	v_add_co_u32 v5, vcc_lo, s6, v5
	v_add_co_ci_u32_e64 v6, null, s7, v6, vcc_lo
.LBB91_5:                               ; =>This Inner Loop Header: Depth=1
	global_load_dwordx4 v[9:12], v[5:6], off
	v_mul_lo_u32 v1, s11, v4
	v_not_b32_e32 v13, v4
	v_add_nc_u32_e32 v15, 1, v4
	v_add_co_u32 v3, vcc_lo, v3, v7
	v_mad_u64_u32 v[13:14], null, s11, v13, v[0:1]
	v_sub_nc_u32_e32 v1, v0, v1
	v_cmp_le_u32_e64 s0, s11, v1
	v_cndmask_b32_e64 v14, v4, v15, s0
	v_cndmask_b32_e64 v1, v1, v13, s0
	v_add_co_ci_u32_e64 v4, null, 0, v4, vcc_lo
	v_add_nc_u32_e32 v13, 1, v14
	v_cmp_le_u32_e64 s0, s11, v1
	v_cndmask_b32_e64 v1, v14, v13, s0
	v_mul_hi_u32 v13, v1, v8
	v_mul_lo_u32 v14, v13, s13
	v_add_nc_u32_e32 v15, 1, v13
	v_sub_nc_u32_e32 v14, v1, v14
	v_subrev_nc_u32_e32 v16, s13, v14
	v_cmp_le_u32_e64 s0, s13, v14
	v_cndmask_b32_e64 v13, v13, v15, s0
	v_cndmask_b32_e64 v14, v14, v16, s0
	v_add_nc_u32_e32 v15, 1, v13
	v_cmp_le_u32_e64 s0, s13, v14
	v_cndmask_b32_e64 v15, v13, v15, s0
	v_mad_u64_u32 v[13:14], null, s14, v1, v[0:1]
	v_add_nc_u32_e32 v0, 1, v0
	v_add_co_u32 v5, s0, v5, 16
	v_mul_lo_u32 v16, v15, s13
	v_add_co_ci_u32_e64 v6, null, 0, v6, s0
	v_mul_lo_u32 v17, v13, s10
	v_mad_u64_u32 v[13:14], null, v15, s8, s[4:5]
	v_cmp_le_u32_e64 s0, s12, v0
	v_sub_nc_u32_e32 v1, v1, v16
	s_or_b32 s5, s0, s5
	v_mul_lo_u32 v1, v1, s9
	v_add3_u32 v1, v13, v17, v1
	v_lshlrev_b64 v[13:14], 4, v[1:2]
	v_add_co_u32 v13, s1, s2, v13
	v_add_co_ci_u32_e64 v14, null, s3, v14, s1
	s_waitcnt vmcnt(0)
	global_store_dwordx4 v[13:14], v[9:12], off
	s_andn2_b32 exec_lo, exec_lo, s5
	s_cbranch_execnz .LBB91_5
.LBB91_6:
	s_endpgm
	.section	.rodata,"a",@progbits
	.p2align	6, 0x0
	.amdhsa_kernel _ZN2at6native12_GLOBAL__N_135CatArrayBatchedCopy_alignedK_contigINS1_10OpaqueTypeILj16EEEjLi3ELi128ELi1ELi16EEEvPT_NS1_25CatArrInputTensorMetadataIS5_T0_XT2_EXT3_EEENS1_16TensorSizeStrideIS8_Lj4EEEiS8_
		.amdhsa_group_segment_fixed_size 0
		.amdhsa_private_segment_fixed_size 0
		.amdhsa_kernarg_size 3024
		.amdhsa_user_sgpr_count 6
		.amdhsa_user_sgpr_private_segment_buffer 1
		.amdhsa_user_sgpr_dispatch_ptr 0
		.amdhsa_user_sgpr_queue_ptr 0
		.amdhsa_user_sgpr_kernarg_segment_ptr 1
		.amdhsa_user_sgpr_dispatch_id 0
		.amdhsa_user_sgpr_flat_scratch_init 0
		.amdhsa_user_sgpr_private_segment_size 0
		.amdhsa_wavefront_size32 1
		.amdhsa_uses_dynamic_stack 0
		.amdhsa_system_sgpr_private_segment_wavefront_offset 0
		.amdhsa_system_sgpr_workgroup_id_x 1
		.amdhsa_system_sgpr_workgroup_id_y 1
		.amdhsa_system_sgpr_workgroup_id_z 0
		.amdhsa_system_sgpr_workgroup_info 0
		.amdhsa_system_vgpr_workitem_id 0
		.amdhsa_next_free_vgpr 18
		.amdhsa_next_free_sgpr 20
		.amdhsa_reserve_vcc 1
		.amdhsa_reserve_flat_scratch 0
		.amdhsa_float_round_mode_32 0
		.amdhsa_float_round_mode_16_64 0
		.amdhsa_float_denorm_mode_32 3
		.amdhsa_float_denorm_mode_16_64 3
		.amdhsa_dx10_clamp 1
		.amdhsa_ieee_mode 1
		.amdhsa_fp16_overflow 0
		.amdhsa_workgroup_processor_mode 1
		.amdhsa_memory_ordered 1
		.amdhsa_forward_progress 1
		.amdhsa_shared_vgpr_count 0
		.amdhsa_exception_fp_ieee_invalid_op 0
		.amdhsa_exception_fp_denorm_src 0
		.amdhsa_exception_fp_ieee_div_zero 0
		.amdhsa_exception_fp_ieee_overflow 0
		.amdhsa_exception_fp_ieee_underflow 0
		.amdhsa_exception_fp_ieee_inexact 0
		.amdhsa_exception_int_div_zero 0
	.end_amdhsa_kernel
	.section	.text._ZN2at6native12_GLOBAL__N_135CatArrayBatchedCopy_alignedK_contigINS1_10OpaqueTypeILj16EEEjLi3ELi128ELi1ELi16EEEvPT_NS1_25CatArrInputTensorMetadataIS5_T0_XT2_EXT3_EEENS1_16TensorSizeStrideIS8_Lj4EEEiS8_,"axG",@progbits,_ZN2at6native12_GLOBAL__N_135CatArrayBatchedCopy_alignedK_contigINS1_10OpaqueTypeILj16EEEjLi3ELi128ELi1ELi16EEEvPT_NS1_25CatArrInputTensorMetadataIS5_T0_XT2_EXT3_EEENS1_16TensorSizeStrideIS8_Lj4EEEiS8_,comdat
.Lfunc_end91:
	.size	_ZN2at6native12_GLOBAL__N_135CatArrayBatchedCopy_alignedK_contigINS1_10OpaqueTypeILj16EEEjLi3ELi128ELi1ELi16EEEvPT_NS1_25CatArrInputTensorMetadataIS5_T0_XT2_EXT3_EEENS1_16TensorSizeStrideIS8_Lj4EEEiS8_, .Lfunc_end91-_ZN2at6native12_GLOBAL__N_135CatArrayBatchedCopy_alignedK_contigINS1_10OpaqueTypeILj16EEEjLi3ELi128ELi1ELi16EEEvPT_NS1_25CatArrInputTensorMetadataIS5_T0_XT2_EXT3_EEENS1_16TensorSizeStrideIS8_Lj4EEEiS8_
                                        ; -- End function
	.set _ZN2at6native12_GLOBAL__N_135CatArrayBatchedCopy_alignedK_contigINS1_10OpaqueTypeILj16EEEjLi3ELi128ELi1ELi16EEEvPT_NS1_25CatArrInputTensorMetadataIS5_T0_XT2_EXT3_EEENS1_16TensorSizeStrideIS8_Lj4EEEiS8_.num_vgpr, 18
	.set _ZN2at6native12_GLOBAL__N_135CatArrayBatchedCopy_alignedK_contigINS1_10OpaqueTypeILj16EEEjLi3ELi128ELi1ELi16EEEvPT_NS1_25CatArrInputTensorMetadataIS5_T0_XT2_EXT3_EEENS1_16TensorSizeStrideIS8_Lj4EEEiS8_.num_agpr, 0
	.set _ZN2at6native12_GLOBAL__N_135CatArrayBatchedCopy_alignedK_contigINS1_10OpaqueTypeILj16EEEjLi3ELi128ELi1ELi16EEEvPT_NS1_25CatArrInputTensorMetadataIS5_T0_XT2_EXT3_EEENS1_16TensorSizeStrideIS8_Lj4EEEiS8_.numbered_sgpr, 20
	.set _ZN2at6native12_GLOBAL__N_135CatArrayBatchedCopy_alignedK_contigINS1_10OpaqueTypeILj16EEEjLi3ELi128ELi1ELi16EEEvPT_NS1_25CatArrInputTensorMetadataIS5_T0_XT2_EXT3_EEENS1_16TensorSizeStrideIS8_Lj4EEEiS8_.num_named_barrier, 0
	.set _ZN2at6native12_GLOBAL__N_135CatArrayBatchedCopy_alignedK_contigINS1_10OpaqueTypeILj16EEEjLi3ELi128ELi1ELi16EEEvPT_NS1_25CatArrInputTensorMetadataIS5_T0_XT2_EXT3_EEENS1_16TensorSizeStrideIS8_Lj4EEEiS8_.private_seg_size, 0
	.set _ZN2at6native12_GLOBAL__N_135CatArrayBatchedCopy_alignedK_contigINS1_10OpaqueTypeILj16EEEjLi3ELi128ELi1ELi16EEEvPT_NS1_25CatArrInputTensorMetadataIS5_T0_XT2_EXT3_EEENS1_16TensorSizeStrideIS8_Lj4EEEiS8_.uses_vcc, 1
	.set _ZN2at6native12_GLOBAL__N_135CatArrayBatchedCopy_alignedK_contigINS1_10OpaqueTypeILj16EEEjLi3ELi128ELi1ELi16EEEvPT_NS1_25CatArrInputTensorMetadataIS5_T0_XT2_EXT3_EEENS1_16TensorSizeStrideIS8_Lj4EEEiS8_.uses_flat_scratch, 0
	.set _ZN2at6native12_GLOBAL__N_135CatArrayBatchedCopy_alignedK_contigINS1_10OpaqueTypeILj16EEEjLi3ELi128ELi1ELi16EEEvPT_NS1_25CatArrInputTensorMetadataIS5_T0_XT2_EXT3_EEENS1_16TensorSizeStrideIS8_Lj4EEEiS8_.has_dyn_sized_stack, 0
	.set _ZN2at6native12_GLOBAL__N_135CatArrayBatchedCopy_alignedK_contigINS1_10OpaqueTypeILj16EEEjLi3ELi128ELi1ELi16EEEvPT_NS1_25CatArrInputTensorMetadataIS5_T0_XT2_EXT3_EEENS1_16TensorSizeStrideIS8_Lj4EEEiS8_.has_recursion, 0
	.set _ZN2at6native12_GLOBAL__N_135CatArrayBatchedCopy_alignedK_contigINS1_10OpaqueTypeILj16EEEjLi3ELi128ELi1ELi16EEEvPT_NS1_25CatArrInputTensorMetadataIS5_T0_XT2_EXT3_EEENS1_16TensorSizeStrideIS8_Lj4EEEiS8_.has_indirect_call, 0
	.section	.AMDGPU.csdata,"",@progbits
; Kernel info:
; codeLenInByte = 952
; TotalNumSgprs: 22
; NumVgprs: 18
; ScratchSize: 0
; MemoryBound: 0
; FloatMode: 240
; IeeeMode: 1
; LDSByteSize: 0 bytes/workgroup (compile time only)
; SGPRBlocks: 0
; VGPRBlocks: 2
; NumSGPRsForWavesPerEU: 22
; NumVGPRsForWavesPerEU: 18
; Occupancy: 16
; WaveLimiterHint : 1
; COMPUTE_PGM_RSRC2:SCRATCH_EN: 0
; COMPUTE_PGM_RSRC2:USER_SGPR: 6
; COMPUTE_PGM_RSRC2:TRAP_HANDLER: 0
; COMPUTE_PGM_RSRC2:TGID_X_EN: 1
; COMPUTE_PGM_RSRC2:TGID_Y_EN: 1
; COMPUTE_PGM_RSRC2:TGID_Z_EN: 0
; COMPUTE_PGM_RSRC2:TIDIG_COMP_CNT: 0
	.section	.text._ZN2at6native12_GLOBAL__N_135CatArrayBatchedCopy_alignedK_contigINS1_10OpaqueTypeILj16EEEjLi3ELi128ELi1ELi8EEEvPT_NS1_25CatArrInputTensorMetadataIS5_T0_XT2_EXT3_EEENS1_16TensorSizeStrideIS8_Lj4EEEiS8_,"axG",@progbits,_ZN2at6native12_GLOBAL__N_135CatArrayBatchedCopy_alignedK_contigINS1_10OpaqueTypeILj16EEEjLi3ELi128ELi1ELi8EEEvPT_NS1_25CatArrInputTensorMetadataIS5_T0_XT2_EXT3_EEENS1_16TensorSizeStrideIS8_Lj4EEEiS8_,comdat
	.globl	_ZN2at6native12_GLOBAL__N_135CatArrayBatchedCopy_alignedK_contigINS1_10OpaqueTypeILj16EEEjLi3ELi128ELi1ELi8EEEvPT_NS1_25CatArrInputTensorMetadataIS5_T0_XT2_EXT3_EEENS1_16TensorSizeStrideIS8_Lj4EEEiS8_ ; -- Begin function _ZN2at6native12_GLOBAL__N_135CatArrayBatchedCopy_alignedK_contigINS1_10OpaqueTypeILj16EEEjLi3ELi128ELi1ELi8EEEvPT_NS1_25CatArrInputTensorMetadataIS5_T0_XT2_EXT3_EEENS1_16TensorSizeStrideIS8_Lj4EEEiS8_
	.p2align	8
	.type	_ZN2at6native12_GLOBAL__N_135CatArrayBatchedCopy_alignedK_contigINS1_10OpaqueTypeILj16EEEjLi3ELi128ELi1ELi8EEEvPT_NS1_25CatArrInputTensorMetadataIS5_T0_XT2_EXT3_EEENS1_16TensorSizeStrideIS8_Lj4EEEiS8_,@function
_ZN2at6native12_GLOBAL__N_135CatArrayBatchedCopy_alignedK_contigINS1_10OpaqueTypeILj16EEEjLi3ELi128ELi1ELi8EEEvPT_NS1_25CatArrInputTensorMetadataIS5_T0_XT2_EXT3_EEENS1_16TensorSizeStrideIS8_Lj4EEEiS8_: ; @_ZN2at6native12_GLOBAL__N_135CatArrayBatchedCopy_alignedK_contigINS1_10OpaqueTypeILj16EEEjLi3ELi128ELi1ELi8EEEvPT_NS1_25CatArrInputTensorMetadataIS5_T0_XT2_EXT3_EEENS1_16TensorSizeStrideIS8_Lj4EEEiS8_
; %bb.0:
	s_mov_b32 s0, s7
	s_load_dword s7, s[4:5], 0xadc
	s_mov_b32 s1, 0
	s_add_u32 s2, s4, 0xad0
	s_addc_u32 s3, s5, 0
	s_lshl_b64 s[8:9], s[0:1], 2
	s_waitcnt lgkmcnt(0)
	s_and_b32 s0, s7, 0xffff
	s_add_u32 s10, s4, s8
	s_addc_u32 s11, s5, s9
	v_mad_u64_u32 v[0:1], null, s6, s0, v[0:1]
	s_load_dword s12, s[10:11], 0x808
	s_add_u32 s6, s10, 8
	s_addc_u32 s7, s11, 0
	s_mov_b32 s10, exec_lo
	s_waitcnt lgkmcnt(0)
	v_cmpx_gt_u32_e64 s12, v0
	s_cbranch_execz .LBB92_6
; %bb.1:
	s_add_u32 s6, s6, s8
	s_addc_u32 s7, s7, s9
	s_sub_u32 s8, 0, s8
	s_load_dwordx2 s[14:15], s[4:5], 0xac8
	s_subb_u32 s9, 0, s9
	s_add_u32 s16, s6, s8
	s_addc_u32 s17, s7, s9
	s_clause 0x3
	s_load_dwordx2 s[18:19], s[4:5], 0xaac
	s_load_dword s13, s[16:17], 0x600
	s_load_dwordx4 s[8:11], s[4:5], 0xab8
	s_load_dword s16, s[16:17], 0x400
	s_load_dword s17, s[2:3], 0x0
	s_waitcnt lgkmcnt(0)
	s_cmp_eq_u32 s14, 2
	s_cselect_b32 s11, s13, s19
	s_cmp_eq_u32 s14, 1
	v_cvt_f32_u32_e32 v1, s11
	s_cselect_b32 s13, s13, s18
	s_sub_i32 s14, 0, s11
	v_cvt_f32_u32_e32 v2, s13
	s_sub_i32 s2, 0, s13
	v_rcp_iflag_f32_e32 v1, v1
	v_rcp_iflag_f32_e32 v2, v2
	v_mul_f32_e32 v1, 0x4f7ffffe, v1
	v_mul_f32_e32 v2, 0x4f7ffffe, v2
	v_cvt_u32_f32_e32 v1, v1
	v_cvt_u32_f32_e32 v3, v2
	v_mul_lo_u32 v2, s14, v1
	v_mul_lo_u32 v4, s2, v3
	s_clause 0x1
	s_load_dwordx2 s[2:3], s[4:5], 0x0
	s_load_dwordx2 s[6:7], s[6:7], 0x0
	s_mul_i32 s5, s17, s0
	s_mul_i32 s4, s16, s15
	v_mul_hi_u32 v5, v1, v2
	v_mov_b32_e32 v2, 0
	v_mul_hi_u32 v4, v3, v4
	v_add_nc_u32_e32 v7, v1, v5
	v_add_nc_u32_e32 v8, v3, v4
	;; [unrolled: 1-line block ×3, first 2 shown]
.LBB92_2:                               ; =>This Inner Loop Header: Depth=1
	v_add_nc_u32_e32 v1, -1, v3
	v_add_nc_u32_e32 v3, s5, v3
	v_lshlrev_b64 v[4:5], 4, v[1:2]
	v_mul_hi_u32 v6, v1, v7
	s_waitcnt lgkmcnt(0)
	v_add_co_u32 v4, vcc_lo, s6, v4
	v_add_co_ci_u32_e64 v5, null, s7, v5, vcc_lo
	global_load_dwordx4 v[9:12], v[4:5], off
	v_mul_hi_u32 v4, v7, v0
	v_mul_lo_u32 v13, s11, v4
	v_not_b32_e32 v4, v4
	v_mad_u64_u32 v[4:5], null, s11, v4, v[0:1]
	v_sub_nc_u32_e32 v13, v0, v13
	v_add_nc_u32_e32 v5, 1, v6
	v_add_nc_u32_e32 v0, s5, v0
	v_cmp_le_u32_e32 vcc_lo, s11, v13
	v_cndmask_b32_e32 v5, v6, v5, vcc_lo
	v_cndmask_b32_e32 v4, v13, v4, vcc_lo
	v_add_nc_u32_e32 v6, 1, v5
	v_cmp_le_u32_e32 vcc_lo, s11, v4
	v_cndmask_b32_e32 v6, v5, v6, vcc_lo
	v_mul_hi_u32 v4, v6, v8
	v_mul_lo_u32 v5, v4, s13
	v_add_nc_u32_e32 v13, 1, v4
	v_sub_nc_u32_e32 v5, v6, v5
	v_subrev_nc_u32_e32 v14, s13, v5
	v_cmp_le_u32_e32 vcc_lo, s13, v5
	v_cndmask_b32_e32 v4, v4, v13, vcc_lo
	v_cndmask_b32_e32 v5, v5, v14, vcc_lo
	v_add_nc_u32_e32 v13, 1, v4
	v_cmp_le_u32_e32 vcc_lo, s13, v5
	v_cndmask_b32_e32 v13, v4, v13, vcc_lo
	v_mad_u64_u32 v[4:5], null, s14, v6, v[1:2]
	v_cmp_lt_u32_e32 vcc_lo, s12, v3
	v_mul_lo_u32 v14, v13, s13
	v_mul_lo_u32 v1, v13, s8
	s_or_b32 s1, vcc_lo, s1
	v_sub_nc_u32_e32 v6, v6, v14
	v_mad_u64_u32 v[4:5], null, v4, s10, v[1:2]
	v_mul_lo_u32 v1, v6, s9
	v_add3_u32 v1, v4, v1, s4
	v_lshlrev_b64 v[4:5], 4, v[1:2]
	v_add_co_u32 v4, s0, s2, v4
	v_add_co_ci_u32_e64 v5, null, s3, v5, s0
	s_waitcnt vmcnt(0)
	global_store_dwordx4 v[4:5], v[9:12], off
	s_andn2_b32 exec_lo, exec_lo, s1
	s_cbranch_execnz .LBB92_2
; %bb.3:
	s_or_b32 exec_lo, exec_lo, s1
	v_add_nc_u32_e32 v0, -1, v3
	v_cmp_gt_u32_e32 vcc_lo, s12, v0
	s_and_b32 exec_lo, exec_lo, vcc_lo
	s_cbranch_execz .LBB92_6
; %bb.4:
	v_mov_b32_e32 v2, 0
	v_mad_u64_u32 v[3:4], null, v7, v0, 0
	s_mov_b32 s5, 0
	v_mov_b32_e32 v1, v2
	v_lshlrev_b64 v[5:6], 4, v[0:1]
	v_add_co_u32 v5, vcc_lo, s6, v5
	v_add_co_ci_u32_e64 v6, null, s7, v6, vcc_lo
.LBB92_5:                               ; =>This Inner Loop Header: Depth=1
	global_load_dwordx4 v[9:12], v[5:6], off
	v_mul_lo_u32 v1, s11, v4
	v_not_b32_e32 v13, v4
	v_add_nc_u32_e32 v15, 1, v4
	v_add_co_u32 v3, vcc_lo, v3, v7
	v_mad_u64_u32 v[13:14], null, s11, v13, v[0:1]
	v_sub_nc_u32_e32 v1, v0, v1
	v_cmp_le_u32_e64 s0, s11, v1
	v_cndmask_b32_e64 v14, v4, v15, s0
	v_cndmask_b32_e64 v1, v1, v13, s0
	v_add_co_ci_u32_e64 v4, null, 0, v4, vcc_lo
	v_add_nc_u32_e32 v13, 1, v14
	v_cmp_le_u32_e64 s0, s11, v1
	v_cndmask_b32_e64 v1, v14, v13, s0
	v_mul_hi_u32 v13, v1, v8
	v_mul_lo_u32 v14, v13, s13
	v_add_nc_u32_e32 v15, 1, v13
	v_sub_nc_u32_e32 v14, v1, v14
	v_subrev_nc_u32_e32 v16, s13, v14
	v_cmp_le_u32_e64 s0, s13, v14
	v_cndmask_b32_e64 v13, v13, v15, s0
	v_cndmask_b32_e64 v14, v14, v16, s0
	v_add_nc_u32_e32 v15, 1, v13
	v_cmp_le_u32_e64 s0, s13, v14
	v_cndmask_b32_e64 v15, v13, v15, s0
	v_mad_u64_u32 v[13:14], null, s14, v1, v[0:1]
	v_add_nc_u32_e32 v0, 1, v0
	v_add_co_u32 v5, s0, v5, 16
	v_mul_lo_u32 v16, v15, s13
	v_add_co_ci_u32_e64 v6, null, 0, v6, s0
	v_mul_lo_u32 v17, v13, s10
	v_mad_u64_u32 v[13:14], null, v15, s8, s[4:5]
	v_cmp_le_u32_e64 s0, s12, v0
	v_sub_nc_u32_e32 v1, v1, v16
	s_or_b32 s5, s0, s5
	v_mul_lo_u32 v1, v1, s9
	v_add3_u32 v1, v13, v17, v1
	v_lshlrev_b64 v[13:14], 4, v[1:2]
	v_add_co_u32 v13, s1, s2, v13
	v_add_co_ci_u32_e64 v14, null, s3, v14, s1
	s_waitcnt vmcnt(0)
	global_store_dwordx4 v[13:14], v[9:12], off
	s_andn2_b32 exec_lo, exec_lo, s5
	s_cbranch_execnz .LBB92_5
.LBB92_6:
	s_endpgm
	.section	.rodata,"a",@progbits
	.p2align	6, 0x0
	.amdhsa_kernel _ZN2at6native12_GLOBAL__N_135CatArrayBatchedCopy_alignedK_contigINS1_10OpaqueTypeILj16EEEjLi3ELi128ELi1ELi8EEEvPT_NS1_25CatArrInputTensorMetadataIS5_T0_XT2_EXT3_EEENS1_16TensorSizeStrideIS8_Lj4EEEiS8_
		.amdhsa_group_segment_fixed_size 0
		.amdhsa_private_segment_fixed_size 0
		.amdhsa_kernarg_size 3024
		.amdhsa_user_sgpr_count 6
		.amdhsa_user_sgpr_private_segment_buffer 1
		.amdhsa_user_sgpr_dispatch_ptr 0
		.amdhsa_user_sgpr_queue_ptr 0
		.amdhsa_user_sgpr_kernarg_segment_ptr 1
		.amdhsa_user_sgpr_dispatch_id 0
		.amdhsa_user_sgpr_flat_scratch_init 0
		.amdhsa_user_sgpr_private_segment_size 0
		.amdhsa_wavefront_size32 1
		.amdhsa_uses_dynamic_stack 0
		.amdhsa_system_sgpr_private_segment_wavefront_offset 0
		.amdhsa_system_sgpr_workgroup_id_x 1
		.amdhsa_system_sgpr_workgroup_id_y 1
		.amdhsa_system_sgpr_workgroup_id_z 0
		.amdhsa_system_sgpr_workgroup_info 0
		.amdhsa_system_vgpr_workitem_id 0
		.amdhsa_next_free_vgpr 18
		.amdhsa_next_free_sgpr 20
		.amdhsa_reserve_vcc 1
		.amdhsa_reserve_flat_scratch 0
		.amdhsa_float_round_mode_32 0
		.amdhsa_float_round_mode_16_64 0
		.amdhsa_float_denorm_mode_32 3
		.amdhsa_float_denorm_mode_16_64 3
		.amdhsa_dx10_clamp 1
		.amdhsa_ieee_mode 1
		.amdhsa_fp16_overflow 0
		.amdhsa_workgroup_processor_mode 1
		.amdhsa_memory_ordered 1
		.amdhsa_forward_progress 1
		.amdhsa_shared_vgpr_count 0
		.amdhsa_exception_fp_ieee_invalid_op 0
		.amdhsa_exception_fp_denorm_src 0
		.amdhsa_exception_fp_ieee_div_zero 0
		.amdhsa_exception_fp_ieee_overflow 0
		.amdhsa_exception_fp_ieee_underflow 0
		.amdhsa_exception_fp_ieee_inexact 0
		.amdhsa_exception_int_div_zero 0
	.end_amdhsa_kernel
	.section	.text._ZN2at6native12_GLOBAL__N_135CatArrayBatchedCopy_alignedK_contigINS1_10OpaqueTypeILj16EEEjLi3ELi128ELi1ELi8EEEvPT_NS1_25CatArrInputTensorMetadataIS5_T0_XT2_EXT3_EEENS1_16TensorSizeStrideIS8_Lj4EEEiS8_,"axG",@progbits,_ZN2at6native12_GLOBAL__N_135CatArrayBatchedCopy_alignedK_contigINS1_10OpaqueTypeILj16EEEjLi3ELi128ELi1ELi8EEEvPT_NS1_25CatArrInputTensorMetadataIS5_T0_XT2_EXT3_EEENS1_16TensorSizeStrideIS8_Lj4EEEiS8_,comdat
.Lfunc_end92:
	.size	_ZN2at6native12_GLOBAL__N_135CatArrayBatchedCopy_alignedK_contigINS1_10OpaqueTypeILj16EEEjLi3ELi128ELi1ELi8EEEvPT_NS1_25CatArrInputTensorMetadataIS5_T0_XT2_EXT3_EEENS1_16TensorSizeStrideIS8_Lj4EEEiS8_, .Lfunc_end92-_ZN2at6native12_GLOBAL__N_135CatArrayBatchedCopy_alignedK_contigINS1_10OpaqueTypeILj16EEEjLi3ELi128ELi1ELi8EEEvPT_NS1_25CatArrInputTensorMetadataIS5_T0_XT2_EXT3_EEENS1_16TensorSizeStrideIS8_Lj4EEEiS8_
                                        ; -- End function
	.set _ZN2at6native12_GLOBAL__N_135CatArrayBatchedCopy_alignedK_contigINS1_10OpaqueTypeILj16EEEjLi3ELi128ELi1ELi8EEEvPT_NS1_25CatArrInputTensorMetadataIS5_T0_XT2_EXT3_EEENS1_16TensorSizeStrideIS8_Lj4EEEiS8_.num_vgpr, 18
	.set _ZN2at6native12_GLOBAL__N_135CatArrayBatchedCopy_alignedK_contigINS1_10OpaqueTypeILj16EEEjLi3ELi128ELi1ELi8EEEvPT_NS1_25CatArrInputTensorMetadataIS5_T0_XT2_EXT3_EEENS1_16TensorSizeStrideIS8_Lj4EEEiS8_.num_agpr, 0
	.set _ZN2at6native12_GLOBAL__N_135CatArrayBatchedCopy_alignedK_contigINS1_10OpaqueTypeILj16EEEjLi3ELi128ELi1ELi8EEEvPT_NS1_25CatArrInputTensorMetadataIS5_T0_XT2_EXT3_EEENS1_16TensorSizeStrideIS8_Lj4EEEiS8_.numbered_sgpr, 20
	.set _ZN2at6native12_GLOBAL__N_135CatArrayBatchedCopy_alignedK_contigINS1_10OpaqueTypeILj16EEEjLi3ELi128ELi1ELi8EEEvPT_NS1_25CatArrInputTensorMetadataIS5_T0_XT2_EXT3_EEENS1_16TensorSizeStrideIS8_Lj4EEEiS8_.num_named_barrier, 0
	.set _ZN2at6native12_GLOBAL__N_135CatArrayBatchedCopy_alignedK_contigINS1_10OpaqueTypeILj16EEEjLi3ELi128ELi1ELi8EEEvPT_NS1_25CatArrInputTensorMetadataIS5_T0_XT2_EXT3_EEENS1_16TensorSizeStrideIS8_Lj4EEEiS8_.private_seg_size, 0
	.set _ZN2at6native12_GLOBAL__N_135CatArrayBatchedCopy_alignedK_contigINS1_10OpaqueTypeILj16EEEjLi3ELi128ELi1ELi8EEEvPT_NS1_25CatArrInputTensorMetadataIS5_T0_XT2_EXT3_EEENS1_16TensorSizeStrideIS8_Lj4EEEiS8_.uses_vcc, 1
	.set _ZN2at6native12_GLOBAL__N_135CatArrayBatchedCopy_alignedK_contigINS1_10OpaqueTypeILj16EEEjLi3ELi128ELi1ELi8EEEvPT_NS1_25CatArrInputTensorMetadataIS5_T0_XT2_EXT3_EEENS1_16TensorSizeStrideIS8_Lj4EEEiS8_.uses_flat_scratch, 0
	.set _ZN2at6native12_GLOBAL__N_135CatArrayBatchedCopy_alignedK_contigINS1_10OpaqueTypeILj16EEEjLi3ELi128ELi1ELi8EEEvPT_NS1_25CatArrInputTensorMetadataIS5_T0_XT2_EXT3_EEENS1_16TensorSizeStrideIS8_Lj4EEEiS8_.has_dyn_sized_stack, 0
	.set _ZN2at6native12_GLOBAL__N_135CatArrayBatchedCopy_alignedK_contigINS1_10OpaqueTypeILj16EEEjLi3ELi128ELi1ELi8EEEvPT_NS1_25CatArrInputTensorMetadataIS5_T0_XT2_EXT3_EEENS1_16TensorSizeStrideIS8_Lj4EEEiS8_.has_recursion, 0
	.set _ZN2at6native12_GLOBAL__N_135CatArrayBatchedCopy_alignedK_contigINS1_10OpaqueTypeILj16EEEjLi3ELi128ELi1ELi8EEEvPT_NS1_25CatArrInputTensorMetadataIS5_T0_XT2_EXT3_EEENS1_16TensorSizeStrideIS8_Lj4EEEiS8_.has_indirect_call, 0
	.section	.AMDGPU.csdata,"",@progbits
; Kernel info:
; codeLenInByte = 952
; TotalNumSgprs: 22
; NumVgprs: 18
; ScratchSize: 0
; MemoryBound: 0
; FloatMode: 240
; IeeeMode: 1
; LDSByteSize: 0 bytes/workgroup (compile time only)
; SGPRBlocks: 0
; VGPRBlocks: 2
; NumSGPRsForWavesPerEU: 22
; NumVGPRsForWavesPerEU: 18
; Occupancy: 16
; WaveLimiterHint : 1
; COMPUTE_PGM_RSRC2:SCRATCH_EN: 0
; COMPUTE_PGM_RSRC2:USER_SGPR: 6
; COMPUTE_PGM_RSRC2:TRAP_HANDLER: 0
; COMPUTE_PGM_RSRC2:TGID_X_EN: 1
; COMPUTE_PGM_RSRC2:TGID_Y_EN: 1
; COMPUTE_PGM_RSRC2:TGID_Z_EN: 0
; COMPUTE_PGM_RSRC2:TIDIG_COMP_CNT: 0
	.section	.text._ZN2at6native12_GLOBAL__N_126CatArrayBatchedCopy_contigINS1_10OpaqueTypeILj16EEEjLi3ELi128ELi1EEEvPT_NS1_25CatArrInputTensorMetadataIS5_T0_XT2_EXT3_EEENS1_16TensorSizeStrideIS8_Lj4EEEiS8_,"axG",@progbits,_ZN2at6native12_GLOBAL__N_126CatArrayBatchedCopy_contigINS1_10OpaqueTypeILj16EEEjLi3ELi128ELi1EEEvPT_NS1_25CatArrInputTensorMetadataIS5_T0_XT2_EXT3_EEENS1_16TensorSizeStrideIS8_Lj4EEEiS8_,comdat
	.globl	_ZN2at6native12_GLOBAL__N_126CatArrayBatchedCopy_contigINS1_10OpaqueTypeILj16EEEjLi3ELi128ELi1EEEvPT_NS1_25CatArrInputTensorMetadataIS5_T0_XT2_EXT3_EEENS1_16TensorSizeStrideIS8_Lj4EEEiS8_ ; -- Begin function _ZN2at6native12_GLOBAL__N_126CatArrayBatchedCopy_contigINS1_10OpaqueTypeILj16EEEjLi3ELi128ELi1EEEvPT_NS1_25CatArrInputTensorMetadataIS5_T0_XT2_EXT3_EEENS1_16TensorSizeStrideIS8_Lj4EEEiS8_
	.p2align	8
	.type	_ZN2at6native12_GLOBAL__N_126CatArrayBatchedCopy_contigINS1_10OpaqueTypeILj16EEEjLi3ELi128ELi1EEEvPT_NS1_25CatArrInputTensorMetadataIS5_T0_XT2_EXT3_EEENS1_16TensorSizeStrideIS8_Lj4EEEiS8_,@function
_ZN2at6native12_GLOBAL__N_126CatArrayBatchedCopy_contigINS1_10OpaqueTypeILj16EEEjLi3ELi128ELi1EEEvPT_NS1_25CatArrInputTensorMetadataIS5_T0_XT2_EXT3_EEENS1_16TensorSizeStrideIS8_Lj4EEEiS8_: ; @_ZN2at6native12_GLOBAL__N_126CatArrayBatchedCopy_contigINS1_10OpaqueTypeILj16EEEjLi3ELi128ELi1EEEvPT_NS1_25CatArrInputTensorMetadataIS5_T0_XT2_EXT3_EEENS1_16TensorSizeStrideIS8_Lj4EEEiS8_
; %bb.0:
	s_mov_b32 s0, s7
	s_load_dword s7, s[4:5], 0xadc
	s_mov_b32 s1, 0
	s_add_u32 s12, s4, 0xad0
	s_addc_u32 s13, s5, 0
	s_lshl_b64 s[2:3], s[0:1], 2
	s_waitcnt lgkmcnt(0)
	s_and_b32 s0, s7, 0xffff
	s_add_u32 s8, s4, s2
	s_addc_u32 s9, s5, s3
	v_mad_u64_u32 v[0:1], null, s6, s0, v[0:1]
	s_load_dword s7, s[8:9], 0x808
	s_add_u32 s6, s8, 8
	s_addc_u32 s8, s9, 0
	s_mov_b32 s9, exec_lo
	s_waitcnt lgkmcnt(0)
	v_cmpx_gt_u32_e64 s7, v0
	s_cbranch_execz .LBB93_3
; %bb.1:
	s_add_u32 s18, s6, s2
	s_addc_u32 s19, s8, s3
	s_sub_u32 s2, 0, s2
	s_load_dwordx2 s[16:17], s[4:5], 0xac8
	s_subb_u32 s3, 0, s3
	s_add_u32 s20, s18, s2
	s_addc_u32 s21, s19, s3
	s_clause 0x2
	s_load_dwordx2 s[2:3], s[4:5], 0xaac
	s_load_dword s6, s[20:21], 0x600
	s_load_dwordx4 s[8:11], s[4:5], 0xab8
	s_load_dword s12, s[12:13], 0x0
	s_waitcnt lgkmcnt(0)
	s_cmp_eq_u32 s16, 2
	s_cselect_b32 s11, s6, s3
	s_cmp_eq_u32 s16, 1
	v_cvt_f32_u32_e32 v1, s11
	s_cselect_b32 s14, s6, s2
	s_load_dwordx2 s[2:3], s[4:5], 0x0
	v_cvt_f32_u32_e32 v2, s14
	s_sub_i32 s15, 0, s11
	v_rcp_iflag_f32_e32 v1, v1
	s_sub_i32 s4, 0, s14
	s_load_dword s6, s[20:21], 0x400
	v_rcp_iflag_f32_e32 v2, v2
	s_mul_i32 s12, s12, s0
	v_mul_f32_e32 v1, 0x4f7ffffe, v1
	v_mul_f32_e32 v2, 0x4f7ffffe, v2
	v_cvt_u32_f32_e32 v1, v1
	v_cvt_u32_f32_e32 v3, v2
	v_mul_lo_u32 v2, s15, v1
	v_mul_lo_u32 v4, s4, v3
	s_load_dwordx2 s[4:5], s[18:19], 0x0
	s_waitcnt lgkmcnt(0)
	s_mul_i32 s6, s6, s17
	v_mul_hi_u32 v2, v1, v2
	v_mul_hi_u32 v4, v3, v4
	v_add_nc_u32_e32 v2, v1, v2
	v_mov_b32_e32 v1, 0
	v_add_nc_u32_e32 v3, v3, v4
.LBB93_2:                               ; =>This Inner Loop Header: Depth=1
	v_lshlrev_b64 v[4:5], 4, v[0:1]
	v_mul_hi_u32 v10, v2, v0
	v_add_co_u32 v4, vcc_lo, s4, v4
	v_add_co_ci_u32_e64 v5, null, s5, v5, vcc_lo
	v_mul_lo_u32 v11, s11, v10
	v_not_b32_e32 v8, v10
	v_add_nc_u32_e32 v12, 1, v10
	global_load_dwordx4 v[4:7], v[4:5], off
	v_mad_u64_u32 v[8:9], null, s11, v8, v[0:1]
	v_sub_nc_u32_e32 v9, v0, v11
	v_cmp_le_u32_e32 vcc_lo, s11, v9
	v_cndmask_b32_e32 v10, v10, v12, vcc_lo
	v_cndmask_b32_e32 v8, v9, v8, vcc_lo
	v_add_nc_u32_e32 v9, 1, v10
	v_cmp_le_u32_e32 vcc_lo, s11, v8
	v_cndmask_b32_e32 v10, v10, v9, vcc_lo
	v_mul_hi_u32 v8, v10, v3
	v_mul_lo_u32 v9, v8, s14
	v_add_nc_u32_e32 v11, 1, v8
	v_sub_nc_u32_e32 v9, v10, v9
	v_subrev_nc_u32_e32 v12, s14, v9
	v_cmp_le_u32_e32 vcc_lo, s14, v9
	v_cndmask_b32_e32 v8, v8, v11, vcc_lo
	v_cndmask_b32_e32 v9, v9, v12, vcc_lo
	v_add_nc_u32_e32 v11, 1, v8
	v_cmp_le_u32_e32 vcc_lo, s14, v9
	v_cndmask_b32_e32 v11, v8, v11, vcc_lo
	v_mad_u64_u32 v[8:9], null, s15, v10, v[0:1]
	v_add_nc_u32_e32 v0, s12, v0
	v_mul_lo_u32 v12, v11, s14
	v_cmp_le_u32_e32 vcc_lo, s7, v0
	v_mul_lo_u32 v13, v8, s10
	v_mad_u64_u32 v[8:9], null, v11, s8, s[6:7]
	v_mov_b32_e32 v9, v1
	v_sub_nc_u32_e32 v10, v10, v12
	s_or_b32 s1, vcc_lo, s1
	v_mul_lo_u32 v10, v10, s9
	v_add3_u32 v8, v8, v13, v10
	v_lshlrev_b64 v[8:9], 4, v[8:9]
	v_add_co_u32 v8, s0, s2, v8
	v_add_co_ci_u32_e64 v9, null, s3, v9, s0
	s_waitcnt vmcnt(0)
	global_store_dwordx4 v[8:9], v[4:7], off
	s_andn2_b32 exec_lo, exec_lo, s1
	s_cbranch_execnz .LBB93_2
.LBB93_3:
	s_endpgm
	.section	.rodata,"a",@progbits
	.p2align	6, 0x0
	.amdhsa_kernel _ZN2at6native12_GLOBAL__N_126CatArrayBatchedCopy_contigINS1_10OpaqueTypeILj16EEEjLi3ELi128ELi1EEEvPT_NS1_25CatArrInputTensorMetadataIS5_T0_XT2_EXT3_EEENS1_16TensorSizeStrideIS8_Lj4EEEiS8_
		.amdhsa_group_segment_fixed_size 0
		.amdhsa_private_segment_fixed_size 0
		.amdhsa_kernarg_size 3024
		.amdhsa_user_sgpr_count 6
		.amdhsa_user_sgpr_private_segment_buffer 1
		.amdhsa_user_sgpr_dispatch_ptr 0
		.amdhsa_user_sgpr_queue_ptr 0
		.amdhsa_user_sgpr_kernarg_segment_ptr 1
		.amdhsa_user_sgpr_dispatch_id 0
		.amdhsa_user_sgpr_flat_scratch_init 0
		.amdhsa_user_sgpr_private_segment_size 0
		.amdhsa_wavefront_size32 1
		.amdhsa_uses_dynamic_stack 0
		.amdhsa_system_sgpr_private_segment_wavefront_offset 0
		.amdhsa_system_sgpr_workgroup_id_x 1
		.amdhsa_system_sgpr_workgroup_id_y 1
		.amdhsa_system_sgpr_workgroup_id_z 0
		.amdhsa_system_sgpr_workgroup_info 0
		.amdhsa_system_vgpr_workitem_id 0
		.amdhsa_next_free_vgpr 14
		.amdhsa_next_free_sgpr 22
		.amdhsa_reserve_vcc 1
		.amdhsa_reserve_flat_scratch 0
		.amdhsa_float_round_mode_32 0
		.amdhsa_float_round_mode_16_64 0
		.amdhsa_float_denorm_mode_32 3
		.amdhsa_float_denorm_mode_16_64 3
		.amdhsa_dx10_clamp 1
		.amdhsa_ieee_mode 1
		.amdhsa_fp16_overflow 0
		.amdhsa_workgroup_processor_mode 1
		.amdhsa_memory_ordered 1
		.amdhsa_forward_progress 1
		.amdhsa_shared_vgpr_count 0
		.amdhsa_exception_fp_ieee_invalid_op 0
		.amdhsa_exception_fp_denorm_src 0
		.amdhsa_exception_fp_ieee_div_zero 0
		.amdhsa_exception_fp_ieee_overflow 0
		.amdhsa_exception_fp_ieee_underflow 0
		.amdhsa_exception_fp_ieee_inexact 0
		.amdhsa_exception_int_div_zero 0
	.end_amdhsa_kernel
	.section	.text._ZN2at6native12_GLOBAL__N_126CatArrayBatchedCopy_contigINS1_10OpaqueTypeILj16EEEjLi3ELi128ELi1EEEvPT_NS1_25CatArrInputTensorMetadataIS5_T0_XT2_EXT3_EEENS1_16TensorSizeStrideIS8_Lj4EEEiS8_,"axG",@progbits,_ZN2at6native12_GLOBAL__N_126CatArrayBatchedCopy_contigINS1_10OpaqueTypeILj16EEEjLi3ELi128ELi1EEEvPT_NS1_25CatArrInputTensorMetadataIS5_T0_XT2_EXT3_EEENS1_16TensorSizeStrideIS8_Lj4EEEiS8_,comdat
.Lfunc_end93:
	.size	_ZN2at6native12_GLOBAL__N_126CatArrayBatchedCopy_contigINS1_10OpaqueTypeILj16EEEjLi3ELi128ELi1EEEvPT_NS1_25CatArrInputTensorMetadataIS5_T0_XT2_EXT3_EEENS1_16TensorSizeStrideIS8_Lj4EEEiS8_, .Lfunc_end93-_ZN2at6native12_GLOBAL__N_126CatArrayBatchedCopy_contigINS1_10OpaqueTypeILj16EEEjLi3ELi128ELi1EEEvPT_NS1_25CatArrInputTensorMetadataIS5_T0_XT2_EXT3_EEENS1_16TensorSizeStrideIS8_Lj4EEEiS8_
                                        ; -- End function
	.set _ZN2at6native12_GLOBAL__N_126CatArrayBatchedCopy_contigINS1_10OpaqueTypeILj16EEEjLi3ELi128ELi1EEEvPT_NS1_25CatArrInputTensorMetadataIS5_T0_XT2_EXT3_EEENS1_16TensorSizeStrideIS8_Lj4EEEiS8_.num_vgpr, 14
	.set _ZN2at6native12_GLOBAL__N_126CatArrayBatchedCopy_contigINS1_10OpaqueTypeILj16EEEjLi3ELi128ELi1EEEvPT_NS1_25CatArrInputTensorMetadataIS5_T0_XT2_EXT3_EEENS1_16TensorSizeStrideIS8_Lj4EEEiS8_.num_agpr, 0
	.set _ZN2at6native12_GLOBAL__N_126CatArrayBatchedCopy_contigINS1_10OpaqueTypeILj16EEEjLi3ELi128ELi1EEEvPT_NS1_25CatArrInputTensorMetadataIS5_T0_XT2_EXT3_EEENS1_16TensorSizeStrideIS8_Lj4EEEiS8_.numbered_sgpr, 22
	.set _ZN2at6native12_GLOBAL__N_126CatArrayBatchedCopy_contigINS1_10OpaqueTypeILj16EEEjLi3ELi128ELi1EEEvPT_NS1_25CatArrInputTensorMetadataIS5_T0_XT2_EXT3_EEENS1_16TensorSizeStrideIS8_Lj4EEEiS8_.num_named_barrier, 0
	.set _ZN2at6native12_GLOBAL__N_126CatArrayBatchedCopy_contigINS1_10OpaqueTypeILj16EEEjLi3ELi128ELi1EEEvPT_NS1_25CatArrInputTensorMetadataIS5_T0_XT2_EXT3_EEENS1_16TensorSizeStrideIS8_Lj4EEEiS8_.private_seg_size, 0
	.set _ZN2at6native12_GLOBAL__N_126CatArrayBatchedCopy_contigINS1_10OpaqueTypeILj16EEEjLi3ELi128ELi1EEEvPT_NS1_25CatArrInputTensorMetadataIS5_T0_XT2_EXT3_EEENS1_16TensorSizeStrideIS8_Lj4EEEiS8_.uses_vcc, 1
	.set _ZN2at6native12_GLOBAL__N_126CatArrayBatchedCopy_contigINS1_10OpaqueTypeILj16EEEjLi3ELi128ELi1EEEvPT_NS1_25CatArrInputTensorMetadataIS5_T0_XT2_EXT3_EEENS1_16TensorSizeStrideIS8_Lj4EEEiS8_.uses_flat_scratch, 0
	.set _ZN2at6native12_GLOBAL__N_126CatArrayBatchedCopy_contigINS1_10OpaqueTypeILj16EEEjLi3ELi128ELi1EEEvPT_NS1_25CatArrInputTensorMetadataIS5_T0_XT2_EXT3_EEENS1_16TensorSizeStrideIS8_Lj4EEEiS8_.has_dyn_sized_stack, 0
	.set _ZN2at6native12_GLOBAL__N_126CatArrayBatchedCopy_contigINS1_10OpaqueTypeILj16EEEjLi3ELi128ELi1EEEvPT_NS1_25CatArrInputTensorMetadataIS5_T0_XT2_EXT3_EEENS1_16TensorSizeStrideIS8_Lj4EEEiS8_.has_recursion, 0
	.set _ZN2at6native12_GLOBAL__N_126CatArrayBatchedCopy_contigINS1_10OpaqueTypeILj16EEEjLi3ELi128ELi1EEEvPT_NS1_25CatArrInputTensorMetadataIS5_T0_XT2_EXT3_EEENS1_16TensorSizeStrideIS8_Lj4EEEiS8_.has_indirect_call, 0
	.section	.AMDGPU.csdata,"",@progbits
; Kernel info:
; codeLenInByte = 572
; TotalNumSgprs: 24
; NumVgprs: 14
; ScratchSize: 0
; MemoryBound: 0
; FloatMode: 240
; IeeeMode: 1
; LDSByteSize: 0 bytes/workgroup (compile time only)
; SGPRBlocks: 0
; VGPRBlocks: 1
; NumSGPRsForWavesPerEU: 24
; NumVGPRsForWavesPerEU: 14
; Occupancy: 16
; WaveLimiterHint : 1
; COMPUTE_PGM_RSRC2:SCRATCH_EN: 0
; COMPUTE_PGM_RSRC2:USER_SGPR: 6
; COMPUTE_PGM_RSRC2:TRAP_HANDLER: 0
; COMPUTE_PGM_RSRC2:TGID_X_EN: 1
; COMPUTE_PGM_RSRC2:TGID_Y_EN: 1
; COMPUTE_PGM_RSRC2:TGID_Z_EN: 0
; COMPUTE_PGM_RSRC2:TIDIG_COMP_CNT: 0
	.section	.text._ZN2at6native12_GLOBAL__N_119CatArrayBatchedCopyINS1_10OpaqueTypeILj16EEEjLi3ELi128ELi1EEEvPT_NS1_25CatArrInputTensorMetadataIS5_T0_XT2_EXT3_EEENS1_16TensorSizeStrideIS8_Lj4EEEiS8_,"axG",@progbits,_ZN2at6native12_GLOBAL__N_119CatArrayBatchedCopyINS1_10OpaqueTypeILj16EEEjLi3ELi128ELi1EEEvPT_NS1_25CatArrInputTensorMetadataIS5_T0_XT2_EXT3_EEENS1_16TensorSizeStrideIS8_Lj4EEEiS8_,comdat
	.globl	_ZN2at6native12_GLOBAL__N_119CatArrayBatchedCopyINS1_10OpaqueTypeILj16EEEjLi3ELi128ELi1EEEvPT_NS1_25CatArrInputTensorMetadataIS5_T0_XT2_EXT3_EEENS1_16TensorSizeStrideIS8_Lj4EEEiS8_ ; -- Begin function _ZN2at6native12_GLOBAL__N_119CatArrayBatchedCopyINS1_10OpaqueTypeILj16EEEjLi3ELi128ELi1EEEvPT_NS1_25CatArrInputTensorMetadataIS5_T0_XT2_EXT3_EEENS1_16TensorSizeStrideIS8_Lj4EEEiS8_
	.p2align	8
	.type	_ZN2at6native12_GLOBAL__N_119CatArrayBatchedCopyINS1_10OpaqueTypeILj16EEEjLi3ELi128ELi1EEEvPT_NS1_25CatArrInputTensorMetadataIS5_T0_XT2_EXT3_EEENS1_16TensorSizeStrideIS8_Lj4EEEiS8_,@function
_ZN2at6native12_GLOBAL__N_119CatArrayBatchedCopyINS1_10OpaqueTypeILj16EEEjLi3ELi128ELi1EEEvPT_NS1_25CatArrInputTensorMetadataIS5_T0_XT2_EXT3_EEENS1_16TensorSizeStrideIS8_Lj4EEEiS8_: ; @_ZN2at6native12_GLOBAL__N_119CatArrayBatchedCopyINS1_10OpaqueTypeILj16EEEjLi3ELi128ELi1EEEvPT_NS1_25CatArrInputTensorMetadataIS5_T0_XT2_EXT3_EEENS1_16TensorSizeStrideIS8_Lj4EEEiS8_
; %bb.0:
	s_mov_b32 s0, s7
	s_load_dword s7, s[4:5], 0xadc
	s_or_b32 s12, s4, 8
	s_mov_b32 s1, 0
	s_add_u32 s2, s4, 0xad0
	s_addc_u32 s3, s5, 0
	s_lshl_b64 s[8:9], s[0:1], 2
	s_waitcnt lgkmcnt(0)
	s_and_b32 s21, s7, 0xffff
	s_add_u32 s10, s12, s8
	s_addc_u32 s11, s5, s9
	v_mad_u64_u32 v[0:1], null, s6, s21, v[0:1]
	s_load_dword s7, s[10:11], 0x800
	s_mov_b32 s6, exec_lo
	s_waitcnt lgkmcnt(0)
	v_cmpx_gt_u32_e64 s7, v0
	s_cbranch_execz .LBB94_5
; %bb.1:
	v_mov_b32_e32 v1, 0x800
	s_add_u32 s14, s12, s0
	s_addc_u32 s15, s5, 0
	s_mov_b32 s13, s5
	global_load_ubyte v1, v1, s[14:15] offset:512
	s_waitcnt vmcnt(0)
	v_and_b32_e32 v1, 1, v1
	v_cmp_eq_u32_e32 vcc_lo, 1, v1
	s_xor_b32 s6, vcc_lo, -1
	s_add_u32 s22, s10, s8
	s_addc_u32 s23, s11, s9
	s_sub_u32 s0, 0, s8
	s_subb_u32 s8, 0, s9
	s_add_u32 s24, s22, s0
	s_addc_u32 s25, s23, s8
	s_clause 0x4
	s_load_dwordx2 s[26:27], s[4:5], 0xac8
	s_load_dword s0, s[24:25], 0x600
	s_load_dwordx2 s[14:15], s[4:5], 0xaac
	s_load_dwordx2 s[18:19], s[4:5], 0xa8c
	s_load_dwordx4 s[8:11], s[4:5], 0xab8
	s_waitcnt lgkmcnt(0)
	s_cmp_eq_u32 s26, 2
	s_cselect_b32 s11, s0, s15
	s_cselect_b32 s16, s0, s19
	s_cmp_eq_u32 s26, 1
	v_cvt_f32_u32_e32 v1, s11
	s_cselect_b32 s17, s0, s14
	s_cselect_b32 s18, s0, s18
	v_cvt_f32_u32_e32 v2, s16
	v_cvt_f32_u32_e32 v3, s17
	v_cvt_f32_u32_e32 v4, s18
	v_rcp_iflag_f32_e32 v1, v1
	s_clause 0x1
	s_load_dwordx4 s[12:15], s[12:13], 0xa90
	s_load_dword s20, s[24:25], 0x400
	s_load_dword s0, s[2:3], 0x0
	v_rcp_iflag_f32_e32 v2, v2
	v_rcp_iflag_f32_e32 v3, v3
	;; [unrolled: 1-line block ×3, first 2 shown]
	s_waitcnt lgkmcnt(0)
	s_sub_i32 s15, 0, s11
	s_sub_i32 s19, 0, s16
	;; [unrolled: 1-line block ×4, first 2 shown]
	v_mul_f32_e32 v1, 0x4f7ffffe, v1
	v_mul_f32_e32 v2, 0x4f7ffffe, v2
	;; [unrolled: 1-line block ×4, first 2 shown]
	v_cvt_u32_f32_e32 v5, v1
	v_cvt_u32_f32_e32 v2, v2
	;; [unrolled: 1-line block ×4, first 2 shown]
	v_mul_lo_u32 v1, s15, v5
	s_mul_i32 s20, s20, s27
	v_mul_lo_u32 v4, s19, v2
	v_mul_lo_u32 v6, s2, v3
	;; [unrolled: 1-line block ×3, first 2 shown]
	s_clause 0x1
	s_load_dwordx2 s[2:3], s[4:5], 0x0
	s_load_dwordx2 s[4:5], s[22:23], 0x0
	s_mul_i32 s21, s0, s21
	v_mul_hi_u32 v9, v5, v1
	v_mov_b32_e32 v1, 0
	v_mul_hi_u32 v10, v2, v4
	v_mul_hi_u32 v6, v3, v6
	;; [unrolled: 1-line block ×3, first 2 shown]
	v_add_nc_u32_e32 v4, v5, v9
	v_add_nc_u32_e32 v5, v2, v10
	;; [unrolled: 1-line block ×4, first 2 shown]
	s_branch .LBB94_3
.LBB94_2:                               ;   in Loop: Header=BB94_3 Depth=1
	v_lshlrev_b64 v[2:3], 4, v[2:3]
	v_mul_hi_u32 v14, v4, v0
	s_waitcnt lgkmcnt(0)
	v_add_co_u32 v2, vcc_lo, s4, v2
	v_add_co_ci_u32_e64 v3, null, s5, v3, vcc_lo
	v_not_b32_e32 v12, v14
	global_load_dwordx4 v[8:11], v[2:3], off
	v_mad_u64_u32 v[2:3], null, s15, v14, v[0:1]
	v_mad_u64_u32 v[12:13], null, s11, v12, v[0:1]
	v_add_nc_u32_e32 v3, 1, v14
	v_cmp_le_u32_e32 vcc_lo, s11, v2
	v_cndmask_b32_e32 v3, v14, v3, vcc_lo
	v_cndmask_b32_e32 v2, v2, v12, vcc_lo
	v_add_nc_u32_e32 v12, 1, v3
	v_cmp_le_u32_e32 vcc_lo, s11, v2
	v_cndmask_b32_e32 v12, v3, v12, vcc_lo
	v_mul_hi_u32 v2, v12, v6
	v_mul_lo_u32 v3, v2, s17
	v_add_nc_u32_e32 v13, 1, v2
	v_sub_nc_u32_e32 v3, v12, v3
	v_subrev_nc_u32_e32 v14, s17, v3
	v_cmp_le_u32_e32 vcc_lo, s17, v3
	v_cndmask_b32_e32 v2, v2, v13, vcc_lo
	v_cndmask_b32_e32 v3, v3, v14, vcc_lo
	v_add_nc_u32_e32 v13, 1, v2
	v_cmp_le_u32_e32 vcc_lo, s17, v3
	v_cndmask_b32_e32 v13, v2, v13, vcc_lo
	v_mad_u64_u32 v[2:3], null, s15, v12, v[0:1]
	v_add_nc_u32_e32 v0, s21, v0
	v_mul_lo_u32 v14, v13, s17
	v_mul_lo_u32 v3, v13, s8
	v_cmp_le_u32_e32 vcc_lo, s7, v0
	v_sub_nc_u32_e32 v12, v12, v14
	v_mad_u64_u32 v[2:3], null, v2, s10, v[3:4]
	v_mov_b32_e32 v3, v1
	s_or_b32 s1, vcc_lo, s1
	v_mul_lo_u32 v12, v12, s9
	v_add3_u32 v2, v2, v12, s20
	v_lshlrev_b64 v[2:3], 4, v[2:3]
	v_add_co_u32 v2, s0, s2, v2
	v_add_co_ci_u32_e64 v3, null, s3, v3, s0
	s_waitcnt vmcnt(0)
	global_store_dwordx4 v[2:3], v[8:11], off
	s_andn2_b32 exec_lo, exec_lo, s1
	s_cbranch_execz .LBB94_5
.LBB94_3:                               ; =>This Inner Loop Header: Depth=1
	v_mov_b32_e32 v3, v1
	v_mov_b32_e32 v2, v0
	s_andn2_b32 vcc_lo, exec_lo, s6
	s_cbranch_vccnz .LBB94_2
; %bb.4:                                ;   in Loop: Header=BB94_3 Depth=1
	v_mul_hi_u32 v10, v5, v0
	v_not_b32_e32 v8, v10
	v_mad_u64_u32 v[2:3], null, s19, v10, v[0:1]
	v_add_nc_u32_e32 v3, 1, v10
	v_mad_u64_u32 v[8:9], null, s16, v8, v[0:1]
	v_cmp_le_u32_e32 vcc_lo, s16, v2
	v_cndmask_b32_e32 v3, v10, v3, vcc_lo
	v_cndmask_b32_e32 v2, v2, v8, vcc_lo
	v_add_nc_u32_e32 v8, 1, v3
	v_cmp_le_u32_e32 vcc_lo, s16, v2
	v_cndmask_b32_e32 v8, v3, v8, vcc_lo
	v_mul_hi_u32 v2, v8, v7
	v_mul_lo_u32 v3, v2, s18
	v_add_nc_u32_e32 v9, 1, v2
	v_sub_nc_u32_e32 v3, v8, v3
	v_subrev_nc_u32_e32 v10, s18, v3
	v_cmp_le_u32_e32 vcc_lo, s18, v3
	v_cndmask_b32_e32 v2, v2, v9, vcc_lo
	v_cndmask_b32_e32 v3, v3, v10, vcc_lo
	v_add_nc_u32_e32 v9, 1, v2
	v_cmp_le_u32_e32 vcc_lo, s18, v3
	v_cndmask_b32_e32 v9, v2, v9, vcc_lo
	v_mad_u64_u32 v[2:3], null, s19, v8, v[0:1]
	v_mul_lo_u32 v10, v9, s18
	v_mul_lo_u32 v2, v2, s14
	v_sub_nc_u32_e32 v3, v8, v10
	v_mul_lo_u32 v8, v9, s12
	v_mul_lo_u32 v3, v3, s13
	v_add3_u32 v2, v2, v8, v3
	v_mov_b32_e32 v3, v1
	s_branch .LBB94_2
.LBB94_5:
	s_endpgm
	.section	.rodata,"a",@progbits
	.p2align	6, 0x0
	.amdhsa_kernel _ZN2at6native12_GLOBAL__N_119CatArrayBatchedCopyINS1_10OpaqueTypeILj16EEEjLi3ELi128ELi1EEEvPT_NS1_25CatArrInputTensorMetadataIS5_T0_XT2_EXT3_EEENS1_16TensorSizeStrideIS8_Lj4EEEiS8_
		.amdhsa_group_segment_fixed_size 0
		.amdhsa_private_segment_fixed_size 0
		.amdhsa_kernarg_size 3024
		.amdhsa_user_sgpr_count 6
		.amdhsa_user_sgpr_private_segment_buffer 1
		.amdhsa_user_sgpr_dispatch_ptr 0
		.amdhsa_user_sgpr_queue_ptr 0
		.amdhsa_user_sgpr_kernarg_segment_ptr 1
		.amdhsa_user_sgpr_dispatch_id 0
		.amdhsa_user_sgpr_flat_scratch_init 0
		.amdhsa_user_sgpr_private_segment_size 0
		.amdhsa_wavefront_size32 1
		.amdhsa_uses_dynamic_stack 0
		.amdhsa_system_sgpr_private_segment_wavefront_offset 0
		.amdhsa_system_sgpr_workgroup_id_x 1
		.amdhsa_system_sgpr_workgroup_id_y 1
		.amdhsa_system_sgpr_workgroup_id_z 0
		.amdhsa_system_sgpr_workgroup_info 0
		.amdhsa_system_vgpr_workitem_id 0
		.amdhsa_next_free_vgpr 15
		.amdhsa_next_free_sgpr 28
		.amdhsa_reserve_vcc 1
		.amdhsa_reserve_flat_scratch 0
		.amdhsa_float_round_mode_32 0
		.amdhsa_float_round_mode_16_64 0
		.amdhsa_float_denorm_mode_32 3
		.amdhsa_float_denorm_mode_16_64 3
		.amdhsa_dx10_clamp 1
		.amdhsa_ieee_mode 1
		.amdhsa_fp16_overflow 0
		.amdhsa_workgroup_processor_mode 1
		.amdhsa_memory_ordered 1
		.amdhsa_forward_progress 1
		.amdhsa_shared_vgpr_count 0
		.amdhsa_exception_fp_ieee_invalid_op 0
		.amdhsa_exception_fp_denorm_src 0
		.amdhsa_exception_fp_ieee_div_zero 0
		.amdhsa_exception_fp_ieee_overflow 0
		.amdhsa_exception_fp_ieee_underflow 0
		.amdhsa_exception_fp_ieee_inexact 0
		.amdhsa_exception_int_div_zero 0
	.end_amdhsa_kernel
	.section	.text._ZN2at6native12_GLOBAL__N_119CatArrayBatchedCopyINS1_10OpaqueTypeILj16EEEjLi3ELi128ELi1EEEvPT_NS1_25CatArrInputTensorMetadataIS5_T0_XT2_EXT3_EEENS1_16TensorSizeStrideIS8_Lj4EEEiS8_,"axG",@progbits,_ZN2at6native12_GLOBAL__N_119CatArrayBatchedCopyINS1_10OpaqueTypeILj16EEEjLi3ELi128ELi1EEEvPT_NS1_25CatArrInputTensorMetadataIS5_T0_XT2_EXT3_EEENS1_16TensorSizeStrideIS8_Lj4EEEiS8_,comdat
.Lfunc_end94:
	.size	_ZN2at6native12_GLOBAL__N_119CatArrayBatchedCopyINS1_10OpaqueTypeILj16EEEjLi3ELi128ELi1EEEvPT_NS1_25CatArrInputTensorMetadataIS5_T0_XT2_EXT3_EEENS1_16TensorSizeStrideIS8_Lj4EEEiS8_, .Lfunc_end94-_ZN2at6native12_GLOBAL__N_119CatArrayBatchedCopyINS1_10OpaqueTypeILj16EEEjLi3ELi128ELi1EEEvPT_NS1_25CatArrInputTensorMetadataIS5_T0_XT2_EXT3_EEENS1_16TensorSizeStrideIS8_Lj4EEEiS8_
                                        ; -- End function
	.set _ZN2at6native12_GLOBAL__N_119CatArrayBatchedCopyINS1_10OpaqueTypeILj16EEEjLi3ELi128ELi1EEEvPT_NS1_25CatArrInputTensorMetadataIS5_T0_XT2_EXT3_EEENS1_16TensorSizeStrideIS8_Lj4EEEiS8_.num_vgpr, 15
	.set _ZN2at6native12_GLOBAL__N_119CatArrayBatchedCopyINS1_10OpaqueTypeILj16EEEjLi3ELi128ELi1EEEvPT_NS1_25CatArrInputTensorMetadataIS5_T0_XT2_EXT3_EEENS1_16TensorSizeStrideIS8_Lj4EEEiS8_.num_agpr, 0
	.set _ZN2at6native12_GLOBAL__N_119CatArrayBatchedCopyINS1_10OpaqueTypeILj16EEEjLi3ELi128ELi1EEEvPT_NS1_25CatArrInputTensorMetadataIS5_T0_XT2_EXT3_EEENS1_16TensorSizeStrideIS8_Lj4EEEiS8_.numbered_sgpr, 28
	.set _ZN2at6native12_GLOBAL__N_119CatArrayBatchedCopyINS1_10OpaqueTypeILj16EEEjLi3ELi128ELi1EEEvPT_NS1_25CatArrInputTensorMetadataIS5_T0_XT2_EXT3_EEENS1_16TensorSizeStrideIS8_Lj4EEEiS8_.num_named_barrier, 0
	.set _ZN2at6native12_GLOBAL__N_119CatArrayBatchedCopyINS1_10OpaqueTypeILj16EEEjLi3ELi128ELi1EEEvPT_NS1_25CatArrInputTensorMetadataIS5_T0_XT2_EXT3_EEENS1_16TensorSizeStrideIS8_Lj4EEEiS8_.private_seg_size, 0
	.set _ZN2at6native12_GLOBAL__N_119CatArrayBatchedCopyINS1_10OpaqueTypeILj16EEEjLi3ELi128ELi1EEEvPT_NS1_25CatArrInputTensorMetadataIS5_T0_XT2_EXT3_EEENS1_16TensorSizeStrideIS8_Lj4EEEiS8_.uses_vcc, 1
	.set _ZN2at6native12_GLOBAL__N_119CatArrayBatchedCopyINS1_10OpaqueTypeILj16EEEjLi3ELi128ELi1EEEvPT_NS1_25CatArrInputTensorMetadataIS5_T0_XT2_EXT3_EEENS1_16TensorSizeStrideIS8_Lj4EEEiS8_.uses_flat_scratch, 0
	.set _ZN2at6native12_GLOBAL__N_119CatArrayBatchedCopyINS1_10OpaqueTypeILj16EEEjLi3ELi128ELi1EEEvPT_NS1_25CatArrInputTensorMetadataIS5_T0_XT2_EXT3_EEENS1_16TensorSizeStrideIS8_Lj4EEEiS8_.has_dyn_sized_stack, 0
	.set _ZN2at6native12_GLOBAL__N_119CatArrayBatchedCopyINS1_10OpaqueTypeILj16EEEjLi3ELi128ELi1EEEvPT_NS1_25CatArrInputTensorMetadataIS5_T0_XT2_EXT3_EEENS1_16TensorSizeStrideIS8_Lj4EEEiS8_.has_recursion, 0
	.set _ZN2at6native12_GLOBAL__N_119CatArrayBatchedCopyINS1_10OpaqueTypeILj16EEEjLi3ELi128ELi1EEEvPT_NS1_25CatArrInputTensorMetadataIS5_T0_XT2_EXT3_EEENS1_16TensorSizeStrideIS8_Lj4EEEiS8_.has_indirect_call, 0
	.section	.AMDGPU.csdata,"",@progbits
; Kernel info:
; codeLenInByte = 920
; TotalNumSgprs: 30
; NumVgprs: 15
; ScratchSize: 0
; MemoryBound: 0
; FloatMode: 240
; IeeeMode: 1
; LDSByteSize: 0 bytes/workgroup (compile time only)
; SGPRBlocks: 0
; VGPRBlocks: 1
; NumSGPRsForWavesPerEU: 30
; NumVGPRsForWavesPerEU: 15
; Occupancy: 16
; WaveLimiterHint : 1
; COMPUTE_PGM_RSRC2:SCRATCH_EN: 0
; COMPUTE_PGM_RSRC2:USER_SGPR: 6
; COMPUTE_PGM_RSRC2:TRAP_HANDLER: 0
; COMPUTE_PGM_RSRC2:TGID_X_EN: 1
; COMPUTE_PGM_RSRC2:TGID_Y_EN: 1
; COMPUTE_PGM_RSRC2:TGID_Z_EN: 0
; COMPUTE_PGM_RSRC2:TIDIG_COMP_CNT: 0
	.section	.text._ZN2at6native12_GLOBAL__N_130CatArrayBatchedCopy_vectorizedINS1_10OpaqueTypeILj16EEEjLi4ELi128ELi1ELi16ELi1EEEvPcNS1_25CatArrInputTensorMetadataIT_T0_XT2_EXT3_EEENS1_16TensorSizeStrideIS8_Lj4EEEiS8_,"axG",@progbits,_ZN2at6native12_GLOBAL__N_130CatArrayBatchedCopy_vectorizedINS1_10OpaqueTypeILj16EEEjLi4ELi128ELi1ELi16ELi1EEEvPcNS1_25CatArrInputTensorMetadataIT_T0_XT2_EXT3_EEENS1_16TensorSizeStrideIS8_Lj4EEEiS8_,comdat
	.globl	_ZN2at6native12_GLOBAL__N_130CatArrayBatchedCopy_vectorizedINS1_10OpaqueTypeILj16EEEjLi4ELi128ELi1ELi16ELi1EEEvPcNS1_25CatArrInputTensorMetadataIT_T0_XT2_EXT3_EEENS1_16TensorSizeStrideIS8_Lj4EEEiS8_ ; -- Begin function _ZN2at6native12_GLOBAL__N_130CatArrayBatchedCopy_vectorizedINS1_10OpaqueTypeILj16EEEjLi4ELi128ELi1ELi16ELi1EEEvPcNS1_25CatArrInputTensorMetadataIT_T0_XT2_EXT3_EEENS1_16TensorSizeStrideIS8_Lj4EEEiS8_
	.p2align	8
	.type	_ZN2at6native12_GLOBAL__N_130CatArrayBatchedCopy_vectorizedINS1_10OpaqueTypeILj16EEEjLi4ELi128ELi1ELi16ELi1EEEvPcNS1_25CatArrInputTensorMetadataIT_T0_XT2_EXT3_EEENS1_16TensorSizeStrideIS8_Lj4EEEiS8_,@function
_ZN2at6native12_GLOBAL__N_130CatArrayBatchedCopy_vectorizedINS1_10OpaqueTypeILj16EEEjLi4ELi128ELi1ELi16ELi1EEEvPcNS1_25CatArrInputTensorMetadataIT_T0_XT2_EXT3_EEENS1_16TensorSizeStrideIS8_Lj4EEEiS8_: ; @_ZN2at6native12_GLOBAL__N_130CatArrayBatchedCopy_vectorizedINS1_10OpaqueTypeILj16EEEjLi4ELi128ELi1ELi16ELi1EEEvPcNS1_25CatArrInputTensorMetadataIT_T0_XT2_EXT3_EEENS1_16TensorSizeStrideIS8_Lj4EEEiS8_
; %bb.0:
	s_mov_b32 s0, s7
	s_load_dword s7, s[4:5], 0xadc
	s_mov_b32 s1, 0
	s_add_u32 s2, s4, 0xad0
	s_addc_u32 s3, s5, 0
	s_lshl_b64 s[8:9], s[0:1], 2
	s_waitcnt lgkmcnt(0)
	s_and_b32 s15, s7, 0xffff
	s_add_u32 s12, s4, s8
	s_addc_u32 s13, s5, s9
	v_mad_u64_u32 v[0:1], null, s6, s15, v[0:1]
	s_load_dword s10, s[12:13], 0x808
	s_add_u32 s0, s12, 8
	s_addc_u32 s6, s13, 0
	s_mov_b32 s7, exec_lo
	s_waitcnt lgkmcnt(0)
	v_cmpx_gt_u32_e64 s10, v0
	s_cbranch_execz .LBB95_3
; %bb.1:
	s_add_u32 s20, s0, s8
	s_addc_u32 s21, s6, s9
	s_sub_u32 s0, 0, s8
	s_subb_u32 s7, 0, s9
	s_add_u32 s6, s20, s0
	s_addc_u32 s7, s21, s7
	s_clause 0x3
	s_load_dwordx2 s[12:13], s[4:5], 0xac8
	s_load_dword s0, s[6:7], 0x400
	s_load_dword s6, s[6:7], 0x600
	s_load_dwordx4 s[16:19], s[4:5], 0xaac
	s_waitcnt lgkmcnt(0)
	s_mul_i32 s0, s0, s13
	s_mul_i32 s6, s6, s13
	s_lshl_b64 s[22:23], s[0:1], 4
	s_cmp_eq_u32 s12, 3
	s_load_dword s0, s[2:3], 0x0
	s_cselect_b32 s8, s6, s18
	s_cmp_eq_u32 s12, 2
	v_cvt_f32_u32_e32 v1, s8
	s_cselect_b32 s9, s6, s17
	s_cmp_eq_u32 s12, 1
	v_cvt_f32_u32_e32 v2, s9
	s_cselect_b32 s11, s6, s16
	s_load_dwordx2 s[18:19], s[4:5], 0x0
	v_cvt_f32_u32_e32 v3, s11
	v_rcp_iflag_f32_e32 v1, v1
	v_rcp_iflag_f32_e32 v2, v2
	s_load_dwordx4 s[4:7], s[4:5], 0xab8
	v_rcp_iflag_f32_e32 v3, v3
	v_mul_f32_e32 v1, 0x4f7ffffe, v1
	v_mul_f32_e32 v2, 0x4f7ffffe, v2
	s_waitcnt lgkmcnt(0)
	s_mul_i32 s15, s0, s15
	v_mul_f32_e32 v3, 0x4f7ffffe, v3
	v_cvt_u32_f32_e32 v1, v1
	v_cvt_u32_f32_e32 v4, v2
	s_add_u32 s12, s18, s22
	v_cvt_u32_f32_e32 v5, v3
	s_addc_u32 s13, s19, s23
	s_sub_i32 s14, 0, s8
	s_sub_i32 s2, 0, s9
	;; [unrolled: 1-line block ×3, first 2 shown]
	v_mul_lo_u32 v2, s14, v1
	v_mul_lo_u32 v3, s2, v4
	;; [unrolled: 1-line block ×3, first 2 shown]
	s_load_dwordx2 s[2:3], s[20:21], 0x0
	v_mul_hi_u32 v2, v1, v2
	v_mul_hi_u32 v3, v4, v3
	v_mul_hi_u32 v6, v5, v6
	v_add_nc_u32_e32 v2, v1, v2
	v_mov_b32_e32 v1, 0
	v_add_nc_u32_e32 v3, v4, v3
	v_add_nc_u32_e32 v4, v5, v6
.LBB95_2:                               ; =>This Inner Loop Header: Depth=1
	v_lshlrev_b64 v[5:6], 4, v[0:1]
	v_mul_hi_u32 v11, v2, v0
	s_waitcnt lgkmcnt(0)
	v_add_co_u32 v5, vcc_lo, s2, v5
	v_add_co_ci_u32_e64 v6, null, s3, v6, vcc_lo
	v_mul_lo_u32 v12, s8, v11
	v_not_b32_e32 v9, v11
	v_add_nc_u32_e32 v13, 1, v11
	global_load_dwordx4 v[5:8], v[5:6], off
	v_mad_u64_u32 v[9:10], null, s8, v9, v[0:1]
	v_sub_nc_u32_e32 v10, v0, v12
	v_cmp_le_u32_e32 vcc_lo, s8, v10
	v_cndmask_b32_e32 v11, v11, v13, vcc_lo
	v_cndmask_b32_e32 v9, v10, v9, vcc_lo
	v_add_nc_u32_e32 v10, 1, v11
	v_cmp_le_u32_e32 vcc_lo, s8, v9
	v_cndmask_b32_e32 v11, v11, v10, vcc_lo
	v_mul_hi_u32 v12, v11, v3
	v_mad_u64_u32 v[9:10], null, s14, v11, v[0:1]
	v_add_nc_u32_e32 v0, s15, v0
	v_mul_lo_u32 v10, v12, s9
	v_add_nc_u32_e32 v13, 1, v12
	v_mul_lo_u32 v9, v9, s7
	v_sub_nc_u32_e32 v10, v11, v10
	v_subrev_nc_u32_e32 v14, s9, v10
	v_cmp_le_u32_e32 vcc_lo, s9, v10
	v_cndmask_b32_e32 v12, v12, v13, vcc_lo
	v_cndmask_b32_e32 v10, v10, v14, vcc_lo
	v_add_nc_u32_e32 v13, 1, v12
	v_cmp_le_u32_e32 vcc_lo, s9, v10
	v_cndmask_b32_e32 v10, v12, v13, vcc_lo
	v_mul_hi_u32 v12, v10, v4
	v_mul_lo_u32 v13, v12, s11
	v_add_nc_u32_e32 v14, 1, v12
	v_sub_nc_u32_e32 v13, v10, v13
	v_subrev_nc_u32_e32 v15, s11, v13
	v_cmp_le_u32_e32 vcc_lo, s11, v13
	v_cndmask_b32_e32 v12, v12, v14, vcc_lo
	v_cndmask_b32_e32 v13, v13, v15, vcc_lo
	v_add_nc_u32_e32 v14, 1, v12
	v_cmp_le_u32_e32 vcc_lo, s11, v13
	v_mul_lo_u32 v13, v10, s9
	v_cndmask_b32_e32 v12, v12, v14, vcc_lo
	v_cmp_le_u32_e32 vcc_lo, s10, v0
	v_sub_nc_u32_e32 v11, v11, v13
	v_mul_lo_u32 v14, v12, s11
	s_or_b32 s1, vcc_lo, s1
	v_mul_lo_u32 v11, v11, s6
	v_sub_nc_u32_e32 v13, v10, v14
	v_mad_u64_u32 v[9:10], null, v12, s4, v[9:10]
	v_mov_b32_e32 v10, v1
	v_mul_lo_u32 v12, v13, s5
	v_add3_u32 v9, v9, v11, v12
	v_lshlrev_b64 v[9:10], 4, v[9:10]
	v_add_co_u32 v9, s0, s12, v9
	v_add_co_ci_u32_e64 v10, null, s13, v10, s0
	s_waitcnt vmcnt(0)
	global_store_dwordx4 v[9:10], v[5:8], off
	s_andn2_b32 exec_lo, exec_lo, s1
	s_cbranch_execnz .LBB95_2
.LBB95_3:
	s_endpgm
	.section	.rodata,"a",@progbits
	.p2align	6, 0x0
	.amdhsa_kernel _ZN2at6native12_GLOBAL__N_130CatArrayBatchedCopy_vectorizedINS1_10OpaqueTypeILj16EEEjLi4ELi128ELi1ELi16ELi1EEEvPcNS1_25CatArrInputTensorMetadataIT_T0_XT2_EXT3_EEENS1_16TensorSizeStrideIS8_Lj4EEEiS8_
		.amdhsa_group_segment_fixed_size 0
		.amdhsa_private_segment_fixed_size 0
		.amdhsa_kernarg_size 3024
		.amdhsa_user_sgpr_count 6
		.amdhsa_user_sgpr_private_segment_buffer 1
		.amdhsa_user_sgpr_dispatch_ptr 0
		.amdhsa_user_sgpr_queue_ptr 0
		.amdhsa_user_sgpr_kernarg_segment_ptr 1
		.amdhsa_user_sgpr_dispatch_id 0
		.amdhsa_user_sgpr_flat_scratch_init 0
		.amdhsa_user_sgpr_private_segment_size 0
		.amdhsa_wavefront_size32 1
		.amdhsa_uses_dynamic_stack 0
		.amdhsa_system_sgpr_private_segment_wavefront_offset 0
		.amdhsa_system_sgpr_workgroup_id_x 1
		.amdhsa_system_sgpr_workgroup_id_y 1
		.amdhsa_system_sgpr_workgroup_id_z 0
		.amdhsa_system_sgpr_workgroup_info 0
		.amdhsa_system_vgpr_workitem_id 0
		.amdhsa_next_free_vgpr 16
		.amdhsa_next_free_sgpr 24
		.amdhsa_reserve_vcc 1
		.amdhsa_reserve_flat_scratch 0
		.amdhsa_float_round_mode_32 0
		.amdhsa_float_round_mode_16_64 0
		.amdhsa_float_denorm_mode_32 3
		.amdhsa_float_denorm_mode_16_64 3
		.amdhsa_dx10_clamp 1
		.amdhsa_ieee_mode 1
		.amdhsa_fp16_overflow 0
		.amdhsa_workgroup_processor_mode 1
		.amdhsa_memory_ordered 1
		.amdhsa_forward_progress 1
		.amdhsa_shared_vgpr_count 0
		.amdhsa_exception_fp_ieee_invalid_op 0
		.amdhsa_exception_fp_denorm_src 0
		.amdhsa_exception_fp_ieee_div_zero 0
		.amdhsa_exception_fp_ieee_overflow 0
		.amdhsa_exception_fp_ieee_underflow 0
		.amdhsa_exception_fp_ieee_inexact 0
		.amdhsa_exception_int_div_zero 0
	.end_amdhsa_kernel
	.section	.text._ZN2at6native12_GLOBAL__N_130CatArrayBatchedCopy_vectorizedINS1_10OpaqueTypeILj16EEEjLi4ELi128ELi1ELi16ELi1EEEvPcNS1_25CatArrInputTensorMetadataIT_T0_XT2_EXT3_EEENS1_16TensorSizeStrideIS8_Lj4EEEiS8_,"axG",@progbits,_ZN2at6native12_GLOBAL__N_130CatArrayBatchedCopy_vectorizedINS1_10OpaqueTypeILj16EEEjLi4ELi128ELi1ELi16ELi1EEEvPcNS1_25CatArrInputTensorMetadataIT_T0_XT2_EXT3_EEENS1_16TensorSizeStrideIS8_Lj4EEEiS8_,comdat
.Lfunc_end95:
	.size	_ZN2at6native12_GLOBAL__N_130CatArrayBatchedCopy_vectorizedINS1_10OpaqueTypeILj16EEEjLi4ELi128ELi1ELi16ELi1EEEvPcNS1_25CatArrInputTensorMetadataIT_T0_XT2_EXT3_EEENS1_16TensorSizeStrideIS8_Lj4EEEiS8_, .Lfunc_end95-_ZN2at6native12_GLOBAL__N_130CatArrayBatchedCopy_vectorizedINS1_10OpaqueTypeILj16EEEjLi4ELi128ELi1ELi16ELi1EEEvPcNS1_25CatArrInputTensorMetadataIT_T0_XT2_EXT3_EEENS1_16TensorSizeStrideIS8_Lj4EEEiS8_
                                        ; -- End function
	.set _ZN2at6native12_GLOBAL__N_130CatArrayBatchedCopy_vectorizedINS1_10OpaqueTypeILj16EEEjLi4ELi128ELi1ELi16ELi1EEEvPcNS1_25CatArrInputTensorMetadataIT_T0_XT2_EXT3_EEENS1_16TensorSizeStrideIS8_Lj4EEEiS8_.num_vgpr, 16
	.set _ZN2at6native12_GLOBAL__N_130CatArrayBatchedCopy_vectorizedINS1_10OpaqueTypeILj16EEEjLi4ELi128ELi1ELi16ELi1EEEvPcNS1_25CatArrInputTensorMetadataIT_T0_XT2_EXT3_EEENS1_16TensorSizeStrideIS8_Lj4EEEiS8_.num_agpr, 0
	.set _ZN2at6native12_GLOBAL__N_130CatArrayBatchedCopy_vectorizedINS1_10OpaqueTypeILj16EEEjLi4ELi128ELi1ELi16ELi1EEEvPcNS1_25CatArrInputTensorMetadataIT_T0_XT2_EXT3_EEENS1_16TensorSizeStrideIS8_Lj4EEEiS8_.numbered_sgpr, 24
	.set _ZN2at6native12_GLOBAL__N_130CatArrayBatchedCopy_vectorizedINS1_10OpaqueTypeILj16EEEjLi4ELi128ELi1ELi16ELi1EEEvPcNS1_25CatArrInputTensorMetadataIT_T0_XT2_EXT3_EEENS1_16TensorSizeStrideIS8_Lj4EEEiS8_.num_named_barrier, 0
	.set _ZN2at6native12_GLOBAL__N_130CatArrayBatchedCopy_vectorizedINS1_10OpaqueTypeILj16EEEjLi4ELi128ELi1ELi16ELi1EEEvPcNS1_25CatArrInputTensorMetadataIT_T0_XT2_EXT3_EEENS1_16TensorSizeStrideIS8_Lj4EEEiS8_.private_seg_size, 0
	.set _ZN2at6native12_GLOBAL__N_130CatArrayBatchedCopy_vectorizedINS1_10OpaqueTypeILj16EEEjLi4ELi128ELi1ELi16ELi1EEEvPcNS1_25CatArrInputTensorMetadataIT_T0_XT2_EXT3_EEENS1_16TensorSizeStrideIS8_Lj4EEEiS8_.uses_vcc, 1
	.set _ZN2at6native12_GLOBAL__N_130CatArrayBatchedCopy_vectorizedINS1_10OpaqueTypeILj16EEEjLi4ELi128ELi1ELi16ELi1EEEvPcNS1_25CatArrInputTensorMetadataIT_T0_XT2_EXT3_EEENS1_16TensorSizeStrideIS8_Lj4EEEiS8_.uses_flat_scratch, 0
	.set _ZN2at6native12_GLOBAL__N_130CatArrayBatchedCopy_vectorizedINS1_10OpaqueTypeILj16EEEjLi4ELi128ELi1ELi16ELi1EEEvPcNS1_25CatArrInputTensorMetadataIT_T0_XT2_EXT3_EEENS1_16TensorSizeStrideIS8_Lj4EEEiS8_.has_dyn_sized_stack, 0
	.set _ZN2at6native12_GLOBAL__N_130CatArrayBatchedCopy_vectorizedINS1_10OpaqueTypeILj16EEEjLi4ELi128ELi1ELi16ELi1EEEvPcNS1_25CatArrInputTensorMetadataIT_T0_XT2_EXT3_EEENS1_16TensorSizeStrideIS8_Lj4EEEiS8_.has_recursion, 0
	.set _ZN2at6native12_GLOBAL__N_130CatArrayBatchedCopy_vectorizedINS1_10OpaqueTypeILj16EEEjLi4ELi128ELi1ELi16ELi1EEEvPcNS1_25CatArrInputTensorMetadataIT_T0_XT2_EXT3_EEENS1_16TensorSizeStrideIS8_Lj4EEEiS8_.has_indirect_call, 0
	.section	.AMDGPU.csdata,"",@progbits
; Kernel info:
; codeLenInByte = 716
; TotalNumSgprs: 26
; NumVgprs: 16
; ScratchSize: 0
; MemoryBound: 0
; FloatMode: 240
; IeeeMode: 1
; LDSByteSize: 0 bytes/workgroup (compile time only)
; SGPRBlocks: 0
; VGPRBlocks: 1
; NumSGPRsForWavesPerEU: 26
; NumVGPRsForWavesPerEU: 16
; Occupancy: 16
; WaveLimiterHint : 1
; COMPUTE_PGM_RSRC2:SCRATCH_EN: 0
; COMPUTE_PGM_RSRC2:USER_SGPR: 6
; COMPUTE_PGM_RSRC2:TRAP_HANDLER: 0
; COMPUTE_PGM_RSRC2:TGID_X_EN: 1
; COMPUTE_PGM_RSRC2:TGID_Y_EN: 1
; COMPUTE_PGM_RSRC2:TGID_Z_EN: 0
; COMPUTE_PGM_RSRC2:TIDIG_COMP_CNT: 0
	.section	.text._ZN2at6native12_GLOBAL__N_135CatArrayBatchedCopy_alignedK_contigINS1_10OpaqueTypeILj16EEEjLi4ELi128ELi1ELi16EEEvPT_NS1_25CatArrInputTensorMetadataIS5_T0_XT2_EXT3_EEENS1_16TensorSizeStrideIS8_Lj4EEEiS8_,"axG",@progbits,_ZN2at6native12_GLOBAL__N_135CatArrayBatchedCopy_alignedK_contigINS1_10OpaqueTypeILj16EEEjLi4ELi128ELi1ELi16EEEvPT_NS1_25CatArrInputTensorMetadataIS5_T0_XT2_EXT3_EEENS1_16TensorSizeStrideIS8_Lj4EEEiS8_,comdat
	.globl	_ZN2at6native12_GLOBAL__N_135CatArrayBatchedCopy_alignedK_contigINS1_10OpaqueTypeILj16EEEjLi4ELi128ELi1ELi16EEEvPT_NS1_25CatArrInputTensorMetadataIS5_T0_XT2_EXT3_EEENS1_16TensorSizeStrideIS8_Lj4EEEiS8_ ; -- Begin function _ZN2at6native12_GLOBAL__N_135CatArrayBatchedCopy_alignedK_contigINS1_10OpaqueTypeILj16EEEjLi4ELi128ELi1ELi16EEEvPT_NS1_25CatArrInputTensorMetadataIS5_T0_XT2_EXT3_EEENS1_16TensorSizeStrideIS8_Lj4EEEiS8_
	.p2align	8
	.type	_ZN2at6native12_GLOBAL__N_135CatArrayBatchedCopy_alignedK_contigINS1_10OpaqueTypeILj16EEEjLi4ELi128ELi1ELi16EEEvPT_NS1_25CatArrInputTensorMetadataIS5_T0_XT2_EXT3_EEENS1_16TensorSizeStrideIS8_Lj4EEEiS8_,@function
_ZN2at6native12_GLOBAL__N_135CatArrayBatchedCopy_alignedK_contigINS1_10OpaqueTypeILj16EEEjLi4ELi128ELi1ELi16EEEvPT_NS1_25CatArrInputTensorMetadataIS5_T0_XT2_EXT3_EEENS1_16TensorSizeStrideIS8_Lj4EEEiS8_: ; @_ZN2at6native12_GLOBAL__N_135CatArrayBatchedCopy_alignedK_contigINS1_10OpaqueTypeILj16EEEjLi4ELi128ELi1ELi16EEEvPT_NS1_25CatArrInputTensorMetadataIS5_T0_XT2_EXT3_EEENS1_16TensorSizeStrideIS8_Lj4EEEiS8_
; %bb.0:
	s_mov_b32 s0, s7
	s_load_dword s7, s[4:5], 0xadc
	s_mov_b32 s1, 0
	s_add_u32 s2, s4, 0xad0
	s_addc_u32 s3, s5, 0
	s_lshl_b64 s[16:17], s[0:1], 2
	s_waitcnt lgkmcnt(0)
	s_and_b32 s0, s7, 0xffff
	s_add_u32 s8, s4, s16
	s_addc_u32 s9, s5, s17
	v_mad_u64_u32 v[0:1], null, s6, s0, v[0:1]
	s_load_dword s18, s[8:9], 0x808
	s_add_u32 s6, s8, 8
	s_addc_u32 s7, s9, 0
	s_mov_b32 s8, exec_lo
	s_waitcnt lgkmcnt(0)
	v_cmpx_gt_u32_e64 s18, v0
	s_cbranch_execz .LBB96_6
; %bb.1:
	s_add_u32 s6, s6, s16
	s_addc_u32 s7, s7, s17
	s_sub_u32 s16, 0, s16
	s_subb_u32 s17, 0, s17
	s_add_u32 s16, s6, s16
	s_load_dwordx8 s[8:15], s[4:5], 0xaac
	s_addc_u32 s17, s7, s17
	s_load_dword s19, s[16:17], 0x600
	s_waitcnt lgkmcnt(0)
	s_cmp_eq_u32 s15, 3
	s_cselect_b32 s10, s19, s10
	s_cmp_eq_u32 s15, 2
	v_cvt_f32_u32_e32 v1, s10
	s_cselect_b32 s9, s19, s9
	s_cmp_eq_u32 s15, 1
	v_cvt_f32_u32_e32 v2, s9
	s_cselect_b32 s8, s19, s8
	v_rcp_iflag_f32_e32 v1, v1
	v_cvt_f32_u32_e32 v3, s8
	s_load_dword s19, s[2:3], 0x0
	v_rcp_iflag_f32_e32 v2, v2
	s_sub_i32 s15, 0, s10
	s_sub_i32 s2, 0, s9
	v_rcp_iflag_f32_e32 v3, v3
	s_sub_i32 s3, 0, s8
	v_mul_f32_e32 v1, 0x4f7ffffe, v1
	v_mul_f32_e32 v2, 0x4f7ffffe, v2
	v_cvt_u32_f32_e32 v1, v1
	v_mul_f32_e32 v3, 0x4f7ffffe, v3
	v_cvt_u32_f32_e32 v4, v2
	v_mul_lo_u32 v2, s15, v1
	v_cvt_u32_f32_e32 v3, v3
	v_mul_lo_u32 v5, s2, v4
	v_mul_lo_u32 v6, s3, v3
	s_clause 0x3
	s_load_dword s16, s[16:17], 0x400
	s_load_dword s17, s[4:5], 0xacc
	s_load_dwordx2 s[6:7], s[6:7], 0x0
	s_load_dwordx2 s[2:3], s[4:5], 0x0
	v_mul_hi_u32 v7, v1, v2
	v_mov_b32_e32 v2, 0
	s_waitcnt lgkmcnt(0)
	s_mul_i32 s5, s19, s0
	v_mul_hi_u32 v5, v4, v5
	v_mul_hi_u32 v6, v3, v6
	v_add_nc_u32_e32 v7, v1, v7
	v_add_nc_u32_e32 v8, v4, v5
	v_add_nc_u32_e32 v9, v3, v6
	v_add_nc_u32_e32 v3, 1, v0
	s_mul_i32 s4, s16, s17
.LBB96_2:                               ; =>This Inner Loop Header: Depth=1
	v_add_nc_u32_e32 v1, -1, v3
	v_add_nc_u32_e32 v3, s5, v3
	v_lshlrev_b64 v[4:5], 4, v[1:2]
	v_mul_hi_u32 v6, v1, v7
	v_add_co_u32 v4, vcc_lo, s6, v4
	v_add_co_ci_u32_e64 v5, null, s7, v5, vcc_lo
	global_load_dwordx4 v[10:13], v[4:5], off
	v_mul_hi_u32 v4, v7, v0
	v_mul_lo_u32 v14, s10, v4
	v_not_b32_e32 v4, v4
	v_mad_u64_u32 v[4:5], null, s10, v4, v[0:1]
	v_sub_nc_u32_e32 v14, v0, v14
	v_add_nc_u32_e32 v5, 1, v6
	v_add_nc_u32_e32 v0, s5, v0
	v_cmp_le_u32_e32 vcc_lo, s10, v14
	v_cndmask_b32_e32 v5, v6, v5, vcc_lo
	v_cndmask_b32_e32 v4, v14, v4, vcc_lo
	v_add_nc_u32_e32 v6, 1, v5
	v_cmp_le_u32_e32 vcc_lo, s10, v4
	v_cndmask_b32_e32 v6, v5, v6, vcc_lo
	v_mul_hi_u32 v4, v6, v8
	v_mul_lo_u32 v5, v4, s9
	v_add_nc_u32_e32 v14, 1, v4
	v_sub_nc_u32_e32 v5, v6, v5
	v_subrev_nc_u32_e32 v15, s9, v5
	v_cmp_le_u32_e32 vcc_lo, s9, v5
	v_cndmask_b32_e32 v4, v4, v14, vcc_lo
	v_cndmask_b32_e32 v5, v5, v15, vcc_lo
	v_add_nc_u32_e32 v14, 1, v4
	v_cmp_le_u32_e32 vcc_lo, s9, v5
	v_cndmask_b32_e32 v14, v4, v14, vcc_lo
	v_mul_hi_u32 v4, v14, v9
	v_mul_lo_u32 v15, v14, s9
	v_mul_lo_u32 v5, v4, s8
	v_add_nc_u32_e32 v16, 1, v4
	v_sub_nc_u32_e32 v5, v14, v5
	v_subrev_nc_u32_e32 v17, s8, v5
	v_cmp_le_u32_e32 vcc_lo, s8, v5
	v_cndmask_b32_e32 v4, v4, v16, vcc_lo
	v_cndmask_b32_e32 v5, v5, v17, vcc_lo
	v_add_nc_u32_e32 v16, 1, v4
	v_cmp_le_u32_e32 vcc_lo, s8, v5
	v_cndmask_b32_e32 v16, v4, v16, vcc_lo
	v_mad_u64_u32 v[4:5], null, s15, v6, v[1:2]
	v_sub_nc_u32_e32 v5, v6, v15
	v_cmp_lt_u32_e32 vcc_lo, s18, v3
	v_mul_lo_u32 v6, v16, s11
	v_mul_lo_u32 v5, v5, s13
	;; [unrolled: 1-line block ×4, first 2 shown]
	s_or_b32 s1, vcc_lo, s1
	v_add3_u32 v1, v6, v1, v5
	v_sub_nc_u32_e32 v4, v14, v4
	v_mul_lo_u32 v4, v4, s12
	v_add3_u32 v1, v1, v4, s4
	v_lshlrev_b64 v[4:5], 4, v[1:2]
	v_add_co_u32 v4, s0, s2, v4
	v_add_co_ci_u32_e64 v5, null, s3, v5, s0
	s_waitcnt vmcnt(0)
	global_store_dwordx4 v[4:5], v[10:13], off
	s_andn2_b32 exec_lo, exec_lo, s1
	s_cbranch_execnz .LBB96_2
; %bb.3:
	s_or_b32 exec_lo, exec_lo, s1
	v_add_nc_u32_e32 v0, -1, v3
	v_cmp_gt_u32_e32 vcc_lo, s18, v0
	s_and_b32 exec_lo, exec_lo, vcc_lo
	s_cbranch_execz .LBB96_6
; %bb.4:
	v_mov_b32_e32 v2, 0
	v_mad_u64_u32 v[3:4], null, v7, v0, 0
	s_mov_b32 s5, 0
	v_mov_b32_e32 v1, v2
	v_lshlrev_b64 v[5:6], 4, v[0:1]
	v_add_co_u32 v5, vcc_lo, s6, v5
	v_add_co_ci_u32_e64 v6, null, s7, v6, vcc_lo
.LBB96_5:                               ; =>This Inner Loop Header: Depth=1
	global_load_dwordx4 v[10:13], v[5:6], off
	v_mul_lo_u32 v1, s10, v4
	v_not_b32_e32 v14, v4
	v_add_nc_u32_e32 v16, 1, v4
	v_mad_u64_u32 v[14:15], null, s10, v14, v[0:1]
	v_sub_nc_u32_e32 v1, v0, v1
	v_cmp_le_u32_e32 vcc_lo, s10, v1
	v_cndmask_b32_e32 v15, v4, v16, vcc_lo
	v_cndmask_b32_e32 v1, v1, v14, vcc_lo
	v_add_nc_u32_e32 v14, 1, v15
	v_cmp_le_u32_e32 vcc_lo, s10, v1
	v_cndmask_b32_e32 v1, v15, v14, vcc_lo
	v_mul_hi_u32 v14, v1, v8
	v_mul_lo_u32 v15, v14, s9
	v_add_nc_u32_e32 v16, 1, v14
	v_sub_nc_u32_e32 v15, v1, v15
	v_subrev_nc_u32_e32 v17, s9, v15
	v_cmp_le_u32_e32 vcc_lo, s9, v15
	v_cndmask_b32_e32 v14, v14, v16, vcc_lo
	v_cndmask_b32_e32 v15, v15, v17, vcc_lo
	v_add_nc_u32_e32 v16, 1, v14
	v_cmp_le_u32_e32 vcc_lo, s9, v15
	v_cndmask_b32_e32 v16, v14, v16, vcc_lo
	v_mad_u64_u32 v[14:15], null, s15, v1, v[0:1]
	v_add_nc_u32_e32 v0, 1, v0
	v_add_co_u32 v3, vcc_lo, v3, v7
	v_mul_hi_u32 v17, v16, v9
	v_add_co_ci_u32_e64 v4, null, 0, v4, vcc_lo
	v_mul_lo_u32 v14, v14, s14
	v_mul_lo_u32 v18, v17, s8
	v_add_nc_u32_e32 v15, 1, v17
	v_sub_nc_u32_e32 v18, v16, v18
	v_subrev_nc_u32_e32 v19, s8, v18
	v_cmp_le_u32_e64 s0, s8, v18
	v_cndmask_b32_e64 v15, v17, v15, s0
	v_cndmask_b32_e64 v17, v18, v19, s0
	v_add_nc_u32_e32 v18, 1, v15
	v_cmp_le_u32_e64 s0, s8, v17
	v_mul_lo_u32 v17, v16, s9
	v_cndmask_b32_e64 v15, v15, v18, s0
	v_add_co_u32 v5, s0, v5, 16
	v_add_co_ci_u32_e64 v6, null, 0, v6, s0
	v_mul_lo_u32 v18, v15, s8
	v_sub_nc_u32_e32 v1, v1, v17
	v_mul_lo_u32 v15, v15, s11
	v_cmp_le_u32_e64 s0, s18, v0
	v_mul_lo_u32 v1, v1, s13
	v_sub_nc_u32_e32 v16, v16, v18
	s_or_b32 s5, s0, s5
	v_add3_u32 v14, v14, s4, v15
	v_mul_lo_u32 v16, v16, s12
	v_add3_u32 v1, v14, v1, v16
	v_lshlrev_b64 v[14:15], 4, v[1:2]
	v_add_co_u32 v14, s1, s2, v14
	v_add_co_ci_u32_e64 v15, null, s3, v15, s1
	s_waitcnt vmcnt(0)
	global_store_dwordx4 v[14:15], v[10:13], off
	s_andn2_b32 exec_lo, exec_lo, s5
	s_cbranch_execnz .LBB96_5
.LBB96_6:
	s_endpgm
	.section	.rodata,"a",@progbits
	.p2align	6, 0x0
	.amdhsa_kernel _ZN2at6native12_GLOBAL__N_135CatArrayBatchedCopy_alignedK_contigINS1_10OpaqueTypeILj16EEEjLi4ELi128ELi1ELi16EEEvPT_NS1_25CatArrInputTensorMetadataIS5_T0_XT2_EXT3_EEENS1_16TensorSizeStrideIS8_Lj4EEEiS8_
		.amdhsa_group_segment_fixed_size 0
		.amdhsa_private_segment_fixed_size 0
		.amdhsa_kernarg_size 3024
		.amdhsa_user_sgpr_count 6
		.amdhsa_user_sgpr_private_segment_buffer 1
		.amdhsa_user_sgpr_dispatch_ptr 0
		.amdhsa_user_sgpr_queue_ptr 0
		.amdhsa_user_sgpr_kernarg_segment_ptr 1
		.amdhsa_user_sgpr_dispatch_id 0
		.amdhsa_user_sgpr_flat_scratch_init 0
		.amdhsa_user_sgpr_private_segment_size 0
		.amdhsa_wavefront_size32 1
		.amdhsa_uses_dynamic_stack 0
		.amdhsa_system_sgpr_private_segment_wavefront_offset 0
		.amdhsa_system_sgpr_workgroup_id_x 1
		.amdhsa_system_sgpr_workgroup_id_y 1
		.amdhsa_system_sgpr_workgroup_id_z 0
		.amdhsa_system_sgpr_workgroup_info 0
		.amdhsa_system_vgpr_workitem_id 0
		.amdhsa_next_free_vgpr 20
		.amdhsa_next_free_sgpr 20
		.amdhsa_reserve_vcc 1
		.amdhsa_reserve_flat_scratch 0
		.amdhsa_float_round_mode_32 0
		.amdhsa_float_round_mode_16_64 0
		.amdhsa_float_denorm_mode_32 3
		.amdhsa_float_denorm_mode_16_64 3
		.amdhsa_dx10_clamp 1
		.amdhsa_ieee_mode 1
		.amdhsa_fp16_overflow 0
		.amdhsa_workgroup_processor_mode 1
		.amdhsa_memory_ordered 1
		.amdhsa_forward_progress 1
		.amdhsa_shared_vgpr_count 0
		.amdhsa_exception_fp_ieee_invalid_op 0
		.amdhsa_exception_fp_denorm_src 0
		.amdhsa_exception_fp_ieee_div_zero 0
		.amdhsa_exception_fp_ieee_overflow 0
		.amdhsa_exception_fp_ieee_underflow 0
		.amdhsa_exception_fp_ieee_inexact 0
		.amdhsa_exception_int_div_zero 0
	.end_amdhsa_kernel
	.section	.text._ZN2at6native12_GLOBAL__N_135CatArrayBatchedCopy_alignedK_contigINS1_10OpaqueTypeILj16EEEjLi4ELi128ELi1ELi16EEEvPT_NS1_25CatArrInputTensorMetadataIS5_T0_XT2_EXT3_EEENS1_16TensorSizeStrideIS8_Lj4EEEiS8_,"axG",@progbits,_ZN2at6native12_GLOBAL__N_135CatArrayBatchedCopy_alignedK_contigINS1_10OpaqueTypeILj16EEEjLi4ELi128ELi1ELi16EEEvPT_NS1_25CatArrInputTensorMetadataIS5_T0_XT2_EXT3_EEENS1_16TensorSizeStrideIS8_Lj4EEEiS8_,comdat
.Lfunc_end96:
	.size	_ZN2at6native12_GLOBAL__N_135CatArrayBatchedCopy_alignedK_contigINS1_10OpaqueTypeILj16EEEjLi4ELi128ELi1ELi16EEEvPT_NS1_25CatArrInputTensorMetadataIS5_T0_XT2_EXT3_EEENS1_16TensorSizeStrideIS8_Lj4EEEiS8_, .Lfunc_end96-_ZN2at6native12_GLOBAL__N_135CatArrayBatchedCopy_alignedK_contigINS1_10OpaqueTypeILj16EEEjLi4ELi128ELi1ELi16EEEvPT_NS1_25CatArrInputTensorMetadataIS5_T0_XT2_EXT3_EEENS1_16TensorSizeStrideIS8_Lj4EEEiS8_
                                        ; -- End function
	.set _ZN2at6native12_GLOBAL__N_135CatArrayBatchedCopy_alignedK_contigINS1_10OpaqueTypeILj16EEEjLi4ELi128ELi1ELi16EEEvPT_NS1_25CatArrInputTensorMetadataIS5_T0_XT2_EXT3_EEENS1_16TensorSizeStrideIS8_Lj4EEEiS8_.num_vgpr, 20
	.set _ZN2at6native12_GLOBAL__N_135CatArrayBatchedCopy_alignedK_contigINS1_10OpaqueTypeILj16EEEjLi4ELi128ELi1ELi16EEEvPT_NS1_25CatArrInputTensorMetadataIS5_T0_XT2_EXT3_EEENS1_16TensorSizeStrideIS8_Lj4EEEiS8_.num_agpr, 0
	.set _ZN2at6native12_GLOBAL__N_135CatArrayBatchedCopy_alignedK_contigINS1_10OpaqueTypeILj16EEEjLi4ELi128ELi1ELi16EEEvPT_NS1_25CatArrInputTensorMetadataIS5_T0_XT2_EXT3_EEENS1_16TensorSizeStrideIS8_Lj4EEEiS8_.numbered_sgpr, 20
	.set _ZN2at6native12_GLOBAL__N_135CatArrayBatchedCopy_alignedK_contigINS1_10OpaqueTypeILj16EEEjLi4ELi128ELi1ELi16EEEvPT_NS1_25CatArrInputTensorMetadataIS5_T0_XT2_EXT3_EEENS1_16TensorSizeStrideIS8_Lj4EEEiS8_.num_named_barrier, 0
	.set _ZN2at6native12_GLOBAL__N_135CatArrayBatchedCopy_alignedK_contigINS1_10OpaqueTypeILj16EEEjLi4ELi128ELi1ELi16EEEvPT_NS1_25CatArrInputTensorMetadataIS5_T0_XT2_EXT3_EEENS1_16TensorSizeStrideIS8_Lj4EEEiS8_.private_seg_size, 0
	.set _ZN2at6native12_GLOBAL__N_135CatArrayBatchedCopy_alignedK_contigINS1_10OpaqueTypeILj16EEEjLi4ELi128ELi1ELi16EEEvPT_NS1_25CatArrInputTensorMetadataIS5_T0_XT2_EXT3_EEENS1_16TensorSizeStrideIS8_Lj4EEEiS8_.uses_vcc, 1
	.set _ZN2at6native12_GLOBAL__N_135CatArrayBatchedCopy_alignedK_contigINS1_10OpaqueTypeILj16EEEjLi4ELi128ELi1ELi16EEEvPT_NS1_25CatArrInputTensorMetadataIS5_T0_XT2_EXT3_EEENS1_16TensorSizeStrideIS8_Lj4EEEiS8_.uses_flat_scratch, 0
	.set _ZN2at6native12_GLOBAL__N_135CatArrayBatchedCopy_alignedK_contigINS1_10OpaqueTypeILj16EEEjLi4ELi128ELi1ELi16EEEvPT_NS1_25CatArrInputTensorMetadataIS5_T0_XT2_EXT3_EEENS1_16TensorSizeStrideIS8_Lj4EEEiS8_.has_dyn_sized_stack, 0
	.set _ZN2at6native12_GLOBAL__N_135CatArrayBatchedCopy_alignedK_contigINS1_10OpaqueTypeILj16EEEjLi4ELi128ELi1ELi16EEEvPT_NS1_25CatArrInputTensorMetadataIS5_T0_XT2_EXT3_EEENS1_16TensorSizeStrideIS8_Lj4EEEiS8_.has_recursion, 0
	.set _ZN2at6native12_GLOBAL__N_135CatArrayBatchedCopy_alignedK_contigINS1_10OpaqueTypeILj16EEEjLi4ELi128ELi1ELi16EEEvPT_NS1_25CatArrInputTensorMetadataIS5_T0_XT2_EXT3_EEENS1_16TensorSizeStrideIS8_Lj4EEEiS8_.has_indirect_call, 0
	.section	.AMDGPU.csdata,"",@progbits
; Kernel info:
; codeLenInByte = 1132
; TotalNumSgprs: 22
; NumVgprs: 20
; ScratchSize: 0
; MemoryBound: 0
; FloatMode: 240
; IeeeMode: 1
; LDSByteSize: 0 bytes/workgroup (compile time only)
; SGPRBlocks: 0
; VGPRBlocks: 2
; NumSGPRsForWavesPerEU: 22
; NumVGPRsForWavesPerEU: 20
; Occupancy: 16
; WaveLimiterHint : 1
; COMPUTE_PGM_RSRC2:SCRATCH_EN: 0
; COMPUTE_PGM_RSRC2:USER_SGPR: 6
; COMPUTE_PGM_RSRC2:TRAP_HANDLER: 0
; COMPUTE_PGM_RSRC2:TGID_X_EN: 1
; COMPUTE_PGM_RSRC2:TGID_Y_EN: 1
; COMPUTE_PGM_RSRC2:TGID_Z_EN: 0
; COMPUTE_PGM_RSRC2:TIDIG_COMP_CNT: 0
	.section	.text._ZN2at6native12_GLOBAL__N_135CatArrayBatchedCopy_alignedK_contigINS1_10OpaqueTypeILj16EEEjLi4ELi128ELi1ELi8EEEvPT_NS1_25CatArrInputTensorMetadataIS5_T0_XT2_EXT3_EEENS1_16TensorSizeStrideIS8_Lj4EEEiS8_,"axG",@progbits,_ZN2at6native12_GLOBAL__N_135CatArrayBatchedCopy_alignedK_contigINS1_10OpaqueTypeILj16EEEjLi4ELi128ELi1ELi8EEEvPT_NS1_25CatArrInputTensorMetadataIS5_T0_XT2_EXT3_EEENS1_16TensorSizeStrideIS8_Lj4EEEiS8_,comdat
	.globl	_ZN2at6native12_GLOBAL__N_135CatArrayBatchedCopy_alignedK_contigINS1_10OpaqueTypeILj16EEEjLi4ELi128ELi1ELi8EEEvPT_NS1_25CatArrInputTensorMetadataIS5_T0_XT2_EXT3_EEENS1_16TensorSizeStrideIS8_Lj4EEEiS8_ ; -- Begin function _ZN2at6native12_GLOBAL__N_135CatArrayBatchedCopy_alignedK_contigINS1_10OpaqueTypeILj16EEEjLi4ELi128ELi1ELi8EEEvPT_NS1_25CatArrInputTensorMetadataIS5_T0_XT2_EXT3_EEENS1_16TensorSizeStrideIS8_Lj4EEEiS8_
	.p2align	8
	.type	_ZN2at6native12_GLOBAL__N_135CatArrayBatchedCopy_alignedK_contigINS1_10OpaqueTypeILj16EEEjLi4ELi128ELi1ELi8EEEvPT_NS1_25CatArrInputTensorMetadataIS5_T0_XT2_EXT3_EEENS1_16TensorSizeStrideIS8_Lj4EEEiS8_,@function
_ZN2at6native12_GLOBAL__N_135CatArrayBatchedCopy_alignedK_contigINS1_10OpaqueTypeILj16EEEjLi4ELi128ELi1ELi8EEEvPT_NS1_25CatArrInputTensorMetadataIS5_T0_XT2_EXT3_EEENS1_16TensorSizeStrideIS8_Lj4EEEiS8_: ; @_ZN2at6native12_GLOBAL__N_135CatArrayBatchedCopy_alignedK_contigINS1_10OpaqueTypeILj16EEEjLi4ELi128ELi1ELi8EEEvPT_NS1_25CatArrInputTensorMetadataIS5_T0_XT2_EXT3_EEENS1_16TensorSizeStrideIS8_Lj4EEEiS8_
; %bb.0:
	s_mov_b32 s0, s7
	s_load_dword s7, s[4:5], 0xadc
	s_mov_b32 s1, 0
	s_add_u32 s2, s4, 0xad0
	s_addc_u32 s3, s5, 0
	s_lshl_b64 s[16:17], s[0:1], 2
	s_waitcnt lgkmcnt(0)
	s_and_b32 s0, s7, 0xffff
	s_add_u32 s8, s4, s16
	s_addc_u32 s9, s5, s17
	v_mad_u64_u32 v[0:1], null, s6, s0, v[0:1]
	s_load_dword s18, s[8:9], 0x808
	s_add_u32 s6, s8, 8
	s_addc_u32 s7, s9, 0
	s_mov_b32 s8, exec_lo
	s_waitcnt lgkmcnt(0)
	v_cmpx_gt_u32_e64 s18, v0
	s_cbranch_execz .LBB97_6
; %bb.1:
	s_add_u32 s6, s6, s16
	s_addc_u32 s7, s7, s17
	s_sub_u32 s16, 0, s16
	s_subb_u32 s17, 0, s17
	s_add_u32 s16, s6, s16
	s_load_dwordx8 s[8:15], s[4:5], 0xaac
	s_addc_u32 s17, s7, s17
	s_load_dword s19, s[16:17], 0x600
	s_waitcnt lgkmcnt(0)
	s_cmp_eq_u32 s15, 3
	s_cselect_b32 s10, s19, s10
	s_cmp_eq_u32 s15, 2
	v_cvt_f32_u32_e32 v1, s10
	s_cselect_b32 s9, s19, s9
	s_cmp_eq_u32 s15, 1
	v_cvt_f32_u32_e32 v2, s9
	s_cselect_b32 s8, s19, s8
	v_rcp_iflag_f32_e32 v1, v1
	v_cvt_f32_u32_e32 v3, s8
	s_load_dword s19, s[2:3], 0x0
	v_rcp_iflag_f32_e32 v2, v2
	s_sub_i32 s15, 0, s10
	s_sub_i32 s2, 0, s9
	v_rcp_iflag_f32_e32 v3, v3
	s_sub_i32 s3, 0, s8
	v_mul_f32_e32 v1, 0x4f7ffffe, v1
	v_mul_f32_e32 v2, 0x4f7ffffe, v2
	v_cvt_u32_f32_e32 v1, v1
	v_mul_f32_e32 v3, 0x4f7ffffe, v3
	v_cvt_u32_f32_e32 v4, v2
	v_mul_lo_u32 v2, s15, v1
	v_cvt_u32_f32_e32 v3, v3
	v_mul_lo_u32 v5, s2, v4
	v_mul_lo_u32 v6, s3, v3
	s_clause 0x3
	s_load_dword s16, s[16:17], 0x400
	s_load_dword s17, s[4:5], 0xacc
	s_load_dwordx2 s[6:7], s[6:7], 0x0
	s_load_dwordx2 s[2:3], s[4:5], 0x0
	v_mul_hi_u32 v7, v1, v2
	v_mov_b32_e32 v2, 0
	s_waitcnt lgkmcnt(0)
	s_mul_i32 s5, s19, s0
	v_mul_hi_u32 v5, v4, v5
	v_mul_hi_u32 v6, v3, v6
	v_add_nc_u32_e32 v7, v1, v7
	v_add_nc_u32_e32 v8, v4, v5
	;; [unrolled: 1-line block ×4, first 2 shown]
	s_mul_i32 s4, s16, s17
.LBB97_2:                               ; =>This Inner Loop Header: Depth=1
	v_add_nc_u32_e32 v1, -1, v3
	v_add_nc_u32_e32 v3, s5, v3
	v_lshlrev_b64 v[4:5], 4, v[1:2]
	v_mul_hi_u32 v6, v1, v7
	v_add_co_u32 v4, vcc_lo, s6, v4
	v_add_co_ci_u32_e64 v5, null, s7, v5, vcc_lo
	global_load_dwordx4 v[10:13], v[4:5], off
	v_mul_hi_u32 v4, v7, v0
	v_mul_lo_u32 v14, s10, v4
	v_not_b32_e32 v4, v4
	v_mad_u64_u32 v[4:5], null, s10, v4, v[0:1]
	v_sub_nc_u32_e32 v14, v0, v14
	v_add_nc_u32_e32 v5, 1, v6
	v_add_nc_u32_e32 v0, s5, v0
	v_cmp_le_u32_e32 vcc_lo, s10, v14
	v_cndmask_b32_e32 v5, v6, v5, vcc_lo
	v_cndmask_b32_e32 v4, v14, v4, vcc_lo
	v_add_nc_u32_e32 v6, 1, v5
	v_cmp_le_u32_e32 vcc_lo, s10, v4
	v_cndmask_b32_e32 v6, v5, v6, vcc_lo
	v_mul_hi_u32 v4, v6, v8
	v_mul_lo_u32 v5, v4, s9
	v_add_nc_u32_e32 v14, 1, v4
	v_sub_nc_u32_e32 v5, v6, v5
	v_subrev_nc_u32_e32 v15, s9, v5
	v_cmp_le_u32_e32 vcc_lo, s9, v5
	v_cndmask_b32_e32 v4, v4, v14, vcc_lo
	v_cndmask_b32_e32 v5, v5, v15, vcc_lo
	v_add_nc_u32_e32 v14, 1, v4
	v_cmp_le_u32_e32 vcc_lo, s9, v5
	v_cndmask_b32_e32 v14, v4, v14, vcc_lo
	v_mul_hi_u32 v4, v14, v9
	v_mul_lo_u32 v15, v14, s9
	v_mul_lo_u32 v5, v4, s8
	v_add_nc_u32_e32 v16, 1, v4
	v_sub_nc_u32_e32 v5, v14, v5
	v_subrev_nc_u32_e32 v17, s8, v5
	v_cmp_le_u32_e32 vcc_lo, s8, v5
	v_cndmask_b32_e32 v4, v4, v16, vcc_lo
	v_cndmask_b32_e32 v5, v5, v17, vcc_lo
	v_add_nc_u32_e32 v16, 1, v4
	v_cmp_le_u32_e32 vcc_lo, s8, v5
	v_cndmask_b32_e32 v16, v4, v16, vcc_lo
	v_mad_u64_u32 v[4:5], null, s15, v6, v[1:2]
	v_sub_nc_u32_e32 v5, v6, v15
	v_cmp_lt_u32_e32 vcc_lo, s18, v3
	v_mul_lo_u32 v6, v16, s11
	v_mul_lo_u32 v5, v5, s13
	;; [unrolled: 1-line block ×4, first 2 shown]
	s_or_b32 s1, vcc_lo, s1
	v_add3_u32 v1, v6, v1, v5
	v_sub_nc_u32_e32 v4, v14, v4
	v_mul_lo_u32 v4, v4, s12
	v_add3_u32 v1, v1, v4, s4
	v_lshlrev_b64 v[4:5], 4, v[1:2]
	v_add_co_u32 v4, s0, s2, v4
	v_add_co_ci_u32_e64 v5, null, s3, v5, s0
	s_waitcnt vmcnt(0)
	global_store_dwordx4 v[4:5], v[10:13], off
	s_andn2_b32 exec_lo, exec_lo, s1
	s_cbranch_execnz .LBB97_2
; %bb.3:
	s_or_b32 exec_lo, exec_lo, s1
	v_add_nc_u32_e32 v0, -1, v3
	v_cmp_gt_u32_e32 vcc_lo, s18, v0
	s_and_b32 exec_lo, exec_lo, vcc_lo
	s_cbranch_execz .LBB97_6
; %bb.4:
	v_mov_b32_e32 v2, 0
	v_mad_u64_u32 v[3:4], null, v7, v0, 0
	s_mov_b32 s5, 0
	v_mov_b32_e32 v1, v2
	v_lshlrev_b64 v[5:6], 4, v[0:1]
	v_add_co_u32 v5, vcc_lo, s6, v5
	v_add_co_ci_u32_e64 v6, null, s7, v6, vcc_lo
.LBB97_5:                               ; =>This Inner Loop Header: Depth=1
	global_load_dwordx4 v[10:13], v[5:6], off
	v_mul_lo_u32 v1, s10, v4
	v_not_b32_e32 v14, v4
	v_add_nc_u32_e32 v16, 1, v4
	v_mad_u64_u32 v[14:15], null, s10, v14, v[0:1]
	v_sub_nc_u32_e32 v1, v0, v1
	v_cmp_le_u32_e32 vcc_lo, s10, v1
	v_cndmask_b32_e32 v15, v4, v16, vcc_lo
	v_cndmask_b32_e32 v1, v1, v14, vcc_lo
	v_add_nc_u32_e32 v14, 1, v15
	v_cmp_le_u32_e32 vcc_lo, s10, v1
	v_cndmask_b32_e32 v1, v15, v14, vcc_lo
	v_mul_hi_u32 v14, v1, v8
	v_mul_lo_u32 v15, v14, s9
	v_add_nc_u32_e32 v16, 1, v14
	v_sub_nc_u32_e32 v15, v1, v15
	v_subrev_nc_u32_e32 v17, s9, v15
	v_cmp_le_u32_e32 vcc_lo, s9, v15
	v_cndmask_b32_e32 v14, v14, v16, vcc_lo
	v_cndmask_b32_e32 v15, v15, v17, vcc_lo
	v_add_nc_u32_e32 v16, 1, v14
	v_cmp_le_u32_e32 vcc_lo, s9, v15
	v_cndmask_b32_e32 v16, v14, v16, vcc_lo
	v_mad_u64_u32 v[14:15], null, s15, v1, v[0:1]
	v_add_nc_u32_e32 v0, 1, v0
	v_add_co_u32 v3, vcc_lo, v3, v7
	v_mul_hi_u32 v17, v16, v9
	v_add_co_ci_u32_e64 v4, null, 0, v4, vcc_lo
	v_mul_lo_u32 v14, v14, s14
	v_mul_lo_u32 v18, v17, s8
	v_add_nc_u32_e32 v15, 1, v17
	v_sub_nc_u32_e32 v18, v16, v18
	v_subrev_nc_u32_e32 v19, s8, v18
	v_cmp_le_u32_e64 s0, s8, v18
	v_cndmask_b32_e64 v15, v17, v15, s0
	v_cndmask_b32_e64 v17, v18, v19, s0
	v_add_nc_u32_e32 v18, 1, v15
	v_cmp_le_u32_e64 s0, s8, v17
	v_mul_lo_u32 v17, v16, s9
	v_cndmask_b32_e64 v15, v15, v18, s0
	v_add_co_u32 v5, s0, v5, 16
	v_add_co_ci_u32_e64 v6, null, 0, v6, s0
	v_mul_lo_u32 v18, v15, s8
	v_sub_nc_u32_e32 v1, v1, v17
	v_mul_lo_u32 v15, v15, s11
	v_cmp_le_u32_e64 s0, s18, v0
	v_mul_lo_u32 v1, v1, s13
	v_sub_nc_u32_e32 v16, v16, v18
	s_or_b32 s5, s0, s5
	v_add3_u32 v14, v14, s4, v15
	v_mul_lo_u32 v16, v16, s12
	v_add3_u32 v1, v14, v1, v16
	v_lshlrev_b64 v[14:15], 4, v[1:2]
	v_add_co_u32 v14, s1, s2, v14
	v_add_co_ci_u32_e64 v15, null, s3, v15, s1
	s_waitcnt vmcnt(0)
	global_store_dwordx4 v[14:15], v[10:13], off
	s_andn2_b32 exec_lo, exec_lo, s5
	s_cbranch_execnz .LBB97_5
.LBB97_6:
	s_endpgm
	.section	.rodata,"a",@progbits
	.p2align	6, 0x0
	.amdhsa_kernel _ZN2at6native12_GLOBAL__N_135CatArrayBatchedCopy_alignedK_contigINS1_10OpaqueTypeILj16EEEjLi4ELi128ELi1ELi8EEEvPT_NS1_25CatArrInputTensorMetadataIS5_T0_XT2_EXT3_EEENS1_16TensorSizeStrideIS8_Lj4EEEiS8_
		.amdhsa_group_segment_fixed_size 0
		.amdhsa_private_segment_fixed_size 0
		.amdhsa_kernarg_size 3024
		.amdhsa_user_sgpr_count 6
		.amdhsa_user_sgpr_private_segment_buffer 1
		.amdhsa_user_sgpr_dispatch_ptr 0
		.amdhsa_user_sgpr_queue_ptr 0
		.amdhsa_user_sgpr_kernarg_segment_ptr 1
		.amdhsa_user_sgpr_dispatch_id 0
		.amdhsa_user_sgpr_flat_scratch_init 0
		.amdhsa_user_sgpr_private_segment_size 0
		.amdhsa_wavefront_size32 1
		.amdhsa_uses_dynamic_stack 0
		.amdhsa_system_sgpr_private_segment_wavefront_offset 0
		.amdhsa_system_sgpr_workgroup_id_x 1
		.amdhsa_system_sgpr_workgroup_id_y 1
		.amdhsa_system_sgpr_workgroup_id_z 0
		.amdhsa_system_sgpr_workgroup_info 0
		.amdhsa_system_vgpr_workitem_id 0
		.amdhsa_next_free_vgpr 20
		.amdhsa_next_free_sgpr 20
		.amdhsa_reserve_vcc 1
		.amdhsa_reserve_flat_scratch 0
		.amdhsa_float_round_mode_32 0
		.amdhsa_float_round_mode_16_64 0
		.amdhsa_float_denorm_mode_32 3
		.amdhsa_float_denorm_mode_16_64 3
		.amdhsa_dx10_clamp 1
		.amdhsa_ieee_mode 1
		.amdhsa_fp16_overflow 0
		.amdhsa_workgroup_processor_mode 1
		.amdhsa_memory_ordered 1
		.amdhsa_forward_progress 1
		.amdhsa_shared_vgpr_count 0
		.amdhsa_exception_fp_ieee_invalid_op 0
		.amdhsa_exception_fp_denorm_src 0
		.amdhsa_exception_fp_ieee_div_zero 0
		.amdhsa_exception_fp_ieee_overflow 0
		.amdhsa_exception_fp_ieee_underflow 0
		.amdhsa_exception_fp_ieee_inexact 0
		.amdhsa_exception_int_div_zero 0
	.end_amdhsa_kernel
	.section	.text._ZN2at6native12_GLOBAL__N_135CatArrayBatchedCopy_alignedK_contigINS1_10OpaqueTypeILj16EEEjLi4ELi128ELi1ELi8EEEvPT_NS1_25CatArrInputTensorMetadataIS5_T0_XT2_EXT3_EEENS1_16TensorSizeStrideIS8_Lj4EEEiS8_,"axG",@progbits,_ZN2at6native12_GLOBAL__N_135CatArrayBatchedCopy_alignedK_contigINS1_10OpaqueTypeILj16EEEjLi4ELi128ELi1ELi8EEEvPT_NS1_25CatArrInputTensorMetadataIS5_T0_XT2_EXT3_EEENS1_16TensorSizeStrideIS8_Lj4EEEiS8_,comdat
.Lfunc_end97:
	.size	_ZN2at6native12_GLOBAL__N_135CatArrayBatchedCopy_alignedK_contigINS1_10OpaqueTypeILj16EEEjLi4ELi128ELi1ELi8EEEvPT_NS1_25CatArrInputTensorMetadataIS5_T0_XT2_EXT3_EEENS1_16TensorSizeStrideIS8_Lj4EEEiS8_, .Lfunc_end97-_ZN2at6native12_GLOBAL__N_135CatArrayBatchedCopy_alignedK_contigINS1_10OpaqueTypeILj16EEEjLi4ELi128ELi1ELi8EEEvPT_NS1_25CatArrInputTensorMetadataIS5_T0_XT2_EXT3_EEENS1_16TensorSizeStrideIS8_Lj4EEEiS8_
                                        ; -- End function
	.set _ZN2at6native12_GLOBAL__N_135CatArrayBatchedCopy_alignedK_contigINS1_10OpaqueTypeILj16EEEjLi4ELi128ELi1ELi8EEEvPT_NS1_25CatArrInputTensorMetadataIS5_T0_XT2_EXT3_EEENS1_16TensorSizeStrideIS8_Lj4EEEiS8_.num_vgpr, 20
	.set _ZN2at6native12_GLOBAL__N_135CatArrayBatchedCopy_alignedK_contigINS1_10OpaqueTypeILj16EEEjLi4ELi128ELi1ELi8EEEvPT_NS1_25CatArrInputTensorMetadataIS5_T0_XT2_EXT3_EEENS1_16TensorSizeStrideIS8_Lj4EEEiS8_.num_agpr, 0
	.set _ZN2at6native12_GLOBAL__N_135CatArrayBatchedCopy_alignedK_contigINS1_10OpaqueTypeILj16EEEjLi4ELi128ELi1ELi8EEEvPT_NS1_25CatArrInputTensorMetadataIS5_T0_XT2_EXT3_EEENS1_16TensorSizeStrideIS8_Lj4EEEiS8_.numbered_sgpr, 20
	.set _ZN2at6native12_GLOBAL__N_135CatArrayBatchedCopy_alignedK_contigINS1_10OpaqueTypeILj16EEEjLi4ELi128ELi1ELi8EEEvPT_NS1_25CatArrInputTensorMetadataIS5_T0_XT2_EXT3_EEENS1_16TensorSizeStrideIS8_Lj4EEEiS8_.num_named_barrier, 0
	.set _ZN2at6native12_GLOBAL__N_135CatArrayBatchedCopy_alignedK_contigINS1_10OpaqueTypeILj16EEEjLi4ELi128ELi1ELi8EEEvPT_NS1_25CatArrInputTensorMetadataIS5_T0_XT2_EXT3_EEENS1_16TensorSizeStrideIS8_Lj4EEEiS8_.private_seg_size, 0
	.set _ZN2at6native12_GLOBAL__N_135CatArrayBatchedCopy_alignedK_contigINS1_10OpaqueTypeILj16EEEjLi4ELi128ELi1ELi8EEEvPT_NS1_25CatArrInputTensorMetadataIS5_T0_XT2_EXT3_EEENS1_16TensorSizeStrideIS8_Lj4EEEiS8_.uses_vcc, 1
	.set _ZN2at6native12_GLOBAL__N_135CatArrayBatchedCopy_alignedK_contigINS1_10OpaqueTypeILj16EEEjLi4ELi128ELi1ELi8EEEvPT_NS1_25CatArrInputTensorMetadataIS5_T0_XT2_EXT3_EEENS1_16TensorSizeStrideIS8_Lj4EEEiS8_.uses_flat_scratch, 0
	.set _ZN2at6native12_GLOBAL__N_135CatArrayBatchedCopy_alignedK_contigINS1_10OpaqueTypeILj16EEEjLi4ELi128ELi1ELi8EEEvPT_NS1_25CatArrInputTensorMetadataIS5_T0_XT2_EXT3_EEENS1_16TensorSizeStrideIS8_Lj4EEEiS8_.has_dyn_sized_stack, 0
	.set _ZN2at6native12_GLOBAL__N_135CatArrayBatchedCopy_alignedK_contigINS1_10OpaqueTypeILj16EEEjLi4ELi128ELi1ELi8EEEvPT_NS1_25CatArrInputTensorMetadataIS5_T0_XT2_EXT3_EEENS1_16TensorSizeStrideIS8_Lj4EEEiS8_.has_recursion, 0
	.set _ZN2at6native12_GLOBAL__N_135CatArrayBatchedCopy_alignedK_contigINS1_10OpaqueTypeILj16EEEjLi4ELi128ELi1ELi8EEEvPT_NS1_25CatArrInputTensorMetadataIS5_T0_XT2_EXT3_EEENS1_16TensorSizeStrideIS8_Lj4EEEiS8_.has_indirect_call, 0
	.section	.AMDGPU.csdata,"",@progbits
; Kernel info:
; codeLenInByte = 1132
; TotalNumSgprs: 22
; NumVgprs: 20
; ScratchSize: 0
; MemoryBound: 0
; FloatMode: 240
; IeeeMode: 1
; LDSByteSize: 0 bytes/workgroup (compile time only)
; SGPRBlocks: 0
; VGPRBlocks: 2
; NumSGPRsForWavesPerEU: 22
; NumVGPRsForWavesPerEU: 20
; Occupancy: 16
; WaveLimiterHint : 1
; COMPUTE_PGM_RSRC2:SCRATCH_EN: 0
; COMPUTE_PGM_RSRC2:USER_SGPR: 6
; COMPUTE_PGM_RSRC2:TRAP_HANDLER: 0
; COMPUTE_PGM_RSRC2:TGID_X_EN: 1
; COMPUTE_PGM_RSRC2:TGID_Y_EN: 1
; COMPUTE_PGM_RSRC2:TGID_Z_EN: 0
; COMPUTE_PGM_RSRC2:TIDIG_COMP_CNT: 0
	.section	.text._ZN2at6native12_GLOBAL__N_126CatArrayBatchedCopy_contigINS1_10OpaqueTypeILj16EEEjLi4ELi128ELi1EEEvPT_NS1_25CatArrInputTensorMetadataIS5_T0_XT2_EXT3_EEENS1_16TensorSizeStrideIS8_Lj4EEEiS8_,"axG",@progbits,_ZN2at6native12_GLOBAL__N_126CatArrayBatchedCopy_contigINS1_10OpaqueTypeILj16EEEjLi4ELi128ELi1EEEvPT_NS1_25CatArrInputTensorMetadataIS5_T0_XT2_EXT3_EEENS1_16TensorSizeStrideIS8_Lj4EEEiS8_,comdat
	.globl	_ZN2at6native12_GLOBAL__N_126CatArrayBatchedCopy_contigINS1_10OpaqueTypeILj16EEEjLi4ELi128ELi1EEEvPT_NS1_25CatArrInputTensorMetadataIS5_T0_XT2_EXT3_EEENS1_16TensorSizeStrideIS8_Lj4EEEiS8_ ; -- Begin function _ZN2at6native12_GLOBAL__N_126CatArrayBatchedCopy_contigINS1_10OpaqueTypeILj16EEEjLi4ELi128ELi1EEEvPT_NS1_25CatArrInputTensorMetadataIS5_T0_XT2_EXT3_EEENS1_16TensorSizeStrideIS8_Lj4EEEiS8_
	.p2align	8
	.type	_ZN2at6native12_GLOBAL__N_126CatArrayBatchedCopy_contigINS1_10OpaqueTypeILj16EEEjLi4ELi128ELi1EEEvPT_NS1_25CatArrInputTensorMetadataIS5_T0_XT2_EXT3_EEENS1_16TensorSizeStrideIS8_Lj4EEEiS8_,@function
_ZN2at6native12_GLOBAL__N_126CatArrayBatchedCopy_contigINS1_10OpaqueTypeILj16EEEjLi4ELi128ELi1EEEvPT_NS1_25CatArrInputTensorMetadataIS5_T0_XT2_EXT3_EEENS1_16TensorSizeStrideIS8_Lj4EEEiS8_: ; @_ZN2at6native12_GLOBAL__N_126CatArrayBatchedCopy_contigINS1_10OpaqueTypeILj16EEEjLi4ELi128ELi1EEEvPT_NS1_25CatArrInputTensorMetadataIS5_T0_XT2_EXT3_EEENS1_16TensorSizeStrideIS8_Lj4EEEiS8_
; %bb.0:
	s_mov_b32 s0, s7
	s_load_dword s7, s[4:5], 0xadc
	s_mov_b32 s1, 0
	s_add_u32 s8, s4, 0xad0
	s_addc_u32 s9, s5, 0
	s_lshl_b64 s[2:3], s[0:1], 2
	s_mov_b32 s11, exec_lo
	s_waitcnt lgkmcnt(0)
	s_and_b32 s0, s7, 0xffff
	s_add_u32 s12, s4, s2
	s_addc_u32 s13, s5, s3
	v_mad_u64_u32 v[0:1], null, s6, s0, v[0:1]
	s_load_dword s10, s[12:13], 0x808
	s_add_u32 s6, s12, 8
	s_addc_u32 s7, s13, 0
	s_waitcnt lgkmcnt(0)
	v_cmpx_gt_u32_e64 s10, v0
	s_cbranch_execz .LBB98_3
; %bb.1:
	s_add_u32 s20, s6, s2
	s_addc_u32 s21, s7, s3
	s_sub_u32 s2, 0, s2
	s_subb_u32 s3, 0, s3
	s_load_dwordx2 s[14:15], s[4:5], 0xac8
	s_add_u32 s22, s20, s2
	s_addc_u32 s23, s21, s3
	s_clause 0x1
	s_load_dwordx4 s[16:19], s[4:5], 0xaac
	s_load_dword s2, s[22:23], 0x600
	s_waitcnt lgkmcnt(0)
	s_cmp_eq_u32 s14, 3
	s_cselect_b32 s11, s2, s18
	s_cmp_eq_u32 s14, 2
	v_cvt_f32_u32_e32 v1, s11
	s_cselect_b32 s12, s2, s17
	s_cmp_eq_u32 s14, 1
	v_cvt_f32_u32_e32 v2, s12
	s_cselect_b32 s13, s2, s16
	v_rcp_iflag_f32_e32 v1, v1
	v_cvt_f32_u32_e32 v3, s13
	s_load_dwordx2 s[2:3], s[4:5], 0x0
	v_rcp_iflag_f32_e32 v2, v2
	s_clause 0x1
	s_load_dwordx4 s[4:7], s[4:5], 0xab8
	s_load_dword s16, s[22:23], 0x400
	s_load_dword s17, s[8:9], 0x0
	v_rcp_iflag_f32_e32 v3, v3
	s_sub_i32 s14, 0, s11
	s_sub_i32 s8, 0, s12
	;; [unrolled: 1-line block ×3, first 2 shown]
	v_mul_f32_e32 v1, 0x4f7ffffe, v1
	v_mul_f32_e32 v2, 0x4f7ffffe, v2
	v_cvt_u32_f32_e32 v1, v1
	v_mul_f32_e32 v3, 0x4f7ffffe, v3
	v_cvt_u32_f32_e32 v4, v2
	v_mul_lo_u32 v2, s14, v1
	v_cvt_u32_f32_e32 v5, v3
	v_mul_lo_u32 v3, s8, v4
	s_waitcnt lgkmcnt(0)
	s_mul_i32 s15, s16, s15
	s_mul_i32 s16, s17, s0
	v_mul_lo_u32 v6, s9, v5
	s_load_dwordx2 s[8:9], s[20:21], 0x0
	v_mul_hi_u32 v2, v1, v2
	v_mul_hi_u32 v3, v4, v3
	v_mul_hi_u32 v6, v5, v6
	v_add_nc_u32_e32 v2, v1, v2
	v_mov_b32_e32 v1, 0
	v_add_nc_u32_e32 v3, v4, v3
	v_add_nc_u32_e32 v4, v5, v6
.LBB98_2:                               ; =>This Inner Loop Header: Depth=1
	v_lshlrev_b64 v[5:6], 4, v[0:1]
	v_mul_hi_u32 v11, v2, v0
	s_waitcnt lgkmcnt(0)
	v_add_co_u32 v5, vcc_lo, s8, v5
	v_add_co_ci_u32_e64 v6, null, s9, v6, vcc_lo
	v_mul_lo_u32 v12, s11, v11
	v_not_b32_e32 v9, v11
	v_add_nc_u32_e32 v13, 1, v11
	global_load_dwordx4 v[5:8], v[5:6], off
	v_mad_u64_u32 v[9:10], null, s11, v9, v[0:1]
	v_sub_nc_u32_e32 v10, v0, v12
	v_cmp_le_u32_e32 vcc_lo, s11, v10
	v_cndmask_b32_e32 v11, v11, v13, vcc_lo
	v_cndmask_b32_e32 v9, v10, v9, vcc_lo
	v_add_nc_u32_e32 v10, 1, v11
	v_cmp_le_u32_e32 vcc_lo, s11, v9
	v_cndmask_b32_e32 v11, v11, v10, vcc_lo
	v_mul_hi_u32 v9, v11, v3
	v_mul_lo_u32 v10, v9, s12
	v_add_nc_u32_e32 v12, 1, v9
	v_sub_nc_u32_e32 v10, v11, v10
	v_subrev_nc_u32_e32 v13, s12, v10
	v_cmp_le_u32_e32 vcc_lo, s12, v10
	v_cndmask_b32_e32 v9, v9, v12, vcc_lo
	v_cndmask_b32_e32 v10, v10, v13, vcc_lo
	v_add_nc_u32_e32 v12, 1, v9
	v_cmp_le_u32_e32 vcc_lo, s12, v10
	v_cndmask_b32_e32 v12, v9, v12, vcc_lo
	v_mul_hi_u32 v9, v12, v4
	v_mul_lo_u32 v10, v9, s13
	v_add_nc_u32_e32 v13, 1, v9
	v_sub_nc_u32_e32 v10, v12, v10
	v_subrev_nc_u32_e32 v14, s13, v10
	v_cmp_le_u32_e32 vcc_lo, s13, v10
	v_cndmask_b32_e32 v13, v9, v13, vcc_lo
	v_cndmask_b32_e32 v14, v10, v14, vcc_lo
	v_mad_u64_u32 v[9:10], null, s14, v11, v[0:1]
	v_add_nc_u32_e32 v0, s16, v0
	v_add_nc_u32_e32 v15, 1, v13
	v_cmp_le_u32_e32 vcc_lo, s13, v14
	v_mul_lo_u32 v9, v9, s7
	v_cndmask_b32_e32 v10, v13, v15, vcc_lo
	v_mul_lo_u32 v13, v12, s12
	v_cmp_le_u32_e32 vcc_lo, s10, v0
	v_mul_lo_u32 v14, v10, s13
	v_mul_lo_u32 v10, v10, s4
	s_or_b32 s1, vcc_lo, s1
	v_sub_nc_u32_e32 v11, v11, v13
	v_sub_nc_u32_e32 v12, v12, v14
	v_mul_lo_u32 v11, v11, s6
	v_add3_u32 v9, v9, s15, v10
	v_mov_b32_e32 v10, v1
	v_mul_lo_u32 v12, v12, s5
	v_add3_u32 v9, v9, v11, v12
	v_lshlrev_b64 v[9:10], 4, v[9:10]
	v_add_co_u32 v9, s0, s2, v9
	v_add_co_ci_u32_e64 v10, null, s3, v10, s0
	s_waitcnt vmcnt(0)
	global_store_dwordx4 v[9:10], v[5:8], off
	s_andn2_b32 exec_lo, exec_lo, s1
	s_cbranch_execnz .LBB98_2
.LBB98_3:
	s_endpgm
	.section	.rodata,"a",@progbits
	.p2align	6, 0x0
	.amdhsa_kernel _ZN2at6native12_GLOBAL__N_126CatArrayBatchedCopy_contigINS1_10OpaqueTypeILj16EEEjLi4ELi128ELi1EEEvPT_NS1_25CatArrInputTensorMetadataIS5_T0_XT2_EXT3_EEENS1_16TensorSizeStrideIS8_Lj4EEEiS8_
		.amdhsa_group_segment_fixed_size 0
		.amdhsa_private_segment_fixed_size 0
		.amdhsa_kernarg_size 3024
		.amdhsa_user_sgpr_count 6
		.amdhsa_user_sgpr_private_segment_buffer 1
		.amdhsa_user_sgpr_dispatch_ptr 0
		.amdhsa_user_sgpr_queue_ptr 0
		.amdhsa_user_sgpr_kernarg_segment_ptr 1
		.amdhsa_user_sgpr_dispatch_id 0
		.amdhsa_user_sgpr_flat_scratch_init 0
		.amdhsa_user_sgpr_private_segment_size 0
		.amdhsa_wavefront_size32 1
		.amdhsa_uses_dynamic_stack 0
		.amdhsa_system_sgpr_private_segment_wavefront_offset 0
		.amdhsa_system_sgpr_workgroup_id_x 1
		.amdhsa_system_sgpr_workgroup_id_y 1
		.amdhsa_system_sgpr_workgroup_id_z 0
		.amdhsa_system_sgpr_workgroup_info 0
		.amdhsa_system_vgpr_workitem_id 0
		.amdhsa_next_free_vgpr 16
		.amdhsa_next_free_sgpr 24
		.amdhsa_reserve_vcc 1
		.amdhsa_reserve_flat_scratch 0
		.amdhsa_float_round_mode_32 0
		.amdhsa_float_round_mode_16_64 0
		.amdhsa_float_denorm_mode_32 3
		.amdhsa_float_denorm_mode_16_64 3
		.amdhsa_dx10_clamp 1
		.amdhsa_ieee_mode 1
		.amdhsa_fp16_overflow 0
		.amdhsa_workgroup_processor_mode 1
		.amdhsa_memory_ordered 1
		.amdhsa_forward_progress 1
		.amdhsa_shared_vgpr_count 0
		.amdhsa_exception_fp_ieee_invalid_op 0
		.amdhsa_exception_fp_denorm_src 0
		.amdhsa_exception_fp_ieee_div_zero 0
		.amdhsa_exception_fp_ieee_overflow 0
		.amdhsa_exception_fp_ieee_underflow 0
		.amdhsa_exception_fp_ieee_inexact 0
		.amdhsa_exception_int_div_zero 0
	.end_amdhsa_kernel
	.section	.text._ZN2at6native12_GLOBAL__N_126CatArrayBatchedCopy_contigINS1_10OpaqueTypeILj16EEEjLi4ELi128ELi1EEEvPT_NS1_25CatArrInputTensorMetadataIS5_T0_XT2_EXT3_EEENS1_16TensorSizeStrideIS8_Lj4EEEiS8_,"axG",@progbits,_ZN2at6native12_GLOBAL__N_126CatArrayBatchedCopy_contigINS1_10OpaqueTypeILj16EEEjLi4ELi128ELi1EEEvPT_NS1_25CatArrInputTensorMetadataIS5_T0_XT2_EXT3_EEENS1_16TensorSizeStrideIS8_Lj4EEEiS8_,comdat
.Lfunc_end98:
	.size	_ZN2at6native12_GLOBAL__N_126CatArrayBatchedCopy_contigINS1_10OpaqueTypeILj16EEEjLi4ELi128ELi1EEEvPT_NS1_25CatArrInputTensorMetadataIS5_T0_XT2_EXT3_EEENS1_16TensorSizeStrideIS8_Lj4EEEiS8_, .Lfunc_end98-_ZN2at6native12_GLOBAL__N_126CatArrayBatchedCopy_contigINS1_10OpaqueTypeILj16EEEjLi4ELi128ELi1EEEvPT_NS1_25CatArrInputTensorMetadataIS5_T0_XT2_EXT3_EEENS1_16TensorSizeStrideIS8_Lj4EEEiS8_
                                        ; -- End function
	.set _ZN2at6native12_GLOBAL__N_126CatArrayBatchedCopy_contigINS1_10OpaqueTypeILj16EEEjLi4ELi128ELi1EEEvPT_NS1_25CatArrInputTensorMetadataIS5_T0_XT2_EXT3_EEENS1_16TensorSizeStrideIS8_Lj4EEEiS8_.num_vgpr, 16
	.set _ZN2at6native12_GLOBAL__N_126CatArrayBatchedCopy_contigINS1_10OpaqueTypeILj16EEEjLi4ELi128ELi1EEEvPT_NS1_25CatArrInputTensorMetadataIS5_T0_XT2_EXT3_EEENS1_16TensorSizeStrideIS8_Lj4EEEiS8_.num_agpr, 0
	.set _ZN2at6native12_GLOBAL__N_126CatArrayBatchedCopy_contigINS1_10OpaqueTypeILj16EEEjLi4ELi128ELi1EEEvPT_NS1_25CatArrInputTensorMetadataIS5_T0_XT2_EXT3_EEENS1_16TensorSizeStrideIS8_Lj4EEEiS8_.numbered_sgpr, 24
	.set _ZN2at6native12_GLOBAL__N_126CatArrayBatchedCopy_contigINS1_10OpaqueTypeILj16EEEjLi4ELi128ELi1EEEvPT_NS1_25CatArrInputTensorMetadataIS5_T0_XT2_EXT3_EEENS1_16TensorSizeStrideIS8_Lj4EEEiS8_.num_named_barrier, 0
	.set _ZN2at6native12_GLOBAL__N_126CatArrayBatchedCopy_contigINS1_10OpaqueTypeILj16EEEjLi4ELi128ELi1EEEvPT_NS1_25CatArrInputTensorMetadataIS5_T0_XT2_EXT3_EEENS1_16TensorSizeStrideIS8_Lj4EEEiS8_.private_seg_size, 0
	.set _ZN2at6native12_GLOBAL__N_126CatArrayBatchedCopy_contigINS1_10OpaqueTypeILj16EEEjLi4ELi128ELi1EEEvPT_NS1_25CatArrInputTensorMetadataIS5_T0_XT2_EXT3_EEENS1_16TensorSizeStrideIS8_Lj4EEEiS8_.uses_vcc, 1
	.set _ZN2at6native12_GLOBAL__N_126CatArrayBatchedCopy_contigINS1_10OpaqueTypeILj16EEEjLi4ELi128ELi1EEEvPT_NS1_25CatArrInputTensorMetadataIS5_T0_XT2_EXT3_EEENS1_16TensorSizeStrideIS8_Lj4EEEiS8_.uses_flat_scratch, 0
	.set _ZN2at6native12_GLOBAL__N_126CatArrayBatchedCopy_contigINS1_10OpaqueTypeILj16EEEjLi4ELi128ELi1EEEvPT_NS1_25CatArrInputTensorMetadataIS5_T0_XT2_EXT3_EEENS1_16TensorSizeStrideIS8_Lj4EEEiS8_.has_dyn_sized_stack, 0
	.set _ZN2at6native12_GLOBAL__N_126CatArrayBatchedCopy_contigINS1_10OpaqueTypeILj16EEEjLi4ELi128ELi1EEEvPT_NS1_25CatArrInputTensorMetadataIS5_T0_XT2_EXT3_EEENS1_16TensorSizeStrideIS8_Lj4EEEiS8_.has_recursion, 0
	.set _ZN2at6native12_GLOBAL__N_126CatArrayBatchedCopy_contigINS1_10OpaqueTypeILj16EEEjLi4ELi128ELi1EEEvPT_NS1_25CatArrInputTensorMetadataIS5_T0_XT2_EXT3_EEENS1_16TensorSizeStrideIS8_Lj4EEEiS8_.has_indirect_call, 0
	.section	.AMDGPU.csdata,"",@progbits
; Kernel info:
; codeLenInByte = 712
; TotalNumSgprs: 26
; NumVgprs: 16
; ScratchSize: 0
; MemoryBound: 0
; FloatMode: 240
; IeeeMode: 1
; LDSByteSize: 0 bytes/workgroup (compile time only)
; SGPRBlocks: 0
; VGPRBlocks: 1
; NumSGPRsForWavesPerEU: 26
; NumVGPRsForWavesPerEU: 16
; Occupancy: 16
; WaveLimiterHint : 1
; COMPUTE_PGM_RSRC2:SCRATCH_EN: 0
; COMPUTE_PGM_RSRC2:USER_SGPR: 6
; COMPUTE_PGM_RSRC2:TRAP_HANDLER: 0
; COMPUTE_PGM_RSRC2:TGID_X_EN: 1
; COMPUTE_PGM_RSRC2:TGID_Y_EN: 1
; COMPUTE_PGM_RSRC2:TGID_Z_EN: 0
; COMPUTE_PGM_RSRC2:TIDIG_COMP_CNT: 0
	.section	.text._ZN2at6native12_GLOBAL__N_119CatArrayBatchedCopyINS1_10OpaqueTypeILj16EEEjLi4ELi128ELi1EEEvPT_NS1_25CatArrInputTensorMetadataIS5_T0_XT2_EXT3_EEENS1_16TensorSizeStrideIS8_Lj4EEEiS8_,"axG",@progbits,_ZN2at6native12_GLOBAL__N_119CatArrayBatchedCopyINS1_10OpaqueTypeILj16EEEjLi4ELi128ELi1EEEvPT_NS1_25CatArrInputTensorMetadataIS5_T0_XT2_EXT3_EEENS1_16TensorSizeStrideIS8_Lj4EEEiS8_,comdat
	.globl	_ZN2at6native12_GLOBAL__N_119CatArrayBatchedCopyINS1_10OpaqueTypeILj16EEEjLi4ELi128ELi1EEEvPT_NS1_25CatArrInputTensorMetadataIS5_T0_XT2_EXT3_EEENS1_16TensorSizeStrideIS8_Lj4EEEiS8_ ; -- Begin function _ZN2at6native12_GLOBAL__N_119CatArrayBatchedCopyINS1_10OpaqueTypeILj16EEEjLi4ELi128ELi1EEEvPT_NS1_25CatArrInputTensorMetadataIS5_T0_XT2_EXT3_EEENS1_16TensorSizeStrideIS8_Lj4EEEiS8_
	.p2align	8
	.type	_ZN2at6native12_GLOBAL__N_119CatArrayBatchedCopyINS1_10OpaqueTypeILj16EEEjLi4ELi128ELi1EEEvPT_NS1_25CatArrInputTensorMetadataIS5_T0_XT2_EXT3_EEENS1_16TensorSizeStrideIS8_Lj4EEEiS8_,@function
_ZN2at6native12_GLOBAL__N_119CatArrayBatchedCopyINS1_10OpaqueTypeILj16EEEjLi4ELi128ELi1EEEvPT_NS1_25CatArrInputTensorMetadataIS5_T0_XT2_EXT3_EEENS1_16TensorSizeStrideIS8_Lj4EEEiS8_: ; @_ZN2at6native12_GLOBAL__N_119CatArrayBatchedCopyINS1_10OpaqueTypeILj16EEEjLi4ELi128ELi1EEEvPT_NS1_25CatArrInputTensorMetadataIS5_T0_XT2_EXT3_EEENS1_16TensorSizeStrideIS8_Lj4EEEiS8_
; %bb.0:
	s_mov_b32 s0, s7
	s_load_dword s7, s[4:5], 0xadc
	s_or_b32 s8, s4, 8
	s_mov_b32 s1, 0
	s_add_u32 s16, s4, 0xad0
	s_addc_u32 s17, s5, 0
	s_lshl_b64 s[2:3], s[0:1], 2
	s_waitcnt lgkmcnt(0)
	s_and_b32 s25, s7, 0xffff
	s_add_u32 s10, s8, s2
	s_addc_u32 s11, s5, s3
	v_mad_u64_u32 v[0:1], null, s6, s25, v[0:1]
	s_load_dword s18, s[10:11], 0x800
	s_mov_b32 s6, exec_lo
	s_waitcnt lgkmcnt(0)
	v_cmpx_gt_u32_e64 s18, v0
	s_cbranch_execz .LBB99_5
; %bb.1:
	v_mov_b32_e32 v1, 0x800
	s_add_u32 s6, s8, s0
	s_addc_u32 s7, s5, 0
	s_mov_b32 s9, s5
	s_load_dwordx2 s[14:15], s[4:5], 0xac8
	global_load_ubyte v1, v1, s[6:7] offset:512
	s_waitcnt vmcnt(0)
	v_and_b32_e32 v1, 1, v1
	v_cmp_eq_u32_e32 vcc_lo, 1, v1
	s_xor_b32 s19, vcc_lo, -1
	s_add_u32 s12, s10, s2
	s_addc_u32 s13, s11, s3
	s_sub_u32 s0, 0, s2
	s_subb_u32 s2, 0, s3
	s_add_u32 s6, s12, s0
	s_addc_u32 s7, s13, s2
	s_clause 0x4
	s_load_dwordx4 s[28:31], s[4:5], 0xaac
	s_load_dword s0, s[6:7], 0x600
	s_load_dwordx4 s[36:39], s[4:5], 0xa8c
	s_load_dwordx2 s[2:3], s[4:5], 0x0
	s_load_dwordx4 s[8:11], s[8:9], 0xa90
	s_waitcnt lgkmcnt(0)
	s_cmp_eq_u32 s14, 3
	s_load_dword s27, s[16:17], 0x0
	s_load_dword s26, s[6:7], 0x400
	s_cselect_b32 s20, s0, s30
	s_cselect_b32 s21, s0, s38
	s_cmp_eq_u32 s14, 2
	v_cvt_f32_u32_e32 v1, s20
	s_cselect_b32 s16, s0, s29
	s_cselect_b32 s17, s0, s37
	s_cmp_eq_u32 s14, 1
	v_cvt_f32_u32_e32 v2, s21
	s_cselect_b32 s14, s0, s28
	s_cselect_b32 s22, s0, s36
	v_cvt_f32_u32_e32 v3, s16
	v_cvt_f32_u32_e32 v4, s17
	;; [unrolled: 1-line block ×4, first 2 shown]
	v_rcp_iflag_f32_e32 v1, v1
	v_rcp_iflag_f32_e32 v2, v2
	;; [unrolled: 1-line block ×6, first 2 shown]
	s_sub_i32 s23, 0, s20
	s_sub_i32 s0, 0, s16
	s_sub_i32 s24, 0, s21
	s_sub_i32 s6, 0, s17
	v_mul_f32_e32 v1, 0x4f7ffffe, v1
	v_mul_f32_e32 v2, 0x4f7ffffe, v2
	v_mul_f32_e32 v3, 0x4f7ffffe, v3
	v_mul_f32_e32 v4, 0x4f7ffffe, v4
	v_mul_f32_e32 v5, 0x4f7ffffe, v5
	v_mul_f32_e32 v6, 0x4f7ffffe, v6
	v_cvt_u32_f32_e32 v7, v1
	v_cvt_u32_f32_e32 v2, v2
	;; [unrolled: 1-line block ×6, first 2 shown]
	s_sub_i32 s7, 0, s14
	s_sub_i32 s28, 0, s22
	v_mul_lo_u32 v1, s23, v7
	v_mul_lo_u32 v4, s24, v2
	;; [unrolled: 1-line block ×6, first 2 shown]
	s_clause 0x1
	s_load_dwordx4 s[4:7], s[4:5], 0xab8
	s_load_dwordx2 s[12:13], s[12:13], 0x0
	s_waitcnt lgkmcnt(0)
	s_mul_i32 s15, s26, s15
	v_mul_hi_u32 v13, v7, v1
	v_mul_hi_u32 v14, v2, v4
	v_mul_hi_u32 v15, v3, v5
	v_mul_hi_u32 v16, v8, v6
	v_mul_hi_u32 v11, v9, v11
	v_mul_hi_u32 v12, v10, v12
	v_mov_b32_e32 v1, 0
	s_mul_i32 s25, s27, s25
	v_add_nc_u32_e32 v4, v7, v13
	v_add_nc_u32_e32 v5, v2, v14
	;; [unrolled: 1-line block ×6, first 2 shown]
	s_branch .LBB99_3
.LBB99_2:                               ;   in Loop: Header=BB99_3 Depth=1
	v_lshlrev_b64 v[2:3], 4, v[2:3]
	v_mul_hi_u32 v16, v4, v0
	v_add_co_u32 v2, vcc_lo, s12, v2
	v_add_co_ci_u32_e64 v3, null, s13, v3, vcc_lo
	v_not_b32_e32 v14, v16
	global_load_dwordx4 v[10:13], v[2:3], off
	v_mad_u64_u32 v[2:3], null, s23, v16, v[0:1]
	v_mad_u64_u32 v[14:15], null, s20, v14, v[0:1]
	v_add_nc_u32_e32 v3, 1, v16
	v_cmp_le_u32_e32 vcc_lo, s20, v2
	v_cndmask_b32_e32 v3, v16, v3, vcc_lo
	v_cndmask_b32_e32 v2, v2, v14, vcc_lo
	v_add_nc_u32_e32 v14, 1, v3
	v_cmp_le_u32_e32 vcc_lo, s20, v2
	v_cndmask_b32_e32 v14, v3, v14, vcc_lo
	v_mul_hi_u32 v2, v14, v6
	v_mul_lo_u32 v3, v2, s16
	v_add_nc_u32_e32 v15, 1, v2
	v_sub_nc_u32_e32 v3, v14, v3
	v_subrev_nc_u32_e32 v16, s16, v3
	v_cmp_le_u32_e32 vcc_lo, s16, v3
	v_cndmask_b32_e32 v2, v2, v15, vcc_lo
	v_cndmask_b32_e32 v3, v3, v16, vcc_lo
	v_add_nc_u32_e32 v15, 1, v2
	v_cmp_le_u32_e32 vcc_lo, s16, v3
	v_cndmask_b32_e32 v15, v2, v15, vcc_lo
	v_mul_hi_u32 v2, v15, v8
	v_mul_lo_u32 v3, v2, s14
	v_add_nc_u32_e32 v16, 1, v2
	v_sub_nc_u32_e32 v3, v15, v3
	v_subrev_nc_u32_e32 v17, s14, v3
	v_cmp_le_u32_e32 vcc_lo, s14, v3
	v_cndmask_b32_e32 v2, v2, v16, vcc_lo
	v_cndmask_b32_e32 v3, v3, v17, vcc_lo
	v_mul_lo_u32 v17, v15, s16
	v_add_nc_u32_e32 v16, 1, v2
	v_cmp_le_u32_e32 vcc_lo, s14, v3
	v_cndmask_b32_e32 v16, v2, v16, vcc_lo
	v_mad_u64_u32 v[2:3], null, s23, v14, v[0:1]
	v_sub_nc_u32_e32 v14, v14, v17
	v_add_nc_u32_e32 v0, s25, v0
	v_mul_lo_u32 v3, v16, s14
	v_mul_lo_u32 v14, v14, s6
	;; [unrolled: 1-line block ×3, first 2 shown]
	v_cmp_le_u32_e32 vcc_lo, s18, v0
	v_sub_nc_u32_e32 v3, v15, v3
	v_mul_lo_u32 v15, v16, s4
	s_or_b32 s1, vcc_lo, s1
	v_mul_lo_u32 v3, v3, s5
	v_add3_u32 v2, v15, v2, v14
	v_add3_u32 v2, v2, v3, s15
	v_mov_b32_e32 v3, v1
	v_lshlrev_b64 v[2:3], 4, v[2:3]
	v_add_co_u32 v2, s0, s2, v2
	v_add_co_ci_u32_e64 v3, null, s3, v3, s0
	s_waitcnt vmcnt(0)
	global_store_dwordx4 v[2:3], v[10:13], off
	s_andn2_b32 exec_lo, exec_lo, s1
	s_cbranch_execz .LBB99_5
.LBB99_3:                               ; =>This Inner Loop Header: Depth=1
	v_mov_b32_e32 v3, v1
	v_mov_b32_e32 v2, v0
	s_andn2_b32 vcc_lo, exec_lo, s19
	s_cbranch_vccnz .LBB99_2
; %bb.4:                                ;   in Loop: Header=BB99_3 Depth=1
	v_mul_hi_u32 v12, v5, v0
	v_not_b32_e32 v10, v12
	v_mad_u64_u32 v[2:3], null, s24, v12, v[0:1]
	v_add_nc_u32_e32 v3, 1, v12
	v_mad_u64_u32 v[10:11], null, s21, v10, v[0:1]
	v_cmp_le_u32_e32 vcc_lo, s21, v2
	v_cndmask_b32_e32 v3, v12, v3, vcc_lo
	v_cndmask_b32_e32 v2, v2, v10, vcc_lo
	v_add_nc_u32_e32 v10, 1, v3
	v_cmp_le_u32_e32 vcc_lo, s21, v2
	v_cndmask_b32_e32 v10, v3, v10, vcc_lo
	v_mul_hi_u32 v2, v10, v7
	v_mul_lo_u32 v3, v2, s17
	v_add_nc_u32_e32 v11, 1, v2
	v_sub_nc_u32_e32 v3, v10, v3
	v_subrev_nc_u32_e32 v12, s17, v3
	v_cmp_le_u32_e32 vcc_lo, s17, v3
	v_cndmask_b32_e32 v2, v2, v11, vcc_lo
	v_cndmask_b32_e32 v3, v3, v12, vcc_lo
	v_add_nc_u32_e32 v11, 1, v2
	v_cmp_le_u32_e32 vcc_lo, s17, v3
	v_cndmask_b32_e32 v11, v2, v11, vcc_lo
	v_mul_hi_u32 v2, v11, v9
	v_mul_lo_u32 v3, v2, s22
	v_add_nc_u32_e32 v12, 1, v2
	v_sub_nc_u32_e32 v3, v11, v3
	v_subrev_nc_u32_e32 v13, s22, v3
	v_cmp_le_u32_e32 vcc_lo, s22, v3
	v_cndmask_b32_e32 v2, v2, v12, vcc_lo
	v_cndmask_b32_e32 v3, v3, v13, vcc_lo
	v_add_nc_u32_e32 v12, 1, v2
	v_cmp_le_u32_e32 vcc_lo, s22, v3
	v_cndmask_b32_e32 v12, v2, v12, vcc_lo
	v_mad_u64_u32 v[2:3], null, s24, v10, v[0:1]
	v_mul_lo_u32 v3, v11, s17
	v_mul_lo_u32 v13, v12, s22
	;; [unrolled: 1-line block ×3, first 2 shown]
	v_sub_nc_u32_e32 v3, v10, v3
	v_sub_nc_u32_e32 v10, v11, v13
	v_mul_lo_u32 v11, v3, s10
	v_mad_u64_u32 v[2:3], null, v12, s8, v[2:3]
	v_mul_lo_u32 v3, v10, s9
	v_add3_u32 v2, v2, v11, v3
	v_mov_b32_e32 v3, v1
	s_branch .LBB99_2
.LBB99_5:
	s_endpgm
	.section	.rodata,"a",@progbits
	.p2align	6, 0x0
	.amdhsa_kernel _ZN2at6native12_GLOBAL__N_119CatArrayBatchedCopyINS1_10OpaqueTypeILj16EEEjLi4ELi128ELi1EEEvPT_NS1_25CatArrInputTensorMetadataIS5_T0_XT2_EXT3_EEENS1_16TensorSizeStrideIS8_Lj4EEEiS8_
		.amdhsa_group_segment_fixed_size 0
		.amdhsa_private_segment_fixed_size 0
		.amdhsa_kernarg_size 3024
		.amdhsa_user_sgpr_count 6
		.amdhsa_user_sgpr_private_segment_buffer 1
		.amdhsa_user_sgpr_dispatch_ptr 0
		.amdhsa_user_sgpr_queue_ptr 0
		.amdhsa_user_sgpr_kernarg_segment_ptr 1
		.amdhsa_user_sgpr_dispatch_id 0
		.amdhsa_user_sgpr_flat_scratch_init 0
		.amdhsa_user_sgpr_private_segment_size 0
		.amdhsa_wavefront_size32 1
		.amdhsa_uses_dynamic_stack 0
		.amdhsa_system_sgpr_private_segment_wavefront_offset 0
		.amdhsa_system_sgpr_workgroup_id_x 1
		.amdhsa_system_sgpr_workgroup_id_y 1
		.amdhsa_system_sgpr_workgroup_id_z 0
		.amdhsa_system_sgpr_workgroup_info 0
		.amdhsa_system_vgpr_workitem_id 0
		.amdhsa_next_free_vgpr 18
		.amdhsa_next_free_sgpr 40
		.amdhsa_reserve_vcc 1
		.amdhsa_reserve_flat_scratch 0
		.amdhsa_float_round_mode_32 0
		.amdhsa_float_round_mode_16_64 0
		.amdhsa_float_denorm_mode_32 3
		.amdhsa_float_denorm_mode_16_64 3
		.amdhsa_dx10_clamp 1
		.amdhsa_ieee_mode 1
		.amdhsa_fp16_overflow 0
		.amdhsa_workgroup_processor_mode 1
		.amdhsa_memory_ordered 1
		.amdhsa_forward_progress 1
		.amdhsa_shared_vgpr_count 0
		.amdhsa_exception_fp_ieee_invalid_op 0
		.amdhsa_exception_fp_denorm_src 0
		.amdhsa_exception_fp_ieee_div_zero 0
		.amdhsa_exception_fp_ieee_overflow 0
		.amdhsa_exception_fp_ieee_underflow 0
		.amdhsa_exception_fp_ieee_inexact 0
		.amdhsa_exception_int_div_zero 0
	.end_amdhsa_kernel
	.section	.text._ZN2at6native12_GLOBAL__N_119CatArrayBatchedCopyINS1_10OpaqueTypeILj16EEEjLi4ELi128ELi1EEEvPT_NS1_25CatArrInputTensorMetadataIS5_T0_XT2_EXT3_EEENS1_16TensorSizeStrideIS8_Lj4EEEiS8_,"axG",@progbits,_ZN2at6native12_GLOBAL__N_119CatArrayBatchedCopyINS1_10OpaqueTypeILj16EEEjLi4ELi128ELi1EEEvPT_NS1_25CatArrInputTensorMetadataIS5_T0_XT2_EXT3_EEENS1_16TensorSizeStrideIS8_Lj4EEEiS8_,comdat
.Lfunc_end99:
	.size	_ZN2at6native12_GLOBAL__N_119CatArrayBatchedCopyINS1_10OpaqueTypeILj16EEEjLi4ELi128ELi1EEEvPT_NS1_25CatArrInputTensorMetadataIS5_T0_XT2_EXT3_EEENS1_16TensorSizeStrideIS8_Lj4EEEiS8_, .Lfunc_end99-_ZN2at6native12_GLOBAL__N_119CatArrayBatchedCopyINS1_10OpaqueTypeILj16EEEjLi4ELi128ELi1EEEvPT_NS1_25CatArrInputTensorMetadataIS5_T0_XT2_EXT3_EEENS1_16TensorSizeStrideIS8_Lj4EEEiS8_
                                        ; -- End function
	.set _ZN2at6native12_GLOBAL__N_119CatArrayBatchedCopyINS1_10OpaqueTypeILj16EEEjLi4ELi128ELi1EEEvPT_NS1_25CatArrInputTensorMetadataIS5_T0_XT2_EXT3_EEENS1_16TensorSizeStrideIS8_Lj4EEEiS8_.num_vgpr, 18
	.set _ZN2at6native12_GLOBAL__N_119CatArrayBatchedCopyINS1_10OpaqueTypeILj16EEEjLi4ELi128ELi1EEEvPT_NS1_25CatArrInputTensorMetadataIS5_T0_XT2_EXT3_EEENS1_16TensorSizeStrideIS8_Lj4EEEiS8_.num_agpr, 0
	.set _ZN2at6native12_GLOBAL__N_119CatArrayBatchedCopyINS1_10OpaqueTypeILj16EEEjLi4ELi128ELi1EEEvPT_NS1_25CatArrInputTensorMetadataIS5_T0_XT2_EXT3_EEENS1_16TensorSizeStrideIS8_Lj4EEEiS8_.numbered_sgpr, 40
	.set _ZN2at6native12_GLOBAL__N_119CatArrayBatchedCopyINS1_10OpaqueTypeILj16EEEjLi4ELi128ELi1EEEvPT_NS1_25CatArrInputTensorMetadataIS5_T0_XT2_EXT3_EEENS1_16TensorSizeStrideIS8_Lj4EEEiS8_.num_named_barrier, 0
	.set _ZN2at6native12_GLOBAL__N_119CatArrayBatchedCopyINS1_10OpaqueTypeILj16EEEjLi4ELi128ELi1EEEvPT_NS1_25CatArrInputTensorMetadataIS5_T0_XT2_EXT3_EEENS1_16TensorSizeStrideIS8_Lj4EEEiS8_.private_seg_size, 0
	.set _ZN2at6native12_GLOBAL__N_119CatArrayBatchedCopyINS1_10OpaqueTypeILj16EEEjLi4ELi128ELi1EEEvPT_NS1_25CatArrInputTensorMetadataIS5_T0_XT2_EXT3_EEENS1_16TensorSizeStrideIS8_Lj4EEEiS8_.uses_vcc, 1
	.set _ZN2at6native12_GLOBAL__N_119CatArrayBatchedCopyINS1_10OpaqueTypeILj16EEEjLi4ELi128ELi1EEEvPT_NS1_25CatArrInputTensorMetadataIS5_T0_XT2_EXT3_EEENS1_16TensorSizeStrideIS8_Lj4EEEiS8_.uses_flat_scratch, 0
	.set _ZN2at6native12_GLOBAL__N_119CatArrayBatchedCopyINS1_10OpaqueTypeILj16EEEjLi4ELi128ELi1EEEvPT_NS1_25CatArrInputTensorMetadataIS5_T0_XT2_EXT3_EEENS1_16TensorSizeStrideIS8_Lj4EEEiS8_.has_dyn_sized_stack, 0
	.set _ZN2at6native12_GLOBAL__N_119CatArrayBatchedCopyINS1_10OpaqueTypeILj16EEEjLi4ELi128ELi1EEEvPT_NS1_25CatArrInputTensorMetadataIS5_T0_XT2_EXT3_EEENS1_16TensorSizeStrideIS8_Lj4EEEiS8_.has_recursion, 0
	.set _ZN2at6native12_GLOBAL__N_119CatArrayBatchedCopyINS1_10OpaqueTypeILj16EEEjLi4ELi128ELi1EEEvPT_NS1_25CatArrInputTensorMetadataIS5_T0_XT2_EXT3_EEENS1_16TensorSizeStrideIS8_Lj4EEEiS8_.has_indirect_call, 0
	.section	.AMDGPU.csdata,"",@progbits
; Kernel info:
; codeLenInByte = 1164
; TotalNumSgprs: 42
; NumVgprs: 18
; ScratchSize: 0
; MemoryBound: 0
; FloatMode: 240
; IeeeMode: 1
; LDSByteSize: 0 bytes/workgroup (compile time only)
; SGPRBlocks: 0
; VGPRBlocks: 2
; NumSGPRsForWavesPerEU: 42
; NumVGPRsForWavesPerEU: 18
; Occupancy: 16
; WaveLimiterHint : 1
; COMPUTE_PGM_RSRC2:SCRATCH_EN: 0
; COMPUTE_PGM_RSRC2:USER_SGPR: 6
; COMPUTE_PGM_RSRC2:TRAP_HANDLER: 0
; COMPUTE_PGM_RSRC2:TGID_X_EN: 1
; COMPUTE_PGM_RSRC2:TGID_Y_EN: 1
; COMPUTE_PGM_RSRC2:TGID_Z_EN: 0
; COMPUTE_PGM_RSRC2:TIDIG_COMP_CNT: 0
	.section	.text._ZN2at6native12_GLOBAL__N_130CatArrayBatchedCopy_vectorizedINS1_10OpaqueTypeILj1EEEjLi1ELi64ELi64ELi16ELi16EEEvPcNS1_25CatArrInputTensorMetadataIT_T0_XT2_EXT3_EEENS1_16TensorSizeStrideIS8_Lj4EEEiS8_,"axG",@progbits,_ZN2at6native12_GLOBAL__N_130CatArrayBatchedCopy_vectorizedINS1_10OpaqueTypeILj1EEEjLi1ELi64ELi64ELi16ELi16EEEvPcNS1_25CatArrInputTensorMetadataIT_T0_XT2_EXT3_EEENS1_16TensorSizeStrideIS8_Lj4EEEiS8_,comdat
	.globl	_ZN2at6native12_GLOBAL__N_130CatArrayBatchedCopy_vectorizedINS1_10OpaqueTypeILj1EEEjLi1ELi64ELi64ELi16ELi16EEEvPcNS1_25CatArrInputTensorMetadataIT_T0_XT2_EXT3_EEENS1_16TensorSizeStrideIS8_Lj4EEEiS8_ ; -- Begin function _ZN2at6native12_GLOBAL__N_130CatArrayBatchedCopy_vectorizedINS1_10OpaqueTypeILj1EEEjLi1ELi64ELi64ELi16ELi16EEEvPcNS1_25CatArrInputTensorMetadataIT_T0_XT2_EXT3_EEENS1_16TensorSizeStrideIS8_Lj4EEEiS8_
	.p2align	8
	.type	_ZN2at6native12_GLOBAL__N_130CatArrayBatchedCopy_vectorizedINS1_10OpaqueTypeILj1EEEjLi1ELi64ELi64ELi16ELi16EEEvPcNS1_25CatArrInputTensorMetadataIT_T0_XT2_EXT3_EEENS1_16TensorSizeStrideIS8_Lj4EEEiS8_,@function
_ZN2at6native12_GLOBAL__N_130CatArrayBatchedCopy_vectorizedINS1_10OpaqueTypeILj1EEEjLi1ELi64ELi64ELi16ELi16EEEvPcNS1_25CatArrInputTensorMetadataIT_T0_XT2_EXT3_EEENS1_16TensorSizeStrideIS8_Lj4EEEiS8_: ; @_ZN2at6native12_GLOBAL__N_130CatArrayBatchedCopy_vectorizedINS1_10OpaqueTypeILj1EEEjLi1ELi64ELi64ELi16ELi16EEEvPcNS1_25CatArrInputTensorMetadataIT_T0_XT2_EXT3_EEENS1_16TensorSizeStrideIS8_Lj4EEEiS8_
; %bb.0:
	s_mov_b32 s0, s7
	s_load_dword s7, s[4:5], 0xd7c
	s_mov_b32 s1, 0
	s_add_u32 s8, s4, 0xd70
	s_addc_u32 s9, s5, 0
	s_lshl_b64 s[2:3], s[0:1], 2
	s_waitcnt lgkmcnt(0)
	s_and_b32 s0, s7, 0xffff
	s_add_u32 s10, s4, s2
	s_addc_u32 s11, s5, s3
	v_mad_u64_u32 v[0:1], null, s6, s0, v[0:1]
	s_load_dword s12, s[10:11], 0x408
	s_add_u32 s7, s10, 8
	s_addc_u32 s10, s11, 0
	s_mov_b32 s11, exec_lo
	s_waitcnt lgkmcnt(0)
	s_lshr_b32 s6, s12, 4
	v_cmpx_gt_u32_e64 s6, v0
	s_cbranch_execz .LBB100_3
; %bb.1:
	s_add_u32 s12, s7, s2
	s_addc_u32 s13, s10, s3
	s_sub_u32 s2, 0, s2
	s_subb_u32 s3, 0, s3
	s_add_u32 s10, s12, s2
	s_addc_u32 s11, s13, s3
	s_clause 0x3
	s_load_dword s7, s[4:5], 0xd6c
	s_load_dwordx2 s[2:3], s[12:13], 0x0
	s_load_dword s12, s[4:5], 0xd58
	s_load_dword s10, s[10:11], 0x200
	;; [unrolled: 1-line block ×3, first 2 shown]
	s_load_dwordx2 s[8:9], s[4:5], 0x0
	v_mov_b32_e32 v3, 0
	s_waitcnt lgkmcnt(0)
	v_mul_lo_u32 v2, s12, v0
	s_mul_i32 s10, s10, s7
	s_mul_i32 s4, s11, s0
	s_and_b32 s5, s10, -16
	s_add_u32 s5, s8, s5
	s_addc_u32 s7, s9, 0
	s_mul_i32 s8, s4, s12
	.p2align	6
.LBB100_2:                              ; =>This Inner Loop Header: Depth=1
	v_mov_b32_e32 v1, v3
	v_lshlrev_b64 v[8:9], 4, v[2:3]
	v_add_nc_u32_e32 v2, s8, v2
	v_lshlrev_b64 v[4:5], 4, v[0:1]
	v_add_nc_u32_e32 v0, s4, v0
	v_cmp_le_u32_e64 s0, s6, v0
	v_add_co_u32 v4, vcc_lo, s2, v4
	v_add_co_ci_u32_e64 v5, null, s3, v5, vcc_lo
	v_add_co_u32 v8, vcc_lo, s5, v8
	v_add_co_ci_u32_e64 v9, null, s7, v9, vcc_lo
	global_load_dwordx4 v[4:7], v[4:5], off
	s_or_b32 s1, s0, s1
	s_waitcnt vmcnt(0)
	global_store_dwordx4 v[8:9], v[4:7], off
	s_andn2_b32 exec_lo, exec_lo, s1
	s_cbranch_execnz .LBB100_2
.LBB100_3:
	s_endpgm
	.section	.rodata,"a",@progbits
	.p2align	6, 0x0
	.amdhsa_kernel _ZN2at6native12_GLOBAL__N_130CatArrayBatchedCopy_vectorizedINS1_10OpaqueTypeILj1EEEjLi1ELi64ELi64ELi16ELi16EEEvPcNS1_25CatArrInputTensorMetadataIT_T0_XT2_EXT3_EEENS1_16TensorSizeStrideIS8_Lj4EEEiS8_
		.amdhsa_group_segment_fixed_size 0
		.amdhsa_private_segment_fixed_size 0
		.amdhsa_kernarg_size 3696
		.amdhsa_user_sgpr_count 6
		.amdhsa_user_sgpr_private_segment_buffer 1
		.amdhsa_user_sgpr_dispatch_ptr 0
		.amdhsa_user_sgpr_queue_ptr 0
		.amdhsa_user_sgpr_kernarg_segment_ptr 1
		.amdhsa_user_sgpr_dispatch_id 0
		.amdhsa_user_sgpr_flat_scratch_init 0
		.amdhsa_user_sgpr_private_segment_size 0
		.amdhsa_wavefront_size32 1
		.amdhsa_uses_dynamic_stack 0
		.amdhsa_system_sgpr_private_segment_wavefront_offset 0
		.amdhsa_system_sgpr_workgroup_id_x 1
		.amdhsa_system_sgpr_workgroup_id_y 1
		.amdhsa_system_sgpr_workgroup_id_z 0
		.amdhsa_system_sgpr_workgroup_info 0
		.amdhsa_system_vgpr_workitem_id 0
		.amdhsa_next_free_vgpr 10
		.amdhsa_next_free_sgpr 14
		.amdhsa_reserve_vcc 1
		.amdhsa_reserve_flat_scratch 0
		.amdhsa_float_round_mode_32 0
		.amdhsa_float_round_mode_16_64 0
		.amdhsa_float_denorm_mode_32 3
		.amdhsa_float_denorm_mode_16_64 3
		.amdhsa_dx10_clamp 1
		.amdhsa_ieee_mode 1
		.amdhsa_fp16_overflow 0
		.amdhsa_workgroup_processor_mode 1
		.amdhsa_memory_ordered 1
		.amdhsa_forward_progress 1
		.amdhsa_shared_vgpr_count 0
		.amdhsa_exception_fp_ieee_invalid_op 0
		.amdhsa_exception_fp_denorm_src 0
		.amdhsa_exception_fp_ieee_div_zero 0
		.amdhsa_exception_fp_ieee_overflow 0
		.amdhsa_exception_fp_ieee_underflow 0
		.amdhsa_exception_fp_ieee_inexact 0
		.amdhsa_exception_int_div_zero 0
	.end_amdhsa_kernel
	.section	.text._ZN2at6native12_GLOBAL__N_130CatArrayBatchedCopy_vectorizedINS1_10OpaqueTypeILj1EEEjLi1ELi64ELi64ELi16ELi16EEEvPcNS1_25CatArrInputTensorMetadataIT_T0_XT2_EXT3_EEENS1_16TensorSizeStrideIS8_Lj4EEEiS8_,"axG",@progbits,_ZN2at6native12_GLOBAL__N_130CatArrayBatchedCopy_vectorizedINS1_10OpaqueTypeILj1EEEjLi1ELi64ELi64ELi16ELi16EEEvPcNS1_25CatArrInputTensorMetadataIT_T0_XT2_EXT3_EEENS1_16TensorSizeStrideIS8_Lj4EEEiS8_,comdat
.Lfunc_end100:
	.size	_ZN2at6native12_GLOBAL__N_130CatArrayBatchedCopy_vectorizedINS1_10OpaqueTypeILj1EEEjLi1ELi64ELi64ELi16ELi16EEEvPcNS1_25CatArrInputTensorMetadataIT_T0_XT2_EXT3_EEENS1_16TensorSizeStrideIS8_Lj4EEEiS8_, .Lfunc_end100-_ZN2at6native12_GLOBAL__N_130CatArrayBatchedCopy_vectorizedINS1_10OpaqueTypeILj1EEEjLi1ELi64ELi64ELi16ELi16EEEvPcNS1_25CatArrInputTensorMetadataIT_T0_XT2_EXT3_EEENS1_16TensorSizeStrideIS8_Lj4EEEiS8_
                                        ; -- End function
	.set _ZN2at6native12_GLOBAL__N_130CatArrayBatchedCopy_vectorizedINS1_10OpaqueTypeILj1EEEjLi1ELi64ELi64ELi16ELi16EEEvPcNS1_25CatArrInputTensorMetadataIT_T0_XT2_EXT3_EEENS1_16TensorSizeStrideIS8_Lj4EEEiS8_.num_vgpr, 10
	.set _ZN2at6native12_GLOBAL__N_130CatArrayBatchedCopy_vectorizedINS1_10OpaqueTypeILj1EEEjLi1ELi64ELi64ELi16ELi16EEEvPcNS1_25CatArrInputTensorMetadataIT_T0_XT2_EXT3_EEENS1_16TensorSizeStrideIS8_Lj4EEEiS8_.num_agpr, 0
	.set _ZN2at6native12_GLOBAL__N_130CatArrayBatchedCopy_vectorizedINS1_10OpaqueTypeILj1EEEjLi1ELi64ELi64ELi16ELi16EEEvPcNS1_25CatArrInputTensorMetadataIT_T0_XT2_EXT3_EEENS1_16TensorSizeStrideIS8_Lj4EEEiS8_.numbered_sgpr, 14
	.set _ZN2at6native12_GLOBAL__N_130CatArrayBatchedCopy_vectorizedINS1_10OpaqueTypeILj1EEEjLi1ELi64ELi64ELi16ELi16EEEvPcNS1_25CatArrInputTensorMetadataIT_T0_XT2_EXT3_EEENS1_16TensorSizeStrideIS8_Lj4EEEiS8_.num_named_barrier, 0
	.set _ZN2at6native12_GLOBAL__N_130CatArrayBatchedCopy_vectorizedINS1_10OpaqueTypeILj1EEEjLi1ELi64ELi64ELi16ELi16EEEvPcNS1_25CatArrInputTensorMetadataIT_T0_XT2_EXT3_EEENS1_16TensorSizeStrideIS8_Lj4EEEiS8_.private_seg_size, 0
	.set _ZN2at6native12_GLOBAL__N_130CatArrayBatchedCopy_vectorizedINS1_10OpaqueTypeILj1EEEjLi1ELi64ELi64ELi16ELi16EEEvPcNS1_25CatArrInputTensorMetadataIT_T0_XT2_EXT3_EEENS1_16TensorSizeStrideIS8_Lj4EEEiS8_.uses_vcc, 1
	.set _ZN2at6native12_GLOBAL__N_130CatArrayBatchedCopy_vectorizedINS1_10OpaqueTypeILj1EEEjLi1ELi64ELi64ELi16ELi16EEEvPcNS1_25CatArrInputTensorMetadataIT_T0_XT2_EXT3_EEENS1_16TensorSizeStrideIS8_Lj4EEEiS8_.uses_flat_scratch, 0
	.set _ZN2at6native12_GLOBAL__N_130CatArrayBatchedCopy_vectorizedINS1_10OpaqueTypeILj1EEEjLi1ELi64ELi64ELi16ELi16EEEvPcNS1_25CatArrInputTensorMetadataIT_T0_XT2_EXT3_EEENS1_16TensorSizeStrideIS8_Lj4EEEiS8_.has_dyn_sized_stack, 0
	.set _ZN2at6native12_GLOBAL__N_130CatArrayBatchedCopy_vectorizedINS1_10OpaqueTypeILj1EEEjLi1ELi64ELi64ELi16ELi16EEEvPcNS1_25CatArrInputTensorMetadataIT_T0_XT2_EXT3_EEENS1_16TensorSizeStrideIS8_Lj4EEEiS8_.has_recursion, 0
	.set _ZN2at6native12_GLOBAL__N_130CatArrayBatchedCopy_vectorizedINS1_10OpaqueTypeILj1EEEjLi1ELi64ELi64ELi16ELi16EEEvPcNS1_25CatArrInputTensorMetadataIT_T0_XT2_EXT3_EEENS1_16TensorSizeStrideIS8_Lj4EEEiS8_.has_indirect_call, 0
	.section	.AMDGPU.csdata,"",@progbits
; Kernel info:
; codeLenInByte = 360
; TotalNumSgprs: 16
; NumVgprs: 10
; ScratchSize: 0
; MemoryBound: 0
; FloatMode: 240
; IeeeMode: 1
; LDSByteSize: 0 bytes/workgroup (compile time only)
; SGPRBlocks: 0
; VGPRBlocks: 1
; NumSGPRsForWavesPerEU: 16
; NumVGPRsForWavesPerEU: 10
; Occupancy: 16
; WaveLimiterHint : 1
; COMPUTE_PGM_RSRC2:SCRATCH_EN: 0
; COMPUTE_PGM_RSRC2:USER_SGPR: 6
; COMPUTE_PGM_RSRC2:TRAP_HANDLER: 0
; COMPUTE_PGM_RSRC2:TGID_X_EN: 1
; COMPUTE_PGM_RSRC2:TGID_Y_EN: 1
; COMPUTE_PGM_RSRC2:TGID_Z_EN: 0
; COMPUTE_PGM_RSRC2:TIDIG_COMP_CNT: 0
	.section	.text._ZN2at6native12_GLOBAL__N_135CatArrayBatchedCopy_alignedK_contigINS1_10OpaqueTypeILj1EEEjLi1ELi64ELi64ELi16EEEvPT_NS1_25CatArrInputTensorMetadataIS5_T0_XT2_EXT3_EEENS1_16TensorSizeStrideIS8_Lj4EEEiS8_,"axG",@progbits,_ZN2at6native12_GLOBAL__N_135CatArrayBatchedCopy_alignedK_contigINS1_10OpaqueTypeILj1EEEjLi1ELi64ELi64ELi16EEEvPT_NS1_25CatArrInputTensorMetadataIS5_T0_XT2_EXT3_EEENS1_16TensorSizeStrideIS8_Lj4EEEiS8_,comdat
	.globl	_ZN2at6native12_GLOBAL__N_135CatArrayBatchedCopy_alignedK_contigINS1_10OpaqueTypeILj1EEEjLi1ELi64ELi64ELi16EEEvPT_NS1_25CatArrInputTensorMetadataIS5_T0_XT2_EXT3_EEENS1_16TensorSizeStrideIS8_Lj4EEEiS8_ ; -- Begin function _ZN2at6native12_GLOBAL__N_135CatArrayBatchedCopy_alignedK_contigINS1_10OpaqueTypeILj1EEEjLi1ELi64ELi64ELi16EEEvPT_NS1_25CatArrInputTensorMetadataIS5_T0_XT2_EXT3_EEENS1_16TensorSizeStrideIS8_Lj4EEEiS8_
	.p2align	8
	.type	_ZN2at6native12_GLOBAL__N_135CatArrayBatchedCopy_alignedK_contigINS1_10OpaqueTypeILj1EEEjLi1ELi64ELi64ELi16EEEvPT_NS1_25CatArrInputTensorMetadataIS5_T0_XT2_EXT3_EEENS1_16TensorSizeStrideIS8_Lj4EEEiS8_,@function
_ZN2at6native12_GLOBAL__N_135CatArrayBatchedCopy_alignedK_contigINS1_10OpaqueTypeILj1EEEjLi1ELi64ELi64ELi16EEEvPT_NS1_25CatArrInputTensorMetadataIS5_T0_XT2_EXT3_EEENS1_16TensorSizeStrideIS8_Lj4EEEiS8_: ; @_ZN2at6native12_GLOBAL__N_135CatArrayBatchedCopy_alignedK_contigINS1_10OpaqueTypeILj1EEEjLi1ELi64ELi64ELi16EEEvPT_NS1_25CatArrInputTensorMetadataIS5_T0_XT2_EXT3_EEENS1_16TensorSizeStrideIS8_Lj4EEEiS8_
; %bb.0:
	s_load_dword s2, s[4:5], 0xd7c
	s_mov_b32 s0, s7
	s_mov_b32 s1, 0
	s_add_u32 s8, s4, 0xd70
	s_addc_u32 s9, s5, 0
	s_lshl_b64 s[0:1], s[0:1], 2
	s_waitcnt lgkmcnt(0)
	s_and_b32 s10, s2, 0xffff
	s_add_u32 s2, s4, s0
	s_addc_u32 s3, s5, s1
	v_mad_u64_u32 v[2:3], null, s6, s10, v[0:1]
	s_load_dword s7, s[2:3], 0x408
	s_add_u32 s2, s2, 8
	s_addc_u32 s3, s3, 0
	s_mov_b32 s6, exec_lo
	v_lshlrev_b32_e32 v3, 4, v2
	s_waitcnt lgkmcnt(0)
	v_cmpx_gt_u32_e64 s7, v3
	s_cbranch_execz .LBB101_8
; %bb.1:
	s_add_u32 s2, s2, s0
	s_addc_u32 s3, s3, s1
	s_sub_u32 s0, 0, s0
	s_subb_u32 s1, 0, s1
	s_add_u32 s0, s2, s0
	s_addc_u32 s1, s3, s1
	v_add_nc_u32_e32 v0, 16, v3
	s_clause 0x4
	s_load_dword s6, s[0:1], 0x200
	s_load_dwordx2 s[0:1], s[4:5], 0x0
	s_load_dword s11, s[4:5], 0xd6c
	s_load_dwordx2 s[2:3], s[2:3], 0x0
	s_load_dword s4, s[4:5], 0xd58
	s_mov_b32 s5, exec_lo
	s_waitcnt lgkmcnt(0)
	s_mul_i32 s6, s6, s11
	v_cmpx_ge_u32_e64 s7, v0
	s_cbranch_execz .LBB101_5
; %bb.2:
	s_load_dword s8, s[8:9], 0x0
	v_mad_u64_u32 v[0:1], null, s4, v3, s[4:5]
	v_add_nc_u32_e32 v1, 2, v3
	v_add_nc_u32_e32 v4, 3, v3
	;; [unrolled: 1-line block ×14, first 2 shown]
	v_mul_lo_u32 v17, s4, v2
	v_mul_lo_u32 v1, s4, v1
	;; [unrolled: 1-line block ×15, first 2 shown]
	s_waitcnt lgkmcnt(0)
	s_mul_i32 s9, s8, s10
	v_lshlrev_b32_e32 v16, 4, v17
	s_lshl_b32 s8, s9, 4
	s_mul_i32 s9, s9, s4
	s_mov_b32 s11, s6
	s_lshl_b32 s10, s9, 4
	s_mov_b32 s9, 0
.LBB101_3:                              ; =>This Inner Loop Header: Depth=1
	global_load_dwordx4 v[17:20], v3, s[2:3]
	v_add_nc_u32_e32 v3, s8, v3
	v_add_nc_u32_e32 v21, s11, v16
	;; [unrolled: 1-line block ×10, first 2 shown]
	v_cmp_lt_u32_e32 vcc_lo, s7, v37
	v_add_nc_u32_e32 v29, s11, v9
	v_add_nc_u32_e32 v30, s11, v10
	;; [unrolled: 1-line block ×8, first 2 shown]
	s_add_i32 s11, s11, s10
	s_or_b32 s9, vcc_lo, s9
	s_waitcnt vmcnt(0)
	v_lshrrev_b32_e32 v37, 8, v17
	v_lshrrev_b32_e32 v38, 24, v17
	;; [unrolled: 1-line block ×8, first 2 shown]
	global_store_byte v21, v17, s[0:1]
	global_store_byte v22, v37, s[0:1]
	global_store_byte_d16_hi v23, v17, s[0:1]
	global_store_byte v24, v38, s[0:1]
	global_store_byte v25, v18, s[0:1]
	global_store_byte v26, v39, s[0:1]
	global_store_byte_d16_hi v27, v18, s[0:1]
	global_store_byte v28, v40, s[0:1]
	;; [unrolled: 4-line block ×4, first 2 shown]
	s_andn2_b32 exec_lo, exec_lo, s9
	s_cbranch_execnz .LBB101_3
; %bb.4:
	s_or_b32 exec_lo, exec_lo, s9
.LBB101_5:
	s_or_b32 exec_lo, exec_lo, s5
	v_cmp_gt_u32_e32 vcc_lo, s7, v3
	s_and_b32 exec_lo, exec_lo, vcc_lo
	s_cbranch_execz .LBB101_8
; %bb.6:
	v_mad_u64_u32 v[0:1], null, v3, s4, s[6:7]
	v_mov_b32_e32 v1, 0
	s_mov_b32 s5, 0
	.p2align	6
.LBB101_7:                              ; =>This Inner Loop Header: Depth=1
	v_add_co_u32 v4, vcc_lo, s2, v3
	v_add_co_ci_u32_e64 v5, null, s3, v1, vcc_lo
	v_add_co_u32 v3, vcc_lo, v3, 1
	v_add_co_ci_u32_e64 v1, null, 0, v1, vcc_lo
	global_load_ubyte v2, v[4:5], off
	v_cmp_le_u32_e32 vcc_lo, s7, v3
	s_or_b32 s5, vcc_lo, s5
	s_waitcnt vmcnt(0)
	global_store_byte v0, v2, s[0:1]
	v_add_nc_u32_e32 v0, s4, v0
	s_andn2_b32 exec_lo, exec_lo, s5
	s_cbranch_execnz .LBB101_7
.LBB101_8:
	s_endpgm
	.section	.rodata,"a",@progbits
	.p2align	6, 0x0
	.amdhsa_kernel _ZN2at6native12_GLOBAL__N_135CatArrayBatchedCopy_alignedK_contigINS1_10OpaqueTypeILj1EEEjLi1ELi64ELi64ELi16EEEvPT_NS1_25CatArrInputTensorMetadataIS5_T0_XT2_EXT3_EEENS1_16TensorSizeStrideIS8_Lj4EEEiS8_
		.amdhsa_group_segment_fixed_size 0
		.amdhsa_private_segment_fixed_size 0
		.amdhsa_kernarg_size 3696
		.amdhsa_user_sgpr_count 6
		.amdhsa_user_sgpr_private_segment_buffer 1
		.amdhsa_user_sgpr_dispatch_ptr 0
		.amdhsa_user_sgpr_queue_ptr 0
		.amdhsa_user_sgpr_kernarg_segment_ptr 1
		.amdhsa_user_sgpr_dispatch_id 0
		.amdhsa_user_sgpr_flat_scratch_init 0
		.amdhsa_user_sgpr_private_segment_size 0
		.amdhsa_wavefront_size32 1
		.amdhsa_uses_dynamic_stack 0
		.amdhsa_system_sgpr_private_segment_wavefront_offset 0
		.amdhsa_system_sgpr_workgroup_id_x 1
		.amdhsa_system_sgpr_workgroup_id_y 1
		.amdhsa_system_sgpr_workgroup_id_z 0
		.amdhsa_system_sgpr_workgroup_info 0
		.amdhsa_system_vgpr_workitem_id 0
		.amdhsa_next_free_vgpr 45
		.amdhsa_next_free_sgpr 12
		.amdhsa_reserve_vcc 1
		.amdhsa_reserve_flat_scratch 0
		.amdhsa_float_round_mode_32 0
		.amdhsa_float_round_mode_16_64 0
		.amdhsa_float_denorm_mode_32 3
		.amdhsa_float_denorm_mode_16_64 3
		.amdhsa_dx10_clamp 1
		.amdhsa_ieee_mode 1
		.amdhsa_fp16_overflow 0
		.amdhsa_workgroup_processor_mode 1
		.amdhsa_memory_ordered 1
		.amdhsa_forward_progress 1
		.amdhsa_shared_vgpr_count 0
		.amdhsa_exception_fp_ieee_invalid_op 0
		.amdhsa_exception_fp_denorm_src 0
		.amdhsa_exception_fp_ieee_div_zero 0
		.amdhsa_exception_fp_ieee_overflow 0
		.amdhsa_exception_fp_ieee_underflow 0
		.amdhsa_exception_fp_ieee_inexact 0
		.amdhsa_exception_int_div_zero 0
	.end_amdhsa_kernel
	.section	.text._ZN2at6native12_GLOBAL__N_135CatArrayBatchedCopy_alignedK_contigINS1_10OpaqueTypeILj1EEEjLi1ELi64ELi64ELi16EEEvPT_NS1_25CatArrInputTensorMetadataIS5_T0_XT2_EXT3_EEENS1_16TensorSizeStrideIS8_Lj4EEEiS8_,"axG",@progbits,_ZN2at6native12_GLOBAL__N_135CatArrayBatchedCopy_alignedK_contigINS1_10OpaqueTypeILj1EEEjLi1ELi64ELi64ELi16EEEvPT_NS1_25CatArrInputTensorMetadataIS5_T0_XT2_EXT3_EEENS1_16TensorSizeStrideIS8_Lj4EEEiS8_,comdat
.Lfunc_end101:
	.size	_ZN2at6native12_GLOBAL__N_135CatArrayBatchedCopy_alignedK_contigINS1_10OpaqueTypeILj1EEEjLi1ELi64ELi64ELi16EEEvPT_NS1_25CatArrInputTensorMetadataIS5_T0_XT2_EXT3_EEENS1_16TensorSizeStrideIS8_Lj4EEEiS8_, .Lfunc_end101-_ZN2at6native12_GLOBAL__N_135CatArrayBatchedCopy_alignedK_contigINS1_10OpaqueTypeILj1EEEjLi1ELi64ELi64ELi16EEEvPT_NS1_25CatArrInputTensorMetadataIS5_T0_XT2_EXT3_EEENS1_16TensorSizeStrideIS8_Lj4EEEiS8_
                                        ; -- End function
	.set _ZN2at6native12_GLOBAL__N_135CatArrayBatchedCopy_alignedK_contigINS1_10OpaqueTypeILj1EEEjLi1ELi64ELi64ELi16EEEvPT_NS1_25CatArrInputTensorMetadataIS5_T0_XT2_EXT3_EEENS1_16TensorSizeStrideIS8_Lj4EEEiS8_.num_vgpr, 45
	.set _ZN2at6native12_GLOBAL__N_135CatArrayBatchedCopy_alignedK_contigINS1_10OpaqueTypeILj1EEEjLi1ELi64ELi64ELi16EEEvPT_NS1_25CatArrInputTensorMetadataIS5_T0_XT2_EXT3_EEENS1_16TensorSizeStrideIS8_Lj4EEEiS8_.num_agpr, 0
	.set _ZN2at6native12_GLOBAL__N_135CatArrayBatchedCopy_alignedK_contigINS1_10OpaqueTypeILj1EEEjLi1ELi64ELi64ELi16EEEvPT_NS1_25CatArrInputTensorMetadataIS5_T0_XT2_EXT3_EEENS1_16TensorSizeStrideIS8_Lj4EEEiS8_.numbered_sgpr, 12
	.set _ZN2at6native12_GLOBAL__N_135CatArrayBatchedCopy_alignedK_contigINS1_10OpaqueTypeILj1EEEjLi1ELi64ELi64ELi16EEEvPT_NS1_25CatArrInputTensorMetadataIS5_T0_XT2_EXT3_EEENS1_16TensorSizeStrideIS8_Lj4EEEiS8_.num_named_barrier, 0
	.set _ZN2at6native12_GLOBAL__N_135CatArrayBatchedCopy_alignedK_contigINS1_10OpaqueTypeILj1EEEjLi1ELi64ELi64ELi16EEEvPT_NS1_25CatArrInputTensorMetadataIS5_T0_XT2_EXT3_EEENS1_16TensorSizeStrideIS8_Lj4EEEiS8_.private_seg_size, 0
	.set _ZN2at6native12_GLOBAL__N_135CatArrayBatchedCopy_alignedK_contigINS1_10OpaqueTypeILj1EEEjLi1ELi64ELi64ELi16EEEvPT_NS1_25CatArrInputTensorMetadataIS5_T0_XT2_EXT3_EEENS1_16TensorSizeStrideIS8_Lj4EEEiS8_.uses_vcc, 1
	.set _ZN2at6native12_GLOBAL__N_135CatArrayBatchedCopy_alignedK_contigINS1_10OpaqueTypeILj1EEEjLi1ELi64ELi64ELi16EEEvPT_NS1_25CatArrInputTensorMetadataIS5_T0_XT2_EXT3_EEENS1_16TensorSizeStrideIS8_Lj4EEEiS8_.uses_flat_scratch, 0
	.set _ZN2at6native12_GLOBAL__N_135CatArrayBatchedCopy_alignedK_contigINS1_10OpaqueTypeILj1EEEjLi1ELi64ELi64ELi16EEEvPT_NS1_25CatArrInputTensorMetadataIS5_T0_XT2_EXT3_EEENS1_16TensorSizeStrideIS8_Lj4EEEiS8_.has_dyn_sized_stack, 0
	.set _ZN2at6native12_GLOBAL__N_135CatArrayBatchedCopy_alignedK_contigINS1_10OpaqueTypeILj1EEEjLi1ELi64ELi64ELi16EEEvPT_NS1_25CatArrInputTensorMetadataIS5_T0_XT2_EXT3_EEENS1_16TensorSizeStrideIS8_Lj4EEEiS8_.has_recursion, 0
	.set _ZN2at6native12_GLOBAL__N_135CatArrayBatchedCopy_alignedK_contigINS1_10OpaqueTypeILj1EEEjLi1ELi64ELi64ELi16EEEvPT_NS1_25CatArrInputTensorMetadataIS5_T0_XT2_EXT3_EEENS1_16TensorSizeStrideIS8_Lj4EEEiS8_.has_indirect_call, 0
	.section	.AMDGPU.csdata,"",@progbits
; Kernel info:
; codeLenInByte = 844
; TotalNumSgprs: 14
; NumVgprs: 45
; ScratchSize: 0
; MemoryBound: 0
; FloatMode: 240
; IeeeMode: 1
; LDSByteSize: 0 bytes/workgroup (compile time only)
; SGPRBlocks: 0
; VGPRBlocks: 5
; NumSGPRsForWavesPerEU: 14
; NumVGPRsForWavesPerEU: 45
; Occupancy: 16
; WaveLimiterHint : 1
; COMPUTE_PGM_RSRC2:SCRATCH_EN: 0
; COMPUTE_PGM_RSRC2:USER_SGPR: 6
; COMPUTE_PGM_RSRC2:TRAP_HANDLER: 0
; COMPUTE_PGM_RSRC2:TGID_X_EN: 1
; COMPUTE_PGM_RSRC2:TGID_Y_EN: 1
; COMPUTE_PGM_RSRC2:TGID_Z_EN: 0
; COMPUTE_PGM_RSRC2:TIDIG_COMP_CNT: 0
	.section	.text._ZN2at6native12_GLOBAL__N_135CatArrayBatchedCopy_alignedK_contigINS1_10OpaqueTypeILj1EEEjLi1ELi64ELi64ELi8EEEvPT_NS1_25CatArrInputTensorMetadataIS5_T0_XT2_EXT3_EEENS1_16TensorSizeStrideIS8_Lj4EEEiS8_,"axG",@progbits,_ZN2at6native12_GLOBAL__N_135CatArrayBatchedCopy_alignedK_contigINS1_10OpaqueTypeILj1EEEjLi1ELi64ELi64ELi8EEEvPT_NS1_25CatArrInputTensorMetadataIS5_T0_XT2_EXT3_EEENS1_16TensorSizeStrideIS8_Lj4EEEiS8_,comdat
	.globl	_ZN2at6native12_GLOBAL__N_135CatArrayBatchedCopy_alignedK_contigINS1_10OpaqueTypeILj1EEEjLi1ELi64ELi64ELi8EEEvPT_NS1_25CatArrInputTensorMetadataIS5_T0_XT2_EXT3_EEENS1_16TensorSizeStrideIS8_Lj4EEEiS8_ ; -- Begin function _ZN2at6native12_GLOBAL__N_135CatArrayBatchedCopy_alignedK_contigINS1_10OpaqueTypeILj1EEEjLi1ELi64ELi64ELi8EEEvPT_NS1_25CatArrInputTensorMetadataIS5_T0_XT2_EXT3_EEENS1_16TensorSizeStrideIS8_Lj4EEEiS8_
	.p2align	8
	.type	_ZN2at6native12_GLOBAL__N_135CatArrayBatchedCopy_alignedK_contigINS1_10OpaqueTypeILj1EEEjLi1ELi64ELi64ELi8EEEvPT_NS1_25CatArrInputTensorMetadataIS5_T0_XT2_EXT3_EEENS1_16TensorSizeStrideIS8_Lj4EEEiS8_,@function
_ZN2at6native12_GLOBAL__N_135CatArrayBatchedCopy_alignedK_contigINS1_10OpaqueTypeILj1EEEjLi1ELi64ELi64ELi8EEEvPT_NS1_25CatArrInputTensorMetadataIS5_T0_XT2_EXT3_EEENS1_16TensorSizeStrideIS8_Lj4EEEiS8_: ; @_ZN2at6native12_GLOBAL__N_135CatArrayBatchedCopy_alignedK_contigINS1_10OpaqueTypeILj1EEEjLi1ELi64ELi64ELi8EEEvPT_NS1_25CatArrInputTensorMetadataIS5_T0_XT2_EXT3_EEENS1_16TensorSizeStrideIS8_Lj4EEEiS8_
; %bb.0:
	s_load_dword s2, s[4:5], 0xd7c
	s_mov_b32 s0, s7
	s_mov_b32 s1, 0
	s_add_u32 s8, s4, 0xd70
	s_addc_u32 s9, s5, 0
	s_lshl_b64 s[0:1], s[0:1], 2
	s_waitcnt lgkmcnt(0)
	s_and_b32 s10, s2, 0xffff
	s_add_u32 s2, s4, s0
	s_addc_u32 s3, s5, s1
	v_mad_u64_u32 v[2:3], null, s6, s10, v[0:1]
	s_load_dword s7, s[2:3], 0x408
	s_add_u32 s2, s2, 8
	s_addc_u32 s3, s3, 0
	s_mov_b32 s6, exec_lo
	v_lshlrev_b32_e32 v3, 3, v2
	s_waitcnt lgkmcnt(0)
	v_cmpx_gt_u32_e64 s7, v3
	s_cbranch_execz .LBB102_8
; %bb.1:
	s_add_u32 s2, s2, s0
	s_addc_u32 s3, s3, s1
	s_sub_u32 s0, 0, s0
	s_subb_u32 s1, 0, s1
	s_add_u32 s0, s2, s0
	s_addc_u32 s1, s3, s1
	v_add_nc_u32_e32 v0, 8, v3
	s_clause 0x4
	s_load_dword s6, s[0:1], 0x200
	s_load_dwordx2 s[0:1], s[4:5], 0x0
	s_load_dword s11, s[4:5], 0xd6c
	s_load_dwordx2 s[2:3], s[2:3], 0x0
	s_load_dword s4, s[4:5], 0xd58
	s_mov_b32 s5, exec_lo
	s_waitcnt lgkmcnt(0)
	s_mul_i32 s6, s6, s11
	v_cmpx_ge_u32_e64 s7, v0
	s_cbranch_execz .LBB102_5
; %bb.2:
	s_load_dword s9, s[8:9], 0x0
	v_mad_u64_u32 v[0:1], null, s4, v3, s[4:5]
	v_add_nc_u32_e32 v1, 2, v3
	v_add_nc_u32_e32 v4, 3, v3
	;; [unrolled: 1-line block ×6, first 2 shown]
	v_mul_lo_u32 v9, s4, v2
	v_mul_lo_u32 v1, s4, v1
	;; [unrolled: 1-line block ×7, first 2 shown]
	s_mov_b32 s8, 0
	v_lshlrev_b32_e32 v8, 3, v9
	s_mov_b32 s11, s6
	s_waitcnt lgkmcnt(0)
	s_mul_i32 s9, s9, s10
	s_mul_i32 s10, s9, s4
	s_lshl_b32 s9, s9, 3
	s_lshl_b32 s10, s10, 3
	s_inst_prefetch 0x1
	.p2align	6
.LBB102_3:                              ; =>This Inner Loop Header: Depth=1
	global_load_dwordx2 v[9:10], v3, s[2:3]
	v_add_nc_u32_e32 v3, s9, v3
	v_add_nc_u32_e32 v11, s11, v8
	;; [unrolled: 1-line block ×10, first 2 shown]
	v_cmp_lt_u32_e32 vcc_lo, s7, v19
	s_add_i32 s11, s11, s10
	s_or_b32 s8, vcc_lo, s8
	s_waitcnt vmcnt(0)
	v_lshrrev_b32_e32 v19, 8, v9
	v_lshrrev_b32_e32 v20, 24, v9
	;; [unrolled: 1-line block ×4, first 2 shown]
	global_store_byte v11, v9, s[0:1]
	global_store_byte v12, v19, s[0:1]
	global_store_byte_d16_hi v13, v9, s[0:1]
	global_store_byte v14, v20, s[0:1]
	global_store_byte v15, v10, s[0:1]
	;; [unrolled: 1-line block ×3, first 2 shown]
	global_store_byte_d16_hi v17, v10, s[0:1]
	global_store_byte v18, v22, s[0:1]
	s_andn2_b32 exec_lo, exec_lo, s8
	s_cbranch_execnz .LBB102_3
; %bb.4:
	s_inst_prefetch 0x2
	s_or_b32 exec_lo, exec_lo, s8
.LBB102_5:
	s_or_b32 exec_lo, exec_lo, s5
	v_cmp_gt_u32_e32 vcc_lo, s7, v3
	s_and_b32 exec_lo, exec_lo, vcc_lo
	s_cbranch_execz .LBB102_8
; %bb.6:
	v_mad_u64_u32 v[0:1], null, v3, s4, s[6:7]
	v_mov_b32_e32 v1, 0
	s_mov_b32 s5, 0
	.p2align	6
.LBB102_7:                              ; =>This Inner Loop Header: Depth=1
	v_add_co_u32 v4, vcc_lo, s2, v3
	v_add_co_ci_u32_e64 v5, null, s3, v1, vcc_lo
	v_add_co_u32 v3, vcc_lo, v3, 1
	v_add_co_ci_u32_e64 v1, null, 0, v1, vcc_lo
	global_load_ubyte v2, v[4:5], off
	v_cmp_le_u32_e32 vcc_lo, s7, v3
	s_or_b32 s5, vcc_lo, s5
	s_waitcnt vmcnt(0)
	global_store_byte v0, v2, s[0:1]
	v_add_nc_u32_e32 v0, s4, v0
	s_andn2_b32 exec_lo, exec_lo, s5
	s_cbranch_execnz .LBB102_7
.LBB102_8:
	s_endpgm
	.section	.rodata,"a",@progbits
	.p2align	6, 0x0
	.amdhsa_kernel _ZN2at6native12_GLOBAL__N_135CatArrayBatchedCopy_alignedK_contigINS1_10OpaqueTypeILj1EEEjLi1ELi64ELi64ELi8EEEvPT_NS1_25CatArrInputTensorMetadataIS5_T0_XT2_EXT3_EEENS1_16TensorSizeStrideIS8_Lj4EEEiS8_
		.amdhsa_group_segment_fixed_size 0
		.amdhsa_private_segment_fixed_size 0
		.amdhsa_kernarg_size 3696
		.amdhsa_user_sgpr_count 6
		.amdhsa_user_sgpr_private_segment_buffer 1
		.amdhsa_user_sgpr_dispatch_ptr 0
		.amdhsa_user_sgpr_queue_ptr 0
		.amdhsa_user_sgpr_kernarg_segment_ptr 1
		.amdhsa_user_sgpr_dispatch_id 0
		.amdhsa_user_sgpr_flat_scratch_init 0
		.amdhsa_user_sgpr_private_segment_size 0
		.amdhsa_wavefront_size32 1
		.amdhsa_uses_dynamic_stack 0
		.amdhsa_system_sgpr_private_segment_wavefront_offset 0
		.amdhsa_system_sgpr_workgroup_id_x 1
		.amdhsa_system_sgpr_workgroup_id_y 1
		.amdhsa_system_sgpr_workgroup_id_z 0
		.amdhsa_system_sgpr_workgroup_info 0
		.amdhsa_system_vgpr_workitem_id 0
		.amdhsa_next_free_vgpr 23
		.amdhsa_next_free_sgpr 12
		.amdhsa_reserve_vcc 1
		.amdhsa_reserve_flat_scratch 0
		.amdhsa_float_round_mode_32 0
		.amdhsa_float_round_mode_16_64 0
		.amdhsa_float_denorm_mode_32 3
		.amdhsa_float_denorm_mode_16_64 3
		.amdhsa_dx10_clamp 1
		.amdhsa_ieee_mode 1
		.amdhsa_fp16_overflow 0
		.amdhsa_workgroup_processor_mode 1
		.amdhsa_memory_ordered 1
		.amdhsa_forward_progress 1
		.amdhsa_shared_vgpr_count 0
		.amdhsa_exception_fp_ieee_invalid_op 0
		.amdhsa_exception_fp_denorm_src 0
		.amdhsa_exception_fp_ieee_div_zero 0
		.amdhsa_exception_fp_ieee_overflow 0
		.amdhsa_exception_fp_ieee_underflow 0
		.amdhsa_exception_fp_ieee_inexact 0
		.amdhsa_exception_int_div_zero 0
	.end_amdhsa_kernel
	.section	.text._ZN2at6native12_GLOBAL__N_135CatArrayBatchedCopy_alignedK_contigINS1_10OpaqueTypeILj1EEEjLi1ELi64ELi64ELi8EEEvPT_NS1_25CatArrInputTensorMetadataIS5_T0_XT2_EXT3_EEENS1_16TensorSizeStrideIS8_Lj4EEEiS8_,"axG",@progbits,_ZN2at6native12_GLOBAL__N_135CatArrayBatchedCopy_alignedK_contigINS1_10OpaqueTypeILj1EEEjLi1ELi64ELi64ELi8EEEvPT_NS1_25CatArrInputTensorMetadataIS5_T0_XT2_EXT3_EEENS1_16TensorSizeStrideIS8_Lj4EEEiS8_,comdat
.Lfunc_end102:
	.size	_ZN2at6native12_GLOBAL__N_135CatArrayBatchedCopy_alignedK_contigINS1_10OpaqueTypeILj1EEEjLi1ELi64ELi64ELi8EEEvPT_NS1_25CatArrInputTensorMetadataIS5_T0_XT2_EXT3_EEENS1_16TensorSizeStrideIS8_Lj4EEEiS8_, .Lfunc_end102-_ZN2at6native12_GLOBAL__N_135CatArrayBatchedCopy_alignedK_contigINS1_10OpaqueTypeILj1EEEjLi1ELi64ELi64ELi8EEEvPT_NS1_25CatArrInputTensorMetadataIS5_T0_XT2_EXT3_EEENS1_16TensorSizeStrideIS8_Lj4EEEiS8_
                                        ; -- End function
	.set _ZN2at6native12_GLOBAL__N_135CatArrayBatchedCopy_alignedK_contigINS1_10OpaqueTypeILj1EEEjLi1ELi64ELi64ELi8EEEvPT_NS1_25CatArrInputTensorMetadataIS5_T0_XT2_EXT3_EEENS1_16TensorSizeStrideIS8_Lj4EEEiS8_.num_vgpr, 23
	.set _ZN2at6native12_GLOBAL__N_135CatArrayBatchedCopy_alignedK_contigINS1_10OpaqueTypeILj1EEEjLi1ELi64ELi64ELi8EEEvPT_NS1_25CatArrInputTensorMetadataIS5_T0_XT2_EXT3_EEENS1_16TensorSizeStrideIS8_Lj4EEEiS8_.num_agpr, 0
	.set _ZN2at6native12_GLOBAL__N_135CatArrayBatchedCopy_alignedK_contigINS1_10OpaqueTypeILj1EEEjLi1ELi64ELi64ELi8EEEvPT_NS1_25CatArrInputTensorMetadataIS5_T0_XT2_EXT3_EEENS1_16TensorSizeStrideIS8_Lj4EEEiS8_.numbered_sgpr, 12
	.set _ZN2at6native12_GLOBAL__N_135CatArrayBatchedCopy_alignedK_contigINS1_10OpaqueTypeILj1EEEjLi1ELi64ELi64ELi8EEEvPT_NS1_25CatArrInputTensorMetadataIS5_T0_XT2_EXT3_EEENS1_16TensorSizeStrideIS8_Lj4EEEiS8_.num_named_barrier, 0
	.set _ZN2at6native12_GLOBAL__N_135CatArrayBatchedCopy_alignedK_contigINS1_10OpaqueTypeILj1EEEjLi1ELi64ELi64ELi8EEEvPT_NS1_25CatArrInputTensorMetadataIS5_T0_XT2_EXT3_EEENS1_16TensorSizeStrideIS8_Lj4EEEiS8_.private_seg_size, 0
	.set _ZN2at6native12_GLOBAL__N_135CatArrayBatchedCopy_alignedK_contigINS1_10OpaqueTypeILj1EEEjLi1ELi64ELi64ELi8EEEvPT_NS1_25CatArrInputTensorMetadataIS5_T0_XT2_EXT3_EEENS1_16TensorSizeStrideIS8_Lj4EEEiS8_.uses_vcc, 1
	.set _ZN2at6native12_GLOBAL__N_135CatArrayBatchedCopy_alignedK_contigINS1_10OpaqueTypeILj1EEEjLi1ELi64ELi64ELi8EEEvPT_NS1_25CatArrInputTensorMetadataIS5_T0_XT2_EXT3_EEENS1_16TensorSizeStrideIS8_Lj4EEEiS8_.uses_flat_scratch, 0
	.set _ZN2at6native12_GLOBAL__N_135CatArrayBatchedCopy_alignedK_contigINS1_10OpaqueTypeILj1EEEjLi1ELi64ELi64ELi8EEEvPT_NS1_25CatArrInputTensorMetadataIS5_T0_XT2_EXT3_EEENS1_16TensorSizeStrideIS8_Lj4EEEiS8_.has_dyn_sized_stack, 0
	.set _ZN2at6native12_GLOBAL__N_135CatArrayBatchedCopy_alignedK_contigINS1_10OpaqueTypeILj1EEEjLi1ELi64ELi64ELi8EEEvPT_NS1_25CatArrInputTensorMetadataIS5_T0_XT2_EXT3_EEENS1_16TensorSizeStrideIS8_Lj4EEEiS8_.has_recursion, 0
	.set _ZN2at6native12_GLOBAL__N_135CatArrayBatchedCopy_alignedK_contigINS1_10OpaqueTypeILj1EEEjLi1ELi64ELi64ELi8EEEvPT_NS1_25CatArrInputTensorMetadataIS5_T0_XT2_EXT3_EEENS1_16TensorSizeStrideIS8_Lj4EEEiS8_.has_indirect_call, 0
	.section	.AMDGPU.csdata,"",@progbits
; Kernel info:
; codeLenInByte = 652
; TotalNumSgprs: 14
; NumVgprs: 23
; ScratchSize: 0
; MemoryBound: 0
; FloatMode: 240
; IeeeMode: 1
; LDSByteSize: 0 bytes/workgroup (compile time only)
; SGPRBlocks: 0
; VGPRBlocks: 2
; NumSGPRsForWavesPerEU: 14
; NumVGPRsForWavesPerEU: 23
; Occupancy: 16
; WaveLimiterHint : 1
; COMPUTE_PGM_RSRC2:SCRATCH_EN: 0
; COMPUTE_PGM_RSRC2:USER_SGPR: 6
; COMPUTE_PGM_RSRC2:TRAP_HANDLER: 0
; COMPUTE_PGM_RSRC2:TGID_X_EN: 1
; COMPUTE_PGM_RSRC2:TGID_Y_EN: 1
; COMPUTE_PGM_RSRC2:TGID_Z_EN: 0
; COMPUTE_PGM_RSRC2:TIDIG_COMP_CNT: 0
	.section	.text._ZN2at6native12_GLOBAL__N_126CatArrayBatchedCopy_contigINS1_10OpaqueTypeILj1EEEjLi1ELi64ELi64EEEvPT_NS1_25CatArrInputTensorMetadataIS5_T0_XT2_EXT3_EEENS1_16TensorSizeStrideIS8_Lj4EEEiS8_,"axG",@progbits,_ZN2at6native12_GLOBAL__N_126CatArrayBatchedCopy_contigINS1_10OpaqueTypeILj1EEEjLi1ELi64ELi64EEEvPT_NS1_25CatArrInputTensorMetadataIS5_T0_XT2_EXT3_EEENS1_16TensorSizeStrideIS8_Lj4EEEiS8_,comdat
	.globl	_ZN2at6native12_GLOBAL__N_126CatArrayBatchedCopy_contigINS1_10OpaqueTypeILj1EEEjLi1ELi64ELi64EEEvPT_NS1_25CatArrInputTensorMetadataIS5_T0_XT2_EXT3_EEENS1_16TensorSizeStrideIS8_Lj4EEEiS8_ ; -- Begin function _ZN2at6native12_GLOBAL__N_126CatArrayBatchedCopy_contigINS1_10OpaqueTypeILj1EEEjLi1ELi64ELi64EEEvPT_NS1_25CatArrInputTensorMetadataIS5_T0_XT2_EXT3_EEENS1_16TensorSizeStrideIS8_Lj4EEEiS8_
	.p2align	8
	.type	_ZN2at6native12_GLOBAL__N_126CatArrayBatchedCopy_contigINS1_10OpaqueTypeILj1EEEjLi1ELi64ELi64EEEvPT_NS1_25CatArrInputTensorMetadataIS5_T0_XT2_EXT3_EEENS1_16TensorSizeStrideIS8_Lj4EEEiS8_,@function
_ZN2at6native12_GLOBAL__N_126CatArrayBatchedCopy_contigINS1_10OpaqueTypeILj1EEEjLi1ELi64ELi64EEEvPT_NS1_25CatArrInputTensorMetadataIS5_T0_XT2_EXT3_EEENS1_16TensorSizeStrideIS8_Lj4EEEiS8_: ; @_ZN2at6native12_GLOBAL__N_126CatArrayBatchedCopy_contigINS1_10OpaqueTypeILj1EEEjLi1ELi64ELi64EEEvPT_NS1_25CatArrInputTensorMetadataIS5_T0_XT2_EXT3_EEENS1_16TensorSizeStrideIS8_Lj4EEEiS8_
; %bb.0:
	s_mov_b32 s0, s7
	s_load_dword s7, s[4:5], 0xd7c
	s_mov_b32 s1, 0
	s_add_u32 s2, s4, 0xd70
	s_addc_u32 s3, s5, 0
	s_lshl_b64 s[8:9], s[0:1], 2
	s_mov_b32 s11, exec_lo
	s_waitcnt lgkmcnt(0)
	s_and_b32 s10, s7, 0xffff
	s_add_u32 s12, s4, s8
	s_addc_u32 s13, s5, s9
	v_mad_u64_u32 v[0:1], null, s6, s10, v[0:1]
	s_load_dword s0, s[12:13], 0x408
	s_add_u32 s6, s12, 8
	s_addc_u32 s7, s13, 0
	s_waitcnt lgkmcnt(0)
	v_cmpx_gt_u32_e64 s0, v0
	s_cbranch_execz .LBB103_3
; %bb.1:
	s_add_u32 s12, s6, s8
	s_addc_u32 s13, s7, s9
	s_sub_u32 s8, 0, s8
	s_clause 0x1
	s_load_dwordx2 s[6:7], s[12:13], 0x0
	s_load_dword s11, s[4:5], 0xd58
	s_subb_u32 s9, 0, s9
	s_add_u32 s8, s12, s8
	s_addc_u32 s9, s13, s9
	s_clause 0x1
	s_load_dword s12, s[4:5], 0xd6c
	s_load_dword s8, s[8:9], 0x200
	;; [unrolled: 1-line block ×3, first 2 shown]
	s_load_dwordx2 s[2:3], s[4:5], 0x0
	s_waitcnt lgkmcnt(0)
	v_mul_lo_u32 v1, s11, v0
	s_mul_i32 s4, s9, s10
	s_mul_i32 s5, s4, s11
	v_mad_u64_u32 v[1:2], null, s8, s12, v[1:2]
.LBB103_2:                              ; =>This Inner Loop Header: Depth=1
	global_load_ubyte v2, v0, s[6:7]
	v_add_nc_u32_e32 v0, s4, v0
	v_cmp_le_u32_e32 vcc_lo, s0, v0
	s_or_b32 s1, vcc_lo, s1
	s_waitcnt vmcnt(0)
	global_store_byte v1, v2, s[2:3]
	v_add_nc_u32_e32 v1, s5, v1
	s_andn2_b32 exec_lo, exec_lo, s1
	s_cbranch_execnz .LBB103_2
.LBB103_3:
	s_endpgm
	.section	.rodata,"a",@progbits
	.p2align	6, 0x0
	.amdhsa_kernel _ZN2at6native12_GLOBAL__N_126CatArrayBatchedCopy_contigINS1_10OpaqueTypeILj1EEEjLi1ELi64ELi64EEEvPT_NS1_25CatArrInputTensorMetadataIS5_T0_XT2_EXT3_EEENS1_16TensorSizeStrideIS8_Lj4EEEiS8_
		.amdhsa_group_segment_fixed_size 0
		.amdhsa_private_segment_fixed_size 0
		.amdhsa_kernarg_size 3696
		.amdhsa_user_sgpr_count 6
		.amdhsa_user_sgpr_private_segment_buffer 1
		.amdhsa_user_sgpr_dispatch_ptr 0
		.amdhsa_user_sgpr_queue_ptr 0
		.amdhsa_user_sgpr_kernarg_segment_ptr 1
		.amdhsa_user_sgpr_dispatch_id 0
		.amdhsa_user_sgpr_flat_scratch_init 0
		.amdhsa_user_sgpr_private_segment_size 0
		.amdhsa_wavefront_size32 1
		.amdhsa_uses_dynamic_stack 0
		.amdhsa_system_sgpr_private_segment_wavefront_offset 0
		.amdhsa_system_sgpr_workgroup_id_x 1
		.amdhsa_system_sgpr_workgroup_id_y 1
		.amdhsa_system_sgpr_workgroup_id_z 0
		.amdhsa_system_sgpr_workgroup_info 0
		.amdhsa_system_vgpr_workitem_id 0
		.amdhsa_next_free_vgpr 3
		.amdhsa_next_free_sgpr 14
		.amdhsa_reserve_vcc 1
		.amdhsa_reserve_flat_scratch 0
		.amdhsa_float_round_mode_32 0
		.amdhsa_float_round_mode_16_64 0
		.amdhsa_float_denorm_mode_32 3
		.amdhsa_float_denorm_mode_16_64 3
		.amdhsa_dx10_clamp 1
		.amdhsa_ieee_mode 1
		.amdhsa_fp16_overflow 0
		.amdhsa_workgroup_processor_mode 1
		.amdhsa_memory_ordered 1
		.amdhsa_forward_progress 1
		.amdhsa_shared_vgpr_count 0
		.amdhsa_exception_fp_ieee_invalid_op 0
		.amdhsa_exception_fp_denorm_src 0
		.amdhsa_exception_fp_ieee_div_zero 0
		.amdhsa_exception_fp_ieee_overflow 0
		.amdhsa_exception_fp_ieee_underflow 0
		.amdhsa_exception_fp_ieee_inexact 0
		.amdhsa_exception_int_div_zero 0
	.end_amdhsa_kernel
	.section	.text._ZN2at6native12_GLOBAL__N_126CatArrayBatchedCopy_contigINS1_10OpaqueTypeILj1EEEjLi1ELi64ELi64EEEvPT_NS1_25CatArrInputTensorMetadataIS5_T0_XT2_EXT3_EEENS1_16TensorSizeStrideIS8_Lj4EEEiS8_,"axG",@progbits,_ZN2at6native12_GLOBAL__N_126CatArrayBatchedCopy_contigINS1_10OpaqueTypeILj1EEEjLi1ELi64ELi64EEEvPT_NS1_25CatArrInputTensorMetadataIS5_T0_XT2_EXT3_EEENS1_16TensorSizeStrideIS8_Lj4EEEiS8_,comdat
.Lfunc_end103:
	.size	_ZN2at6native12_GLOBAL__N_126CatArrayBatchedCopy_contigINS1_10OpaqueTypeILj1EEEjLi1ELi64ELi64EEEvPT_NS1_25CatArrInputTensorMetadataIS5_T0_XT2_EXT3_EEENS1_16TensorSizeStrideIS8_Lj4EEEiS8_, .Lfunc_end103-_ZN2at6native12_GLOBAL__N_126CatArrayBatchedCopy_contigINS1_10OpaqueTypeILj1EEEjLi1ELi64ELi64EEEvPT_NS1_25CatArrInputTensorMetadataIS5_T0_XT2_EXT3_EEENS1_16TensorSizeStrideIS8_Lj4EEEiS8_
                                        ; -- End function
	.set _ZN2at6native12_GLOBAL__N_126CatArrayBatchedCopy_contigINS1_10OpaqueTypeILj1EEEjLi1ELi64ELi64EEEvPT_NS1_25CatArrInputTensorMetadataIS5_T0_XT2_EXT3_EEENS1_16TensorSizeStrideIS8_Lj4EEEiS8_.num_vgpr, 3
	.set _ZN2at6native12_GLOBAL__N_126CatArrayBatchedCopy_contigINS1_10OpaqueTypeILj1EEEjLi1ELi64ELi64EEEvPT_NS1_25CatArrInputTensorMetadataIS5_T0_XT2_EXT3_EEENS1_16TensorSizeStrideIS8_Lj4EEEiS8_.num_agpr, 0
	.set _ZN2at6native12_GLOBAL__N_126CatArrayBatchedCopy_contigINS1_10OpaqueTypeILj1EEEjLi1ELi64ELi64EEEvPT_NS1_25CatArrInputTensorMetadataIS5_T0_XT2_EXT3_EEENS1_16TensorSizeStrideIS8_Lj4EEEiS8_.numbered_sgpr, 14
	.set _ZN2at6native12_GLOBAL__N_126CatArrayBatchedCopy_contigINS1_10OpaqueTypeILj1EEEjLi1ELi64ELi64EEEvPT_NS1_25CatArrInputTensorMetadataIS5_T0_XT2_EXT3_EEENS1_16TensorSizeStrideIS8_Lj4EEEiS8_.num_named_barrier, 0
	.set _ZN2at6native12_GLOBAL__N_126CatArrayBatchedCopy_contigINS1_10OpaqueTypeILj1EEEjLi1ELi64ELi64EEEvPT_NS1_25CatArrInputTensorMetadataIS5_T0_XT2_EXT3_EEENS1_16TensorSizeStrideIS8_Lj4EEEiS8_.private_seg_size, 0
	.set _ZN2at6native12_GLOBAL__N_126CatArrayBatchedCopy_contigINS1_10OpaqueTypeILj1EEEjLi1ELi64ELi64EEEvPT_NS1_25CatArrInputTensorMetadataIS5_T0_XT2_EXT3_EEENS1_16TensorSizeStrideIS8_Lj4EEEiS8_.uses_vcc, 1
	.set _ZN2at6native12_GLOBAL__N_126CatArrayBatchedCopy_contigINS1_10OpaqueTypeILj1EEEjLi1ELi64ELi64EEEvPT_NS1_25CatArrInputTensorMetadataIS5_T0_XT2_EXT3_EEENS1_16TensorSizeStrideIS8_Lj4EEEiS8_.uses_flat_scratch, 0
	.set _ZN2at6native12_GLOBAL__N_126CatArrayBatchedCopy_contigINS1_10OpaqueTypeILj1EEEjLi1ELi64ELi64EEEvPT_NS1_25CatArrInputTensorMetadataIS5_T0_XT2_EXT3_EEENS1_16TensorSizeStrideIS8_Lj4EEEiS8_.has_dyn_sized_stack, 0
	.set _ZN2at6native12_GLOBAL__N_126CatArrayBatchedCopy_contigINS1_10OpaqueTypeILj1EEEjLi1ELi64ELi64EEEvPT_NS1_25CatArrInputTensorMetadataIS5_T0_XT2_EXT3_EEENS1_16TensorSizeStrideIS8_Lj4EEEiS8_.has_recursion, 0
	.set _ZN2at6native12_GLOBAL__N_126CatArrayBatchedCopy_contigINS1_10OpaqueTypeILj1EEEjLi1ELi64ELi64EEEvPT_NS1_25CatArrInputTensorMetadataIS5_T0_XT2_EXT3_EEENS1_16TensorSizeStrideIS8_Lj4EEEiS8_.has_indirect_call, 0
	.section	.AMDGPU.csdata,"",@progbits
; Kernel info:
; codeLenInByte = 252
; TotalNumSgprs: 16
; NumVgprs: 3
; ScratchSize: 0
; MemoryBound: 0
; FloatMode: 240
; IeeeMode: 1
; LDSByteSize: 0 bytes/workgroup (compile time only)
; SGPRBlocks: 0
; VGPRBlocks: 0
; NumSGPRsForWavesPerEU: 16
; NumVGPRsForWavesPerEU: 3
; Occupancy: 16
; WaveLimiterHint : 1
; COMPUTE_PGM_RSRC2:SCRATCH_EN: 0
; COMPUTE_PGM_RSRC2:USER_SGPR: 6
; COMPUTE_PGM_RSRC2:TRAP_HANDLER: 0
; COMPUTE_PGM_RSRC2:TGID_X_EN: 1
; COMPUTE_PGM_RSRC2:TGID_Y_EN: 1
; COMPUTE_PGM_RSRC2:TGID_Z_EN: 0
; COMPUTE_PGM_RSRC2:TIDIG_COMP_CNT: 0
	.section	.text._ZN2at6native12_GLOBAL__N_119CatArrayBatchedCopyINS1_10OpaqueTypeILj1EEEjLi1ELi64ELi64EEEvPT_NS1_25CatArrInputTensorMetadataIS5_T0_XT2_EXT3_EEENS1_16TensorSizeStrideIS8_Lj4EEEiS8_,"axG",@progbits,_ZN2at6native12_GLOBAL__N_119CatArrayBatchedCopyINS1_10OpaqueTypeILj1EEEjLi1ELi64ELi64EEEvPT_NS1_25CatArrInputTensorMetadataIS5_T0_XT2_EXT3_EEENS1_16TensorSizeStrideIS8_Lj4EEEiS8_,comdat
	.globl	_ZN2at6native12_GLOBAL__N_119CatArrayBatchedCopyINS1_10OpaqueTypeILj1EEEjLi1ELi64ELi64EEEvPT_NS1_25CatArrInputTensorMetadataIS5_T0_XT2_EXT3_EEENS1_16TensorSizeStrideIS8_Lj4EEEiS8_ ; -- Begin function _ZN2at6native12_GLOBAL__N_119CatArrayBatchedCopyINS1_10OpaqueTypeILj1EEEjLi1ELi64ELi64EEEvPT_NS1_25CatArrInputTensorMetadataIS5_T0_XT2_EXT3_EEENS1_16TensorSizeStrideIS8_Lj4EEEiS8_
	.p2align	8
	.type	_ZN2at6native12_GLOBAL__N_119CatArrayBatchedCopyINS1_10OpaqueTypeILj1EEEjLi1ELi64ELi64EEEvPT_NS1_25CatArrInputTensorMetadataIS5_T0_XT2_EXT3_EEENS1_16TensorSizeStrideIS8_Lj4EEEiS8_,@function
_ZN2at6native12_GLOBAL__N_119CatArrayBatchedCopyINS1_10OpaqueTypeILj1EEEjLi1ELi64ELi64EEEvPT_NS1_25CatArrInputTensorMetadataIS5_T0_XT2_EXT3_EEENS1_16TensorSizeStrideIS8_Lj4EEEiS8_: ; @_ZN2at6native12_GLOBAL__N_119CatArrayBatchedCopyINS1_10OpaqueTypeILj1EEEjLi1ELi64ELi64EEEvPT_NS1_25CatArrInputTensorMetadataIS5_T0_XT2_EXT3_EEENS1_16TensorSizeStrideIS8_Lj4EEEiS8_
; %bb.0:
	s_mov_b32 s0, s7
	s_load_dword s7, s[4:5], 0xd7c
	s_or_b32 s13, s4, 8
	s_mov_b32 s1, 0
	s_add_u32 s2, s4, 0xd70
	s_addc_u32 s3, s5, 0
	s_lshl_b64 s[8:9], s[0:1], 2
	s_mov_b32 s14, exec_lo
	s_waitcnt lgkmcnt(0)
	s_and_b32 s12, s7, 0xffff
	s_add_u32 s10, s13, s8
	s_addc_u32 s11, s5, s9
	v_mad_u64_u32 v[0:1], null, s6, s12, v[0:1]
	s_load_dword s7, s[10:11], 0x400
	s_waitcnt lgkmcnt(0)
	v_cmpx_gt_u32_e64 s7, v0
	s_cbranch_execz .LBB104_3
; %bb.1:
	s_mul_i32 s14, s0, 28
	s_mul_hi_u32 s15, s0, 28
	s_add_u32 s10, s10, s14
	v_mov_b32_e32 v1, 0
	s_addc_u32 s11, s11, s15
	s_add_u32 s14, s13, s0
	s_addc_u32 s15, s5, 0
	s_mul_i32 s13, s0, 7
	global_load_ubyte v1, v1, s[14:15] offset:1280
	s_clause 0x1
	s_load_dword s16, s[10:11], 0x550
	s_load_dword s17, s[4:5], 0xd58
	s_mul_hi_u32 s0, s0, 7
	s_waitcnt vmcnt(0)
	v_readfirstlane_b32 s6, v1
	s_waitcnt lgkmcnt(0)
	v_mul_lo_u32 v1, s17, v0
	s_and_b32 s6, 1, s6
	s_add_u32 s10, s14, s13
	s_addc_u32 s11, s15, s0
	s_sub_u32 s0, 0, s8
	s_subb_u32 s9, 0, s9
	s_add_u32 s8, s10, s0
	s_addc_u32 s9, s11, s9
	s_clause 0x1
	s_load_dword s0, s[4:5], 0xd6c
	s_load_dword s8, s[8:9], 0x200
	;; [unrolled: 1-line block ×3, first 2 shown]
	s_clause 0x1
	s_load_dwordx2 s[2:3], s[4:5], 0x0
	s_load_dwordx2 s[4:5], s[10:11], 0x0
	s_cmp_eq_u32 s6, 1
	s_cselect_b32 s6, 1, s16
	v_mul_lo_u32 v3, s6, v0
	s_waitcnt lgkmcnt(0)
	v_mad_u64_u32 v[1:2], null, s8, s0, v[1:2]
	s_mul_i32 s0, s9, s12
	s_mul_i32 s6, s0, s6
	;; [unrolled: 1-line block ×3, first 2 shown]
.LBB104_2:                              ; =>This Inner Loop Header: Depth=1
	global_load_ubyte v2, v3, s[4:5]
	v_add_nc_u32_e32 v0, s0, v0
	v_add_nc_u32_e32 v3, s6, v3
	v_cmp_le_u32_e32 vcc_lo, s7, v0
	s_or_b32 s1, vcc_lo, s1
	s_waitcnt vmcnt(0)
	global_store_byte v1, v2, s[2:3]
	v_add_nc_u32_e32 v1, s8, v1
	s_andn2_b32 exec_lo, exec_lo, s1
	s_cbranch_execnz .LBB104_2
.LBB104_3:
	s_endpgm
	.section	.rodata,"a",@progbits
	.p2align	6, 0x0
	.amdhsa_kernel _ZN2at6native12_GLOBAL__N_119CatArrayBatchedCopyINS1_10OpaqueTypeILj1EEEjLi1ELi64ELi64EEEvPT_NS1_25CatArrInputTensorMetadataIS5_T0_XT2_EXT3_EEENS1_16TensorSizeStrideIS8_Lj4EEEiS8_
		.amdhsa_group_segment_fixed_size 0
		.amdhsa_private_segment_fixed_size 0
		.amdhsa_kernarg_size 3696
		.amdhsa_user_sgpr_count 6
		.amdhsa_user_sgpr_private_segment_buffer 1
		.amdhsa_user_sgpr_dispatch_ptr 0
		.amdhsa_user_sgpr_queue_ptr 0
		.amdhsa_user_sgpr_kernarg_segment_ptr 1
		.amdhsa_user_sgpr_dispatch_id 0
		.amdhsa_user_sgpr_flat_scratch_init 0
		.amdhsa_user_sgpr_private_segment_size 0
		.amdhsa_wavefront_size32 1
		.amdhsa_uses_dynamic_stack 0
		.amdhsa_system_sgpr_private_segment_wavefront_offset 0
		.amdhsa_system_sgpr_workgroup_id_x 1
		.amdhsa_system_sgpr_workgroup_id_y 1
		.amdhsa_system_sgpr_workgroup_id_z 0
		.amdhsa_system_sgpr_workgroup_info 0
		.amdhsa_system_vgpr_workitem_id 0
		.amdhsa_next_free_vgpr 4
		.amdhsa_next_free_sgpr 18
		.amdhsa_reserve_vcc 1
		.amdhsa_reserve_flat_scratch 0
		.amdhsa_float_round_mode_32 0
		.amdhsa_float_round_mode_16_64 0
		.amdhsa_float_denorm_mode_32 3
		.amdhsa_float_denorm_mode_16_64 3
		.amdhsa_dx10_clamp 1
		.amdhsa_ieee_mode 1
		.amdhsa_fp16_overflow 0
		.amdhsa_workgroup_processor_mode 1
		.amdhsa_memory_ordered 1
		.amdhsa_forward_progress 1
		.amdhsa_shared_vgpr_count 0
		.amdhsa_exception_fp_ieee_invalid_op 0
		.amdhsa_exception_fp_denorm_src 0
		.amdhsa_exception_fp_ieee_div_zero 0
		.amdhsa_exception_fp_ieee_overflow 0
		.amdhsa_exception_fp_ieee_underflow 0
		.amdhsa_exception_fp_ieee_inexact 0
		.amdhsa_exception_int_div_zero 0
	.end_amdhsa_kernel
	.section	.text._ZN2at6native12_GLOBAL__N_119CatArrayBatchedCopyINS1_10OpaqueTypeILj1EEEjLi1ELi64ELi64EEEvPT_NS1_25CatArrInputTensorMetadataIS5_T0_XT2_EXT3_EEENS1_16TensorSizeStrideIS8_Lj4EEEiS8_,"axG",@progbits,_ZN2at6native12_GLOBAL__N_119CatArrayBatchedCopyINS1_10OpaqueTypeILj1EEEjLi1ELi64ELi64EEEvPT_NS1_25CatArrInputTensorMetadataIS5_T0_XT2_EXT3_EEENS1_16TensorSizeStrideIS8_Lj4EEEiS8_,comdat
.Lfunc_end104:
	.size	_ZN2at6native12_GLOBAL__N_119CatArrayBatchedCopyINS1_10OpaqueTypeILj1EEEjLi1ELi64ELi64EEEvPT_NS1_25CatArrInputTensorMetadataIS5_T0_XT2_EXT3_EEENS1_16TensorSizeStrideIS8_Lj4EEEiS8_, .Lfunc_end104-_ZN2at6native12_GLOBAL__N_119CatArrayBatchedCopyINS1_10OpaqueTypeILj1EEEjLi1ELi64ELi64EEEvPT_NS1_25CatArrInputTensorMetadataIS5_T0_XT2_EXT3_EEENS1_16TensorSizeStrideIS8_Lj4EEEiS8_
                                        ; -- End function
	.set _ZN2at6native12_GLOBAL__N_119CatArrayBatchedCopyINS1_10OpaqueTypeILj1EEEjLi1ELi64ELi64EEEvPT_NS1_25CatArrInputTensorMetadataIS5_T0_XT2_EXT3_EEENS1_16TensorSizeStrideIS8_Lj4EEEiS8_.num_vgpr, 4
	.set _ZN2at6native12_GLOBAL__N_119CatArrayBatchedCopyINS1_10OpaqueTypeILj1EEEjLi1ELi64ELi64EEEvPT_NS1_25CatArrInputTensorMetadataIS5_T0_XT2_EXT3_EEENS1_16TensorSizeStrideIS8_Lj4EEEiS8_.num_agpr, 0
	.set _ZN2at6native12_GLOBAL__N_119CatArrayBatchedCopyINS1_10OpaqueTypeILj1EEEjLi1ELi64ELi64EEEvPT_NS1_25CatArrInputTensorMetadataIS5_T0_XT2_EXT3_EEENS1_16TensorSizeStrideIS8_Lj4EEEiS8_.numbered_sgpr, 18
	.set _ZN2at6native12_GLOBAL__N_119CatArrayBatchedCopyINS1_10OpaqueTypeILj1EEEjLi1ELi64ELi64EEEvPT_NS1_25CatArrInputTensorMetadataIS5_T0_XT2_EXT3_EEENS1_16TensorSizeStrideIS8_Lj4EEEiS8_.num_named_barrier, 0
	.set _ZN2at6native12_GLOBAL__N_119CatArrayBatchedCopyINS1_10OpaqueTypeILj1EEEjLi1ELi64ELi64EEEvPT_NS1_25CatArrInputTensorMetadataIS5_T0_XT2_EXT3_EEENS1_16TensorSizeStrideIS8_Lj4EEEiS8_.private_seg_size, 0
	.set _ZN2at6native12_GLOBAL__N_119CatArrayBatchedCopyINS1_10OpaqueTypeILj1EEEjLi1ELi64ELi64EEEvPT_NS1_25CatArrInputTensorMetadataIS5_T0_XT2_EXT3_EEENS1_16TensorSizeStrideIS8_Lj4EEEiS8_.uses_vcc, 1
	.set _ZN2at6native12_GLOBAL__N_119CatArrayBatchedCopyINS1_10OpaqueTypeILj1EEEjLi1ELi64ELi64EEEvPT_NS1_25CatArrInputTensorMetadataIS5_T0_XT2_EXT3_EEENS1_16TensorSizeStrideIS8_Lj4EEEiS8_.uses_flat_scratch, 0
	.set _ZN2at6native12_GLOBAL__N_119CatArrayBatchedCopyINS1_10OpaqueTypeILj1EEEjLi1ELi64ELi64EEEvPT_NS1_25CatArrInputTensorMetadataIS5_T0_XT2_EXT3_EEENS1_16TensorSizeStrideIS8_Lj4EEEiS8_.has_dyn_sized_stack, 0
	.set _ZN2at6native12_GLOBAL__N_119CatArrayBatchedCopyINS1_10OpaqueTypeILj1EEEjLi1ELi64ELi64EEEvPT_NS1_25CatArrInputTensorMetadataIS5_T0_XT2_EXT3_EEENS1_16TensorSizeStrideIS8_Lj4EEEiS8_.has_recursion, 0
	.set _ZN2at6native12_GLOBAL__N_119CatArrayBatchedCopyINS1_10OpaqueTypeILj1EEEjLi1ELi64ELi64EEEvPT_NS1_25CatArrInputTensorMetadataIS5_T0_XT2_EXT3_EEENS1_16TensorSizeStrideIS8_Lj4EEEiS8_.has_indirect_call, 0
	.section	.AMDGPU.csdata,"",@progbits
; Kernel info:
; codeLenInByte = 344
; TotalNumSgprs: 20
; NumVgprs: 4
; ScratchSize: 0
; MemoryBound: 0
; FloatMode: 240
; IeeeMode: 1
; LDSByteSize: 0 bytes/workgroup (compile time only)
; SGPRBlocks: 0
; VGPRBlocks: 0
; NumSGPRsForWavesPerEU: 20
; NumVGPRsForWavesPerEU: 4
; Occupancy: 16
; WaveLimiterHint : 1
; COMPUTE_PGM_RSRC2:SCRATCH_EN: 0
; COMPUTE_PGM_RSRC2:USER_SGPR: 6
; COMPUTE_PGM_RSRC2:TRAP_HANDLER: 0
; COMPUTE_PGM_RSRC2:TGID_X_EN: 1
; COMPUTE_PGM_RSRC2:TGID_Y_EN: 1
; COMPUTE_PGM_RSRC2:TGID_Z_EN: 0
; COMPUTE_PGM_RSRC2:TIDIG_COMP_CNT: 0
	.section	.text._ZN2at6native12_GLOBAL__N_130CatArrayBatchedCopy_vectorizedINS1_10OpaqueTypeILj1EEEjLi2ELi64ELi64ELi16ELi16EEEvPcNS1_25CatArrInputTensorMetadataIT_T0_XT2_EXT3_EEENS1_16TensorSizeStrideIS8_Lj4EEEiS8_,"axG",@progbits,_ZN2at6native12_GLOBAL__N_130CatArrayBatchedCopy_vectorizedINS1_10OpaqueTypeILj1EEEjLi2ELi64ELi64ELi16ELi16EEEvPcNS1_25CatArrInputTensorMetadataIT_T0_XT2_EXT3_EEENS1_16TensorSizeStrideIS8_Lj4EEEiS8_,comdat
	.globl	_ZN2at6native12_GLOBAL__N_130CatArrayBatchedCopy_vectorizedINS1_10OpaqueTypeILj1EEEjLi2ELi64ELi64ELi16ELi16EEEvPcNS1_25CatArrInputTensorMetadataIT_T0_XT2_EXT3_EEENS1_16TensorSizeStrideIS8_Lj4EEEiS8_ ; -- Begin function _ZN2at6native12_GLOBAL__N_130CatArrayBatchedCopy_vectorizedINS1_10OpaqueTypeILj1EEEjLi2ELi64ELi64ELi16ELi16EEEvPcNS1_25CatArrInputTensorMetadataIT_T0_XT2_EXT3_EEENS1_16TensorSizeStrideIS8_Lj4EEEiS8_
	.p2align	8
	.type	_ZN2at6native12_GLOBAL__N_130CatArrayBatchedCopy_vectorizedINS1_10OpaqueTypeILj1EEEjLi2ELi64ELi64ELi16ELi16EEEvPcNS1_25CatArrInputTensorMetadataIT_T0_XT2_EXT3_EEENS1_16TensorSizeStrideIS8_Lj4EEEiS8_,@function
_ZN2at6native12_GLOBAL__N_130CatArrayBatchedCopy_vectorizedINS1_10OpaqueTypeILj1EEEjLi2ELi64ELi64ELi16ELi16EEEvPcNS1_25CatArrInputTensorMetadataIT_T0_XT2_EXT3_EEENS1_16TensorSizeStrideIS8_Lj4EEEiS8_: ; @_ZN2at6native12_GLOBAL__N_130CatArrayBatchedCopy_vectorizedINS1_10OpaqueTypeILj1EEEjLi2ELi64ELi64ELi16ELi16EEEvPcNS1_25CatArrInputTensorMetadataIT_T0_XT2_EXT3_EEENS1_16TensorSizeStrideIS8_Lj4EEEiS8_
; %bb.0:
	s_mov_b32 s0, s7
	s_load_dword s7, s[4:5], 0xd7c
	s_mov_b32 s1, 0
	s_add_u32 s8, s4, 0xd70
	s_addc_u32 s9, s5, 0
	s_lshl_b64 s[2:3], s[0:1], 2
	s_waitcnt lgkmcnt(0)
	s_and_b32 s0, s7, 0xffff
	s_add_u32 s10, s4, s2
	s_addc_u32 s11, s5, s3
	v_mad_u64_u32 v[0:1], null, s6, s0, v[0:1]
	s_load_dword s12, s[10:11], 0x408
	s_add_u32 s7, s10, 8
	s_addc_u32 s10, s11, 0
	s_mov_b32 s11, exec_lo
	s_waitcnt lgkmcnt(0)
	s_lshr_b32 s6, s12, 4
	v_cmpx_gt_u32_e64 s6, v0
	s_cbranch_execz .LBB105_3
; %bb.1:
	s_add_u32 s14, s7, s2
	s_addc_u32 s15, s10, s3
	s_sub_u32 s2, 0, s2
	s_subb_u32 s3, 0, s3
	s_add_u32 s2, s14, s2
	s_addc_u32 s3, s15, s3
	s_clause 0x5
	s_load_dwordx2 s[10:11], s[4:5], 0xd68
	s_load_dword s7, s[2:3], 0x200
	s_load_dword s12, s[2:3], 0x300
	;; [unrolled: 1-line block ×3, first 2 shown]
	s_load_dwordx2 s[2:3], s[4:5], 0xd58
	s_load_dwordx2 s[4:5], s[4:5], 0x0
	s_load_dword s8, s[8:9], 0x0
	s_waitcnt lgkmcnt(0)
	s_mul_i32 s7, s7, s11
	s_mul_i32 s12, s12, s11
	s_and_b32 s11, s7, -16
	s_lshr_b32 s7, s12, 4
	s_cmp_eq_u32 s10, 1
	s_mul_i32 s8, s8, s0
	s_cselect_b32 s7, s7, s13
	s_add_u32 s10, s4, s11
	v_cvt_f32_u32_e32 v1, s7
	s_addc_u32 s11, s5, 0
	s_sub_i32 s12, 0, s7
	s_load_dwordx2 s[4:5], s[14:15], 0x0
	v_rcp_iflag_f32_e32 v1, v1
	v_mul_f32_e32 v1, 0x4f7ffffe, v1
	v_cvt_u32_f32_e32 v1, v1
	v_mul_lo_u32 v2, s12, v1
	v_mul_hi_u32 v2, v1, v2
	v_add_nc_u32_e32 v2, v1, v2
	v_mov_b32_e32 v1, 0
	s_inst_prefetch 0x1
	.p2align	6
.LBB105_2:                              ; =>This Inner Loop Header: Depth=1
	v_lshlrev_b64 v[3:4], 4, v[0:1]
	v_mul_hi_u32 v9, v2, v0
	s_waitcnt lgkmcnt(0)
	v_add_co_u32 v3, vcc_lo, s4, v3
	v_add_co_ci_u32_e64 v4, null, s5, v4, vcc_lo
	v_mul_lo_u32 v10, s7, v9
	v_not_b32_e32 v7, v9
	v_add_nc_u32_e32 v11, 1, v9
	global_load_dwordx4 v[3:6], v[3:4], off
	v_mad_u64_u32 v[7:8], null, s7, v7, v[0:1]
	v_sub_nc_u32_e32 v8, v0, v10
	v_cmp_le_u32_e32 vcc_lo, s7, v8
	v_cndmask_b32_e32 v9, v9, v11, vcc_lo
	v_cndmask_b32_e32 v7, v8, v7, vcc_lo
	v_add_nc_u32_e32 v8, 1, v9
	v_cmp_le_u32_e32 vcc_lo, s7, v7
	v_cndmask_b32_e32 v9, v9, v8, vcc_lo
	v_mad_u64_u32 v[7:8], null, s12, v9, v[0:1]
	v_mul_lo_u32 v8, v9, s2
	v_add_nc_u32_e32 v0, s8, v0
	v_cmp_le_u32_e32 vcc_lo, s6, v0
	v_mad_u64_u32 v[7:8], null, v7, s3, v[8:9]
	v_mov_b32_e32 v8, v1
	s_or_b32 s1, vcc_lo, s1
	v_lshlrev_b64 v[7:8], 4, v[7:8]
	v_add_co_u32 v7, s0, s10, v7
	v_add_co_ci_u32_e64 v8, null, s11, v8, s0
	s_waitcnt vmcnt(0)
	global_store_dwordx4 v[7:8], v[3:6], off
	s_andn2_b32 exec_lo, exec_lo, s1
	s_cbranch_execnz .LBB105_2
.LBB105_3:
	s_inst_prefetch 0x2
	s_endpgm
	.section	.rodata,"a",@progbits
	.p2align	6, 0x0
	.amdhsa_kernel _ZN2at6native12_GLOBAL__N_130CatArrayBatchedCopy_vectorizedINS1_10OpaqueTypeILj1EEEjLi2ELi64ELi64ELi16ELi16EEEvPcNS1_25CatArrInputTensorMetadataIT_T0_XT2_EXT3_EEENS1_16TensorSizeStrideIS8_Lj4EEEiS8_
		.amdhsa_group_segment_fixed_size 0
		.amdhsa_private_segment_fixed_size 0
		.amdhsa_kernarg_size 3696
		.amdhsa_user_sgpr_count 6
		.amdhsa_user_sgpr_private_segment_buffer 1
		.amdhsa_user_sgpr_dispatch_ptr 0
		.amdhsa_user_sgpr_queue_ptr 0
		.amdhsa_user_sgpr_kernarg_segment_ptr 1
		.amdhsa_user_sgpr_dispatch_id 0
		.amdhsa_user_sgpr_flat_scratch_init 0
		.amdhsa_user_sgpr_private_segment_size 0
		.amdhsa_wavefront_size32 1
		.amdhsa_uses_dynamic_stack 0
		.amdhsa_system_sgpr_private_segment_wavefront_offset 0
		.amdhsa_system_sgpr_workgroup_id_x 1
		.amdhsa_system_sgpr_workgroup_id_y 1
		.amdhsa_system_sgpr_workgroup_id_z 0
		.amdhsa_system_sgpr_workgroup_info 0
		.amdhsa_system_vgpr_workitem_id 0
		.amdhsa_next_free_vgpr 12
		.amdhsa_next_free_sgpr 16
		.amdhsa_reserve_vcc 1
		.amdhsa_reserve_flat_scratch 0
		.amdhsa_float_round_mode_32 0
		.amdhsa_float_round_mode_16_64 0
		.amdhsa_float_denorm_mode_32 3
		.amdhsa_float_denorm_mode_16_64 3
		.amdhsa_dx10_clamp 1
		.amdhsa_ieee_mode 1
		.amdhsa_fp16_overflow 0
		.amdhsa_workgroup_processor_mode 1
		.amdhsa_memory_ordered 1
		.amdhsa_forward_progress 1
		.amdhsa_shared_vgpr_count 0
		.amdhsa_exception_fp_ieee_invalid_op 0
		.amdhsa_exception_fp_denorm_src 0
		.amdhsa_exception_fp_ieee_div_zero 0
		.amdhsa_exception_fp_ieee_overflow 0
		.amdhsa_exception_fp_ieee_underflow 0
		.amdhsa_exception_fp_ieee_inexact 0
		.amdhsa_exception_int_div_zero 0
	.end_amdhsa_kernel
	.section	.text._ZN2at6native12_GLOBAL__N_130CatArrayBatchedCopy_vectorizedINS1_10OpaqueTypeILj1EEEjLi2ELi64ELi64ELi16ELi16EEEvPcNS1_25CatArrInputTensorMetadataIT_T0_XT2_EXT3_EEENS1_16TensorSizeStrideIS8_Lj4EEEiS8_,"axG",@progbits,_ZN2at6native12_GLOBAL__N_130CatArrayBatchedCopy_vectorizedINS1_10OpaqueTypeILj1EEEjLi2ELi64ELi64ELi16ELi16EEEvPcNS1_25CatArrInputTensorMetadataIT_T0_XT2_EXT3_EEENS1_16TensorSizeStrideIS8_Lj4EEEiS8_,comdat
.Lfunc_end105:
	.size	_ZN2at6native12_GLOBAL__N_130CatArrayBatchedCopy_vectorizedINS1_10OpaqueTypeILj1EEEjLi2ELi64ELi64ELi16ELi16EEEvPcNS1_25CatArrInputTensorMetadataIT_T0_XT2_EXT3_EEENS1_16TensorSizeStrideIS8_Lj4EEEiS8_, .Lfunc_end105-_ZN2at6native12_GLOBAL__N_130CatArrayBatchedCopy_vectorizedINS1_10OpaqueTypeILj1EEEjLi2ELi64ELi64ELi16ELi16EEEvPcNS1_25CatArrInputTensorMetadataIT_T0_XT2_EXT3_EEENS1_16TensorSizeStrideIS8_Lj4EEEiS8_
                                        ; -- End function
	.set _ZN2at6native12_GLOBAL__N_130CatArrayBatchedCopy_vectorizedINS1_10OpaqueTypeILj1EEEjLi2ELi64ELi64ELi16ELi16EEEvPcNS1_25CatArrInputTensorMetadataIT_T0_XT2_EXT3_EEENS1_16TensorSizeStrideIS8_Lj4EEEiS8_.num_vgpr, 12
	.set _ZN2at6native12_GLOBAL__N_130CatArrayBatchedCopy_vectorizedINS1_10OpaqueTypeILj1EEEjLi2ELi64ELi64ELi16ELi16EEEvPcNS1_25CatArrInputTensorMetadataIT_T0_XT2_EXT3_EEENS1_16TensorSizeStrideIS8_Lj4EEEiS8_.num_agpr, 0
	.set _ZN2at6native12_GLOBAL__N_130CatArrayBatchedCopy_vectorizedINS1_10OpaqueTypeILj1EEEjLi2ELi64ELi64ELi16ELi16EEEvPcNS1_25CatArrInputTensorMetadataIT_T0_XT2_EXT3_EEENS1_16TensorSizeStrideIS8_Lj4EEEiS8_.numbered_sgpr, 16
	.set _ZN2at6native12_GLOBAL__N_130CatArrayBatchedCopy_vectorizedINS1_10OpaqueTypeILj1EEEjLi2ELi64ELi64ELi16ELi16EEEvPcNS1_25CatArrInputTensorMetadataIT_T0_XT2_EXT3_EEENS1_16TensorSizeStrideIS8_Lj4EEEiS8_.num_named_barrier, 0
	.set _ZN2at6native12_GLOBAL__N_130CatArrayBatchedCopy_vectorizedINS1_10OpaqueTypeILj1EEEjLi2ELi64ELi64ELi16ELi16EEEvPcNS1_25CatArrInputTensorMetadataIT_T0_XT2_EXT3_EEENS1_16TensorSizeStrideIS8_Lj4EEEiS8_.private_seg_size, 0
	.set _ZN2at6native12_GLOBAL__N_130CatArrayBatchedCopy_vectorizedINS1_10OpaqueTypeILj1EEEjLi2ELi64ELi64ELi16ELi16EEEvPcNS1_25CatArrInputTensorMetadataIT_T0_XT2_EXT3_EEENS1_16TensorSizeStrideIS8_Lj4EEEiS8_.uses_vcc, 1
	.set _ZN2at6native12_GLOBAL__N_130CatArrayBatchedCopy_vectorizedINS1_10OpaqueTypeILj1EEEjLi2ELi64ELi64ELi16ELi16EEEvPcNS1_25CatArrInputTensorMetadataIT_T0_XT2_EXT3_EEENS1_16TensorSizeStrideIS8_Lj4EEEiS8_.uses_flat_scratch, 0
	.set _ZN2at6native12_GLOBAL__N_130CatArrayBatchedCopy_vectorizedINS1_10OpaqueTypeILj1EEEjLi2ELi64ELi64ELi16ELi16EEEvPcNS1_25CatArrInputTensorMetadataIT_T0_XT2_EXT3_EEENS1_16TensorSizeStrideIS8_Lj4EEEiS8_.has_dyn_sized_stack, 0
	.set _ZN2at6native12_GLOBAL__N_130CatArrayBatchedCopy_vectorizedINS1_10OpaqueTypeILj1EEEjLi2ELi64ELi64ELi16ELi16EEEvPcNS1_25CatArrInputTensorMetadataIT_T0_XT2_EXT3_EEENS1_16TensorSizeStrideIS8_Lj4EEEiS8_.has_recursion, 0
	.set _ZN2at6native12_GLOBAL__N_130CatArrayBatchedCopy_vectorizedINS1_10OpaqueTypeILj1EEEjLi2ELi64ELi64ELi16ELi16EEEvPcNS1_25CatArrInputTensorMetadataIT_T0_XT2_EXT3_EEENS1_16TensorSizeStrideIS8_Lj4EEEiS8_.has_indirect_call, 0
	.section	.AMDGPU.csdata,"",@progbits
; Kernel info:
; codeLenInByte = 508
; TotalNumSgprs: 18
; NumVgprs: 12
; ScratchSize: 0
; MemoryBound: 0
; FloatMode: 240
; IeeeMode: 1
; LDSByteSize: 0 bytes/workgroup (compile time only)
; SGPRBlocks: 0
; VGPRBlocks: 1
; NumSGPRsForWavesPerEU: 18
; NumVGPRsForWavesPerEU: 12
; Occupancy: 16
; WaveLimiterHint : 1
; COMPUTE_PGM_RSRC2:SCRATCH_EN: 0
; COMPUTE_PGM_RSRC2:USER_SGPR: 6
; COMPUTE_PGM_RSRC2:TRAP_HANDLER: 0
; COMPUTE_PGM_RSRC2:TGID_X_EN: 1
; COMPUTE_PGM_RSRC2:TGID_Y_EN: 1
; COMPUTE_PGM_RSRC2:TGID_Z_EN: 0
; COMPUTE_PGM_RSRC2:TIDIG_COMP_CNT: 0
	.section	.text._ZN2at6native12_GLOBAL__N_135CatArrayBatchedCopy_alignedK_contigINS1_10OpaqueTypeILj1EEEjLi2ELi64ELi64ELi16EEEvPT_NS1_25CatArrInputTensorMetadataIS5_T0_XT2_EXT3_EEENS1_16TensorSizeStrideIS8_Lj4EEEiS8_,"axG",@progbits,_ZN2at6native12_GLOBAL__N_135CatArrayBatchedCopy_alignedK_contigINS1_10OpaqueTypeILj1EEEjLi2ELi64ELi64ELi16EEEvPT_NS1_25CatArrInputTensorMetadataIS5_T0_XT2_EXT3_EEENS1_16TensorSizeStrideIS8_Lj4EEEiS8_,comdat
	.globl	_ZN2at6native12_GLOBAL__N_135CatArrayBatchedCopy_alignedK_contigINS1_10OpaqueTypeILj1EEEjLi2ELi64ELi64ELi16EEEvPT_NS1_25CatArrInputTensorMetadataIS5_T0_XT2_EXT3_EEENS1_16TensorSizeStrideIS8_Lj4EEEiS8_ ; -- Begin function _ZN2at6native12_GLOBAL__N_135CatArrayBatchedCopy_alignedK_contigINS1_10OpaqueTypeILj1EEEjLi2ELi64ELi64ELi16EEEvPT_NS1_25CatArrInputTensorMetadataIS5_T0_XT2_EXT3_EEENS1_16TensorSizeStrideIS8_Lj4EEEiS8_
	.p2align	8
	.type	_ZN2at6native12_GLOBAL__N_135CatArrayBatchedCopy_alignedK_contigINS1_10OpaqueTypeILj1EEEjLi2ELi64ELi64ELi16EEEvPT_NS1_25CatArrInputTensorMetadataIS5_T0_XT2_EXT3_EEENS1_16TensorSizeStrideIS8_Lj4EEEiS8_,@function
_ZN2at6native12_GLOBAL__N_135CatArrayBatchedCopy_alignedK_contigINS1_10OpaqueTypeILj1EEEjLi2ELi64ELi64ELi16EEEvPT_NS1_25CatArrInputTensorMetadataIS5_T0_XT2_EXT3_EEENS1_16TensorSizeStrideIS8_Lj4EEEiS8_: ; @_ZN2at6native12_GLOBAL__N_135CatArrayBatchedCopy_alignedK_contigINS1_10OpaqueTypeILj1EEEjLi2ELi64ELi64ELi16EEEvPT_NS1_25CatArrInputTensorMetadataIS5_T0_XT2_EXT3_EEENS1_16TensorSizeStrideIS8_Lj4EEEiS8_
; %bb.0:
	s_mov_b32 s2, s7
	s_load_dword s7, s[4:5], 0xd7c
	s_mov_b32 s3, 0
	s_add_u32 s0, s4, 0xd70
	s_addc_u32 s1, s5, 0
	s_lshl_b64 s[2:3], s[2:3], 2
	s_waitcnt lgkmcnt(0)
	s_and_b32 s7, s7, 0xffff
	s_add_u32 s8, s4, s2
	s_addc_u32 s9, s5, s3
	s_mul_i32 s6, s6, s7
	s_load_dword s15, s[8:9], 0x408
	v_add_lshl_u32 v0, s6, v0, 4
	s_add_u32 s6, s8, 8
	s_addc_u32 s8, s9, 0
	s_mov_b32 s9, exec_lo
	s_waitcnt lgkmcnt(0)
	v_cmpx_gt_u32_e64 s15, v0
	s_cbranch_execz .LBB106_8
; %bb.1:
	s_add_u32 s10, s6, s2
	s_addc_u32 s11, s8, s3
	s_sub_u32 s2, 0, s2
	s_subb_u32 s3, 0, s3
	s_add_u32 s2, s10, s2
	s_addc_u32 s3, s11, s3
	s_clause 0x6
	s_load_dwordx2 s[16:17], s[4:5], 0x0
	s_load_dwordx2 s[22:23], s[4:5], 0xd68
	s_load_dword s25, s[4:5], 0xd4c
	s_load_dwordx2 s[18:19], s[4:5], 0xd58
	s_load_dword s4, s[2:3], 0x200
	;; [unrolled: 2-line block ×3, first 2 shown]
	v_add_nc_u32_e32 v1, 16, v0
	s_mov_b32 s27, exec_lo
	s_waitcnt lgkmcnt(0)
	s_mul_i32 s23, s4, s23
	v_cmpx_ge_u32_e64 s15, v1
	s_cbranch_execz .LBB106_5
; %bb.2:
	s_load_dword s0, s[0:1], 0x0
	v_add_nc_u32_e32 v16, 15, v0
	v_add_nc_u32_e32 v17, 14, v0
	;; [unrolled: 1-line block ×15, first 2 shown]
	s_mov_b32 s31, 0
	s_mov_b32 s24, s19
	s_waitcnt lgkmcnt(0)
	s_mul_i32 s0, s0, s7
	s_lshl_b32 s28, s0, 4
	s_cmp_eq_u32 s22, 1
	s_cselect_b32 s29, s26, s25
	v_cvt_f32_u32_e32 v1, s29
	s_sub_i32 s30, 0, s29
	v_rcp_iflag_f32_e32 v1, v1
	v_mul_f32_e32 v1, 0x4f7ffffe, v1
	v_cvt_u32_f32_e32 v1, v1
	v_mul_lo_u32 v2, s30, v1
	v_mul_hi_u32 v2, v1, v2
	v_add_nc_u32_e32 v30, v1, v2
.LBB106_3:                              ; =>This Inner Loop Header: Depth=1
	v_mul_hi_u32 v32, v30, v0
	v_add_nc_u32_e32 v1, 2, v0
	v_mul_hi_u32 v42, v30, v31
	v_add_nc_u32_e32 v15, 1, v0
	;; [unrolled: 2-line block ×4, first 2 shown]
	v_not_b32_e32 v45, v32
	v_mad_u64_u32 v[43:44], null, s30, v32, v[0:1]
	v_mul_hi_u32 v39, v30, v27
	v_add_nc_u32_e32 v4, 5, v0
	v_mad_u64_u32 v[44:45], null, s29, v45, v[0:1]
	v_mul_hi_u32 v38, v30, v26
	v_add_nc_u32_e32 v5, 6, v0
	v_cmp_le_u32_e32 vcc_lo, s29, v43
	v_mul_hi_u32 v37, v30, v25
	v_add_nc_u32_e32 v6, 7, v0
	v_mul_hi_u32 v36, v30, v24
	v_add_nc_u32_e32 v7, 8, v0
	v_cndmask_b32_e32 v45, v43, v44, vcc_lo
	v_not_b32_e32 v44, v42
	v_mad_u64_u32 v[42:43], null, s30, v42, v[15:16]
	v_mul_hi_u32 v35, v30, v23
	v_add_nc_u32_e32 v8, 9, v0
	v_mad_u64_u32 v[43:44], null, s29, v44, v[15:16]
	v_mul_hi_u32 v34, v30, v22
	v_add_nc_u32_e32 v9, 10, v0
	v_cmp_le_u32_e64 s0, s29, v42
	v_mul_hi_u32 v33, v30, v21
	v_add_nc_u32_e32 v10, 11, v0
	v_mul_hi_u32 v46, v30, v20
	v_add_nc_u32_e32 v11, 12, v0
	v_cndmask_b32_e64 v44, v42, v43, s0
	v_not_b32_e32 v43, v41
	v_mad_u64_u32 v[41:42], null, s30, v41, v[1:2]
	v_mul_hi_u32 v47, v30, v19
	v_add_nc_u32_e32 v12, 13, v0
	v_mad_u64_u32 v[42:43], null, s29, v43, v[1:2]
	v_mul_hi_u32 v48, v30, v18
	v_add_nc_u32_e32 v13, 14, v0
	v_cmp_le_u32_e64 s1, s29, v41
	v_mul_hi_u32 v49, v30, v17
	v_add_nc_u32_e32 v14, 15, v0
	v_mul_hi_u32 v50, v30, v16
	v_mul_hi_u32 v51, v15, v30
	v_cndmask_b32_e64 v43, v41, v42, s1
	v_not_b32_e32 v42, v40
	v_mad_u64_u32 v[40:41], null, s30, v40, v[2:3]
	v_mul_hi_u32 v15, v9, v30
	v_mul_hi_u32 v52, v1, v30
	v_mad_u64_u32 v[41:42], null, s29, v42, v[2:3]
	v_mul_hi_u32 v53, v2, v30
	v_mul_hi_u32 v54, v3, v30
	v_cmp_le_u32_e64 s2, s29, v40
	v_mul_hi_u32 v55, v4, v30
	v_mul_hi_u32 v56, v5, v30
	;; [unrolled: 1-line block ×4, first 2 shown]
	v_cndmask_b32_e64 v42, v40, v41, s2
	v_not_b32_e32 v41, v39
	v_mad_u64_u32 v[39:40], null, s30, v39, v[3:4]
	v_mul_hi_u32 v59, v8, v30
	v_add_nc_u32_e32 v16, s28, v16
	v_mad_u64_u32 v[40:41], null, s29, v41, v[3:4]
	v_add_nc_u32_e32 v17, s28, v17
	v_add_nc_u32_e32 v18, s28, v18
	v_cmp_le_u32_e64 s3, s29, v39
	v_add_nc_u32_e32 v19, s28, v19
	v_add_nc_u32_e32 v20, s28, v20
	;; [unrolled: 1-line block ×4, first 2 shown]
	v_cndmask_b32_e64 v41, v39, v40, s3
	v_not_b32_e32 v40, v38
	v_mad_u64_u32 v[38:39], null, s30, v38, v[4:5]
	v_add_nc_u32_e32 v23, s28, v23
	v_add_nc_u32_e32 v24, s28, v24
	v_mad_u64_u32 v[39:40], null, s29, v40, v[4:5]
	v_add_nc_u32_e32 v25, s28, v25
	v_add_nc_u32_e32 v26, s28, v26
	v_cmp_le_u32_e64 s4, s29, v38
	v_add_nc_u32_e32 v27, s28, v27
	v_add_nc_u32_e32 v28, s28, v28
	;; [unrolled: 1-line block ×4, first 2 shown]
	v_cndmask_b32_e64 v40, v38, v39, s4
	v_not_b32_e32 v39, v37
	v_mad_u64_u32 v[37:38], null, s30, v37, v[5:6]
	v_mad_u64_u32 v[38:39], null, s29, v39, v[5:6]
	v_cmp_le_u32_e64 s5, s29, v37
	v_cndmask_b32_e64 v39, v37, v38, s5
	v_not_b32_e32 v38, v36
	v_mad_u64_u32 v[36:37], null, s30, v36, v[6:7]
	v_mad_u64_u32 v[37:38], null, s29, v38, v[6:7]
	v_cmp_le_u32_e64 s6, s29, v36
	;; [unrolled: 5-line block ×4, first 2 shown]
	v_cndmask_b32_e64 v36, v34, v35, s8
	v_not_b32_e32 v35, v33
	v_mad_u64_u32 v[33:34], null, s30, v33, v[9:10]
	v_mad_u64_u32 v[34:35], null, s29, v35, v[9:10]
	v_not_b32_e32 v35, v46
	v_cmp_le_u32_e64 s9, s29, v33
	v_cndmask_b32_e64 v60, v33, v34, s9
	v_mad_u64_u32 v[33:34], null, s30, v46, v[10:11]
	v_mad_u64_u32 v[34:35], null, s29, v35, v[10:11]
	v_not_b32_e32 v35, v47
	v_cmp_le_u32_e64 s10, s29, v33
	v_cndmask_b32_e64 v46, v33, v34, s10
	;; [unrolled: 5-line block ×5, first 2 shown]
	v_mad_u64_u32 v[33:34], null, s30, v50, v[14:15]
	v_add_nc_u32_e32 v50, 1, v32
	v_mad_u64_u32 v[34:35], null, s29, v35, v[14:15]
	v_mul_hi_u32 v35, v11, v30
	v_cndmask_b32_e32 v32, v32, v50, vcc_lo
	v_add_nc_u32_e32 v50, 1, v51
	v_cmp_le_u32_e64 s14, s29, v33
	v_cmp_le_u32_e32 vcc_lo, s29, v43
	v_cndmask_b32_e64 v50, v51, v50, s0
	v_add_nc_u32_e32 v51, 1, v52
	v_cndmask_b32_e64 v33, v33, v34, s14
	v_mul_hi_u32 v34, v10, v30
	v_cmp_le_u32_e64 s0, s29, v42
	v_cndmask_b32_e64 v51, v52, v51, s1
	v_add_nc_u32_e32 v52, 1, v53
	v_cmp_le_u32_e64 s1, s29, v41
	v_cndmask_b32_e64 v52, v53, v52, s2
	v_add_nc_u32_e32 v53, 1, v54
	;; [unrolled: 3-line block ×3, first 2 shown]
	v_cmp_le_u32_e64 s3, s29, v39
	v_add_nc_u32_e32 v42, 1, v53
	v_cndmask_b32_e64 v54, v55, v54, s4
	v_add_nc_u32_e32 v55, 1, v56
	v_cmp_le_u32_e64 s4, s29, v38
	v_cndmask_b32_e64 v42, v53, v42, s1
	v_add_nc_u32_e32 v41, 1, v54
	v_cndmask_b32_e64 v55, v56, v55, s5
	v_add_nc_u32_e32 v56, 1, v57
	v_cmp_le_u32_e64 s5, s29, v37
	v_cndmask_b32_e64 v41, v54, v41, s2
	;; [unrolled: 5-line block ×3, first 2 shown]
	v_add_nc_u32_e32 v39, 1, v56
	v_cndmask_b32_e64 v57, v58, v57, s7
	v_add_nc_u32_e32 v58, 1, v59
	v_cmp_le_u32_e64 s7, s29, v60
	v_add_nc_u32_e32 v38, 1, v57
	v_cndmask_b32_e64 v58, v59, v58, s8
	v_add_nc_u32_e32 v59, 1, v15
	v_cmp_le_u32_e64 s8, s29, v46
	v_cndmask_b32_e64 v53, v57, v38, s5
	v_add_nc_u32_e32 v37, 1, v58
	v_cndmask_b32_e64 v15, v15, v59, s9
	v_add_nc_u32_e32 v59, 1, v34
	v_cmp_le_u32_e64 s9, s29, v47
	v_cndmask_b32_e64 v54, v58, v37, s6
	;; [unrolled: 5-line block ×3, first 2 shown]
	v_add_nc_u32_e32 v43, 1, v59
	v_cndmask_b32_e64 v61, v35, v34, s11
	v_mul_hi_u32 v34, v12, v30
	v_cmp_le_u32_e64 s11, s29, v49
	v_cndmask_b32_e64 v43, v59, v43, s8
	v_add_nc_u32_e32 v46, 1, v61
	v_add_nc_u32_e32 v35, 1, v34
	v_cndmask_b32_e64 v46, v61, v46, s9
	v_cndmask_b32_e64 v62, v34, v35, s12
	v_mul_hi_u32 v34, v13, v30
	v_cmp_le_u32_e64 s12, s29, v33
	v_add_nc_u32_e32 v33, 1, v50
	v_add_nc_u32_e32 v47, 1, v62
	;; [unrolled: 1-line block ×3, first 2 shown]
	v_cndmask_b32_e64 v47, v62, v47, s10
	v_cndmask_b32_e64 v63, v34, v35, s13
	v_mul_hi_u32 v34, v14, v30
	v_cmp_le_u32_e64 s13, s29, v44
	v_add_nc_u32_e32 v44, 1, v32
	v_add_nc_u32_e32 v48, 1, v63
	v_add_nc_u32_e32 v35, 1, v34
	v_cndmask_b32_e64 v48, v63, v48, s11
	v_cndmask_b32_e64 v64, v34, v35, s14
	v_add_nc_u32_e32 v34, 1, v51
	v_add_nc_u32_e32 v35, 1, v52
	v_cmp_le_u32_e64 s14, s29, v45
	v_cndmask_b32_e64 v45, v50, v33, s13
	v_add_nc_u32_e32 v49, 1, v64
	v_cndmask_b32_e32 v50, v51, v34, vcc_lo
	v_cndmask_b32_e64 v51, v52, v35, s0
	v_cndmask_b32_e64 v44, v32, v44, s14
	global_load_dwordx4 v[32:35], v0, s[20:21]
	v_cndmask_b32_e64 v52, v56, v39, s4
	v_cndmask_b32_e64 v49, v64, v49, s12
	v_mad_u64_u32 v[36:37], null, s30, v44, v[0:1]
	v_mad_u64_u32 v[37:38], null, s30, v50, v[1:2]
	;; [unrolled: 1-line block ×15, first 2 shown]
	v_add_nc_u32_e32 v0, s28, v0
	v_mad_u64_u32 v[13:14], null, s30, v49, v[14:15]
	v_mul_lo_u32 v14, v44, s18
	v_mul_lo_u32 v36, v36, s19
	;; [unrolled: 1-line block ×9, first 2 shown]
	v_add_nc_u32_e32 v53, 16, v0
	v_mul_lo_u32 v54, v1, s19
	v_mul_lo_u32 v55, v2, s19
	;; [unrolled: 1-line block ×3, first 2 shown]
	v_mad_u64_u32 v[1:2], null, s19, v38, s[24:25]
	v_mul_lo_u32 v37, v37, s19
	v_mul_lo_u32 v42, v42, s18
	;; [unrolled: 1-line block ×19, first 2 shown]
	v_cmp_lt_u32_e32 vcc_lo, s15, v53
	v_add3_u32 v13, v36, v14, s23
	v_add3_u32 v1, v1, v39, s23
	;; [unrolled: 1-line block ×4, first 2 shown]
	s_or_b32 s31, vcc_lo, s31
	v_add3_u32 v36, v54, v45, s23
	v_add3_u32 v37, v55, v42, s23
	;; [unrolled: 1-line block ×12, first 2 shown]
	s_waitcnt vmcnt(0)
	v_lshrrev_b32_e32 v15, 8, v32
	v_lshrrev_b32_e32 v38, 24, v32
	;; [unrolled: 1-line block ×8, first 2 shown]
	global_store_byte v13, v32, s[16:17]
	global_store_byte v1, v15, s[16:17]
	global_store_byte_d16_hi v14, v32, s[16:17]
	global_store_byte v36, v38, s[16:17]
	global_store_byte v37, v33, s[16:17]
	global_store_byte v3, v39, s[16:17]
	global_store_byte_d16_hi v4, v33, s[16:17]
	global_store_byte v5, v40, s[16:17]
	;; [unrolled: 4-line block ×4, first 2 shown]
	s_andn2_b32 exec_lo, exec_lo, s31
	s_cbranch_execnz .LBB106_3
; %bb.4:
	s_or_b32 exec_lo, exec_lo, s31
.LBB106_5:
	s_or_b32 exec_lo, exec_lo, s27
	v_cmp_gt_u32_e32 vcc_lo, s15, v0
	s_and_b32 exec_lo, exec_lo, vcc_lo
	s_cbranch_execz .LBB106_8
; %bb.6:
	s_cmp_eq_u32 s22, 1
	s_mov_b32 s3, 0
	s_cselect_b32 s1, s26, s25
	v_cvt_f32_u32_e32 v1, s1
	s_sub_i32 s2, 0, s1
	v_rcp_iflag_f32_e32 v1, v1
	v_mul_f32_e32 v1, 0x4f7ffffe, v1
	v_cvt_u32_f32_e32 v1, v1
	v_mul_lo_u32 v2, s2, v1
	v_mul_hi_u32 v2, v1, v2
	v_add_nc_u32_e32 v4, v1, v2
	v_mov_b32_e32 v1, 0
	v_mad_u64_u32 v[2:3], null, v0, v4, 0
	s_inst_prefetch 0x1
	.p2align	6
.LBB106_7:                              ; =>This Inner Loop Header: Depth=1
	v_add_co_u32 v5, vcc_lo, s20, v0
	v_add_co_ci_u32_e64 v6, null, s21, v1, vcc_lo
	v_add_nc_u32_e32 v8, 1, v3
	v_add_co_u32 v2, s0, v2, v4
	global_load_ubyte v7, v[5:6], off
	v_mul_lo_u32 v5, s1, v3
	v_not_b32_e32 v6, v3
	v_sub_nc_u32_e32 v9, v0, v5
	v_mad_u64_u32 v[5:6], null, s1, v6, v[0:1]
	v_cmp_le_u32_e32 vcc_lo, s1, v9
	v_cndmask_b32_e32 v6, v3, v8, vcc_lo
	v_cndmask_b32_e32 v5, v9, v5, vcc_lo
	v_add_co_ci_u32_e64 v3, null, 0, v3, s0
	v_add_nc_u32_e32 v8, 1, v6
	v_cmp_le_u32_e32 vcc_lo, s1, v5
	v_cndmask_b32_e32 v8, v6, v8, vcc_lo
	v_mad_u64_u32 v[5:6], null, s2, v8, v[0:1]
	v_mul_lo_u32 v6, v8, s18
	v_add_co_u32 v0, vcc_lo, v0, 1
	v_add_co_ci_u32_e64 v1, null, 0, v1, vcc_lo
	v_mul_lo_u32 v5, v5, s19
	v_cmp_le_u32_e32 vcc_lo, s15, v0
	s_or_b32 s3, vcc_lo, s3
	v_add3_u32 v5, v5, v6, s23
	s_waitcnt vmcnt(0)
	global_store_byte v5, v7, s[16:17]
	s_andn2_b32 exec_lo, exec_lo, s3
	s_cbranch_execnz .LBB106_7
.LBB106_8:
	s_inst_prefetch 0x2
	s_endpgm
	.section	.rodata,"a",@progbits
	.p2align	6, 0x0
	.amdhsa_kernel _ZN2at6native12_GLOBAL__N_135CatArrayBatchedCopy_alignedK_contigINS1_10OpaqueTypeILj1EEEjLi2ELi64ELi64ELi16EEEvPT_NS1_25CatArrInputTensorMetadataIS5_T0_XT2_EXT3_EEENS1_16TensorSizeStrideIS8_Lj4EEEiS8_
		.amdhsa_group_segment_fixed_size 0
		.amdhsa_private_segment_fixed_size 0
		.amdhsa_kernarg_size 3696
		.amdhsa_user_sgpr_count 6
		.amdhsa_user_sgpr_private_segment_buffer 1
		.amdhsa_user_sgpr_dispatch_ptr 0
		.amdhsa_user_sgpr_queue_ptr 0
		.amdhsa_user_sgpr_kernarg_segment_ptr 1
		.amdhsa_user_sgpr_dispatch_id 0
		.amdhsa_user_sgpr_flat_scratch_init 0
		.amdhsa_user_sgpr_private_segment_size 0
		.amdhsa_wavefront_size32 1
		.amdhsa_uses_dynamic_stack 0
		.amdhsa_system_sgpr_private_segment_wavefront_offset 0
		.amdhsa_system_sgpr_workgroup_id_x 1
		.amdhsa_system_sgpr_workgroup_id_y 1
		.amdhsa_system_sgpr_workgroup_id_z 0
		.amdhsa_system_sgpr_workgroup_info 0
		.amdhsa_system_vgpr_workitem_id 0
		.amdhsa_next_free_vgpr 65
		.amdhsa_next_free_sgpr 32
		.amdhsa_reserve_vcc 1
		.amdhsa_reserve_flat_scratch 0
		.amdhsa_float_round_mode_32 0
		.amdhsa_float_round_mode_16_64 0
		.amdhsa_float_denorm_mode_32 3
		.amdhsa_float_denorm_mode_16_64 3
		.amdhsa_dx10_clamp 1
		.amdhsa_ieee_mode 1
		.amdhsa_fp16_overflow 0
		.amdhsa_workgroup_processor_mode 1
		.amdhsa_memory_ordered 1
		.amdhsa_forward_progress 1
		.amdhsa_shared_vgpr_count 0
		.amdhsa_exception_fp_ieee_invalid_op 0
		.amdhsa_exception_fp_denorm_src 0
		.amdhsa_exception_fp_ieee_div_zero 0
		.amdhsa_exception_fp_ieee_overflow 0
		.amdhsa_exception_fp_ieee_underflow 0
		.amdhsa_exception_fp_ieee_inexact 0
		.amdhsa_exception_int_div_zero 0
	.end_amdhsa_kernel
	.section	.text._ZN2at6native12_GLOBAL__N_135CatArrayBatchedCopy_alignedK_contigINS1_10OpaqueTypeILj1EEEjLi2ELi64ELi64ELi16EEEvPT_NS1_25CatArrInputTensorMetadataIS5_T0_XT2_EXT3_EEENS1_16TensorSizeStrideIS8_Lj4EEEiS8_,"axG",@progbits,_ZN2at6native12_GLOBAL__N_135CatArrayBatchedCopy_alignedK_contigINS1_10OpaqueTypeILj1EEEjLi2ELi64ELi64ELi16EEEvPT_NS1_25CatArrInputTensorMetadataIS5_T0_XT2_EXT3_EEENS1_16TensorSizeStrideIS8_Lj4EEEiS8_,comdat
.Lfunc_end106:
	.size	_ZN2at6native12_GLOBAL__N_135CatArrayBatchedCopy_alignedK_contigINS1_10OpaqueTypeILj1EEEjLi2ELi64ELi64ELi16EEEvPT_NS1_25CatArrInputTensorMetadataIS5_T0_XT2_EXT3_EEENS1_16TensorSizeStrideIS8_Lj4EEEiS8_, .Lfunc_end106-_ZN2at6native12_GLOBAL__N_135CatArrayBatchedCopy_alignedK_contigINS1_10OpaqueTypeILj1EEEjLi2ELi64ELi64ELi16EEEvPT_NS1_25CatArrInputTensorMetadataIS5_T0_XT2_EXT3_EEENS1_16TensorSizeStrideIS8_Lj4EEEiS8_
                                        ; -- End function
	.set _ZN2at6native12_GLOBAL__N_135CatArrayBatchedCopy_alignedK_contigINS1_10OpaqueTypeILj1EEEjLi2ELi64ELi64ELi16EEEvPT_NS1_25CatArrInputTensorMetadataIS5_T0_XT2_EXT3_EEENS1_16TensorSizeStrideIS8_Lj4EEEiS8_.num_vgpr, 65
	.set _ZN2at6native12_GLOBAL__N_135CatArrayBatchedCopy_alignedK_contigINS1_10OpaqueTypeILj1EEEjLi2ELi64ELi64ELi16EEEvPT_NS1_25CatArrInputTensorMetadataIS5_T0_XT2_EXT3_EEENS1_16TensorSizeStrideIS8_Lj4EEEiS8_.num_agpr, 0
	.set _ZN2at6native12_GLOBAL__N_135CatArrayBatchedCopy_alignedK_contigINS1_10OpaqueTypeILj1EEEjLi2ELi64ELi64ELi16EEEvPT_NS1_25CatArrInputTensorMetadataIS5_T0_XT2_EXT3_EEENS1_16TensorSizeStrideIS8_Lj4EEEiS8_.numbered_sgpr, 32
	.set _ZN2at6native12_GLOBAL__N_135CatArrayBatchedCopy_alignedK_contigINS1_10OpaqueTypeILj1EEEjLi2ELi64ELi64ELi16EEEvPT_NS1_25CatArrInputTensorMetadataIS5_T0_XT2_EXT3_EEENS1_16TensorSizeStrideIS8_Lj4EEEiS8_.num_named_barrier, 0
	.set _ZN2at6native12_GLOBAL__N_135CatArrayBatchedCopy_alignedK_contigINS1_10OpaqueTypeILj1EEEjLi2ELi64ELi64ELi16EEEvPT_NS1_25CatArrInputTensorMetadataIS5_T0_XT2_EXT3_EEENS1_16TensorSizeStrideIS8_Lj4EEEiS8_.private_seg_size, 0
	.set _ZN2at6native12_GLOBAL__N_135CatArrayBatchedCopy_alignedK_contigINS1_10OpaqueTypeILj1EEEjLi2ELi64ELi64ELi16EEEvPT_NS1_25CatArrInputTensorMetadataIS5_T0_XT2_EXT3_EEENS1_16TensorSizeStrideIS8_Lj4EEEiS8_.uses_vcc, 1
	.set _ZN2at6native12_GLOBAL__N_135CatArrayBatchedCopy_alignedK_contigINS1_10OpaqueTypeILj1EEEjLi2ELi64ELi64ELi16EEEvPT_NS1_25CatArrInputTensorMetadataIS5_T0_XT2_EXT3_EEENS1_16TensorSizeStrideIS8_Lj4EEEiS8_.uses_flat_scratch, 0
	.set _ZN2at6native12_GLOBAL__N_135CatArrayBatchedCopy_alignedK_contigINS1_10OpaqueTypeILj1EEEjLi2ELi64ELi64ELi16EEEvPT_NS1_25CatArrInputTensorMetadataIS5_T0_XT2_EXT3_EEENS1_16TensorSizeStrideIS8_Lj4EEEiS8_.has_dyn_sized_stack, 0
	.set _ZN2at6native12_GLOBAL__N_135CatArrayBatchedCopy_alignedK_contigINS1_10OpaqueTypeILj1EEEjLi2ELi64ELi64ELi16EEEvPT_NS1_25CatArrInputTensorMetadataIS5_T0_XT2_EXT3_EEENS1_16TensorSizeStrideIS8_Lj4EEEiS8_.has_recursion, 0
	.set _ZN2at6native12_GLOBAL__N_135CatArrayBatchedCopy_alignedK_contigINS1_10OpaqueTypeILj1EEEjLi2ELi64ELi64ELi16EEEvPT_NS1_25CatArrInputTensorMetadataIS5_T0_XT2_EXT3_EEENS1_16TensorSizeStrideIS8_Lj4EEEiS8_.has_indirect_call, 0
	.section	.AMDGPU.csdata,"",@progbits
; Kernel info:
; codeLenInByte = 2800
; TotalNumSgprs: 34
; NumVgprs: 65
; ScratchSize: 0
; MemoryBound: 0
; FloatMode: 240
; IeeeMode: 1
; LDSByteSize: 0 bytes/workgroup (compile time only)
; SGPRBlocks: 0
; VGPRBlocks: 8
; NumSGPRsForWavesPerEU: 34
; NumVGPRsForWavesPerEU: 65
; Occupancy: 12
; WaveLimiterHint : 1
; COMPUTE_PGM_RSRC2:SCRATCH_EN: 0
; COMPUTE_PGM_RSRC2:USER_SGPR: 6
; COMPUTE_PGM_RSRC2:TRAP_HANDLER: 0
; COMPUTE_PGM_RSRC2:TGID_X_EN: 1
; COMPUTE_PGM_RSRC2:TGID_Y_EN: 1
; COMPUTE_PGM_RSRC2:TGID_Z_EN: 0
; COMPUTE_PGM_RSRC2:TIDIG_COMP_CNT: 0
	.section	.text._ZN2at6native12_GLOBAL__N_135CatArrayBatchedCopy_alignedK_contigINS1_10OpaqueTypeILj1EEEjLi2ELi64ELi64ELi8EEEvPT_NS1_25CatArrInputTensorMetadataIS5_T0_XT2_EXT3_EEENS1_16TensorSizeStrideIS8_Lj4EEEiS8_,"axG",@progbits,_ZN2at6native12_GLOBAL__N_135CatArrayBatchedCopy_alignedK_contigINS1_10OpaqueTypeILj1EEEjLi2ELi64ELi64ELi8EEEvPT_NS1_25CatArrInputTensorMetadataIS5_T0_XT2_EXT3_EEENS1_16TensorSizeStrideIS8_Lj4EEEiS8_,comdat
	.globl	_ZN2at6native12_GLOBAL__N_135CatArrayBatchedCopy_alignedK_contigINS1_10OpaqueTypeILj1EEEjLi2ELi64ELi64ELi8EEEvPT_NS1_25CatArrInputTensorMetadataIS5_T0_XT2_EXT3_EEENS1_16TensorSizeStrideIS8_Lj4EEEiS8_ ; -- Begin function _ZN2at6native12_GLOBAL__N_135CatArrayBatchedCopy_alignedK_contigINS1_10OpaqueTypeILj1EEEjLi2ELi64ELi64ELi8EEEvPT_NS1_25CatArrInputTensorMetadataIS5_T0_XT2_EXT3_EEENS1_16TensorSizeStrideIS8_Lj4EEEiS8_
	.p2align	8
	.type	_ZN2at6native12_GLOBAL__N_135CatArrayBatchedCopy_alignedK_contigINS1_10OpaqueTypeILj1EEEjLi2ELi64ELi64ELi8EEEvPT_NS1_25CatArrInputTensorMetadataIS5_T0_XT2_EXT3_EEENS1_16TensorSizeStrideIS8_Lj4EEEiS8_,@function
_ZN2at6native12_GLOBAL__N_135CatArrayBatchedCopy_alignedK_contigINS1_10OpaqueTypeILj1EEEjLi2ELi64ELi64ELi8EEEvPT_NS1_25CatArrInputTensorMetadataIS5_T0_XT2_EXT3_EEENS1_16TensorSizeStrideIS8_Lj4EEEiS8_: ; @_ZN2at6native12_GLOBAL__N_135CatArrayBatchedCopy_alignedK_contigINS1_10OpaqueTypeILj1EEEjLi2ELi64ELi64ELi8EEEvPT_NS1_25CatArrInputTensorMetadataIS5_T0_XT2_EXT3_EEENS1_16TensorSizeStrideIS8_Lj4EEEiS8_
; %bb.0:
	s_mov_b32 s2, s7
	s_load_dword s7, s[4:5], 0xd7c
	s_mov_b32 s3, 0
	s_add_u32 s0, s4, 0xd70
	s_addc_u32 s1, s5, 0
	s_lshl_b64 s[2:3], s[2:3], 2
	s_waitcnt lgkmcnt(0)
	s_and_b32 s14, s7, 0xffff
	s_add_u32 s8, s4, s2
	s_addc_u32 s9, s5, s3
	s_mul_i32 s6, s6, s14
	s_load_dword s15, s[8:9], 0x408
	v_add_lshl_u32 v0, s6, v0, 3
	s_add_u32 s6, s8, 8
	s_addc_u32 s7, s9, 0
	s_mov_b32 s8, exec_lo
	s_waitcnt lgkmcnt(0)
	v_cmpx_gt_u32_e64 s15, v0
	s_cbranch_execz .LBB107_8
; %bb.1:
	s_add_u32 s10, s6, s2
	s_addc_u32 s11, s7, s3
	s_sub_u32 s2, 0, s2
	s_subb_u32 s3, 0, s3
	s_add_u32 s2, s10, s2
	s_addc_u32 s3, s11, s3
	s_clause 0x6
	s_load_dwordx2 s[6:7], s[4:5], 0x0
	s_load_dwordx2 s[12:13], s[4:5], 0xd68
	s_load_dword s16, s[4:5], 0xd4c
	s_load_dwordx2 s[8:9], s[4:5], 0xd58
	s_load_dword s4, s[2:3], 0x200
	;; [unrolled: 2-line block ×3, first 2 shown]
	v_add_nc_u32_e32 v1, 8, v0
	s_mov_b32 s18, exec_lo
	s_waitcnt lgkmcnt(0)
	s_mul_i32 s13, s4, s13
	v_cmpx_ge_u32_e64 s15, v1
	s_cbranch_execz .LBB107_5
; %bb.2:
	s_load_dword s0, s[0:1], 0x0
	v_add_nc_u32_e32 v2, 6, v0
	v_add_nc_u32_e32 v3, 5, v0
	v_add_nc_u32_e32 v4, 4, v0
	v_add_nc_u32_e32 v5, 3, v0
	v_add_nc_u32_e32 v6, 2, v0
	s_mov_b32 s22, 0
	s_waitcnt lgkmcnt(0)
	s_mul_i32 s0, s0, s14
	s_mov_b32 s14, s9
	s_lshl_b32 s19, s0, 3
	s_cmp_eq_u32 s12, 1
	s_cselect_b32 s20, s17, s16
	v_cvt_f32_u32_e32 v1, s20
	s_sub_i32 s21, 0, s20
	v_rcp_iflag_f32_e32 v1, v1
	v_mul_f32_e32 v1, 0x4f7ffffe, v1
	v_cvt_u32_f32_e32 v7, v1
	v_mul_lo_u32 v1, s21, v7
	v_mul_hi_u32 v8, v7, v1
	v_add_nc_u32_e32 v1, 7, v0
	v_add_nc_u32_e32 v7, v7, v8
	;; [unrolled: 1-line block ×3, first 2 shown]
.LBB107_3:                              ; =>This Inner Loop Header: Depth=1
	global_load_dwordx2 v[9:10], v0, s[10:11]
	v_mul_hi_u32 v29, v7, v0
	v_mul_hi_u32 v20, v7, v8
	;; [unrolled: 1-line block ×4, first 2 shown]
	v_add_nc_u32_e32 v1, s19, v1
	v_mul_hi_u32 v22, v7, v5
	v_mul_hi_u32 v23, v7, v4
	v_add_nc_u32_e32 v11, 1, v0
	v_add_nc_u32_e32 v12, 2, v0
	v_mul_hi_u32 v24, v7, v3
	v_add_nc_u32_e32 v13, 3, v0
	v_mul_hi_u32 v25, v7, v2
	v_add_nc_u32_e32 v14, 4, v0
	v_add_nc_u32_e32 v15, 5, v0
	v_mad_u64_u32 v[18:19], null, s21, v29, v[0:1]
	v_add_nc_u32_e32 v16, 6, v0
	v_add_nc_u32_e32 v17, 7, v0
	v_not_b32_e32 v28, v20
	v_mad_u64_u32 v[19:20], null, s21, v20, v[11:12]
	v_not_b32_e32 v42, v21
	v_mad_u64_u32 v[20:21], null, s21, v21, v[12:13]
	v_not_b32_e32 v27, v29
	v_not_b32_e32 v30, v22
	v_mad_u64_u32 v[21:22], null, s21, v22, v[13:14]
	v_not_b32_e32 v41, v23
	v_mad_u64_u32 v[22:23], null, s21, v23, v[14:15]
	;; [unrolled: 2-line block ×5, first 2 shown]
	v_mad_u64_u32 v[26:27], null, s20, v27, v[0:1]
	v_mul_hi_u32 v31, v11, v7
	v_add_nc_u32_e32 v43, 1, v29
	v_cmp_le_u32_e32 vcc_lo, s20, v18
	v_mad_u64_u32 v[27:28], null, s20, v28, v[11:12]
	v_mul_hi_u32 v32, v12, v7
	v_mul_hi_u32 v36, v16, v7
	v_cndmask_b32_e32 v43, v29, v43, vcc_lo
	v_cndmask_b32_e32 v45, v18, v26, vcc_lo
	v_cmp_le_u32_e32 vcc_lo, s20, v19
	v_add_nc_u32_e32 v11, 1, v31
	v_mul_hi_u32 v33, v13, v7
	v_mul_hi_u32 v34, v14, v7
	;; [unrolled: 1-line block ×3, first 2 shown]
	v_cndmask_b32_e32 v47, v19, v27, vcc_lo
	v_mad_u64_u32 v[18:19], null, s20, v41, v[14:15]
	v_add_nc_u32_e32 v44, 1, v32
	v_cndmask_b32_e32 v11, v31, v11, vcc_lo
	v_cmp_le_u32_e32 vcc_lo, s20, v20
	v_mul_hi_u32 v37, v17, v7
	v_mad_u64_u32 v[28:29], null, s20, v42, v[12:13]
	v_mad_u64_u32 v[29:30], null, s20, v30, v[13:14]
	;; [unrolled: 1-line block ×3, first 2 shown]
	v_add_nc_u32_e32 v40, 1, v36
	v_mad_u64_u32 v[30:31], null, s20, v39, v[16:17]
	v_cmp_le_u32_e64 s4, s20, v24
	v_add_nc_u32_e32 v42, 1, v33
	v_cndmask_b32_e32 v27, v32, v44, vcc_lo
	v_cmp_le_u32_e64 s0, s20, v21
	v_mad_u64_u32 v[31:32], null, s20, v38, v[17:18]
	v_add_nc_u32_e32 v46, 1, v34
	v_add_nc_u32_e32 v19, 1, v35
	v_cmp_le_u32_e64 s1, s20, v22
	v_cmp_le_u32_e64 s2, s20, v23
	;; [unrolled: 1-line block ×3, first 2 shown]
	v_add_nc_u32_e32 v39, 1, v37
	v_cndmask_b32_e64 v32, v36, v40, s4
	v_add_nc_u32_e32 v36, 1, v43
	v_cndmask_b32_e32 v20, v20, v28, vcc_lo
	v_cmp_le_u32_e32 vcc_lo, s20, v45
	v_cndmask_b32_e64 v33, v33, v42, s0
	v_cndmask_b32_e64 v21, v21, v29, s0
	;; [unrolled: 1-line block ×8, first 2 shown]
	v_add_nc_u32_e32 v25, 1, v11
	v_cmp_le_u32_e64 s5, s20, v47
	v_cndmask_b32_e64 v35, v37, v39, s3
	v_add_nc_u32_e32 v26, 1, v27
	v_cndmask_b32_e32 v36, v43, v36, vcc_lo
	v_cmp_le_u32_e32 vcc_lo, s20, v20
	v_add_nc_u32_e32 v28, 1, v33
	v_cmp_le_u32_e64 s0, s20, v21
	v_add_nc_u32_e32 v29, 1, v34
	v_add_nc_u32_e32 v30, 1, v19
	v_cmp_le_u32_e64 s1, s20, v18
	v_cmp_le_u32_e64 s2, s20, v22
	v_add_nc_u32_e32 v31, 1, v32
	v_cmp_le_u32_e64 s3, s20, v23
	v_cndmask_b32_e64 v11, v11, v25, s5
	v_add_nc_u32_e32 v37, 1, v35
	v_cmp_le_u32_e64 s4, s20, v24
	v_cndmask_b32_e32 v21, v27, v26, vcc_lo
	v_cndmask_b32_e64 v22, v33, v28, s0
	v_cndmask_b32_e64 v23, v34, v29, s1
	;; [unrolled: 1-line block ×3, first 2 shown]
	v_mad_u64_u32 v[18:19], null, s21, v36, v[0:1]
	v_cndmask_b32_e64 v25, v32, v31, s3
	v_mad_u64_u32 v[19:20], null, s21, v11, v[0:1]
	v_cndmask_b32_e64 v26, v35, v37, s4
	v_mul_lo_u32 v20, v11, s8
	v_mad_u64_u32 v[11:12], null, s21, v21, v[12:13]
	v_mad_u64_u32 v[12:13], null, s21, v22, v[13:14]
	;; [unrolled: 1-line block ×5, first 2 shown]
	v_add_nc_u32_e32 v0, s19, v0
	v_mad_u64_u32 v[16:17], null, s21, v26, v[17:18]
	v_mul_lo_u32 v27, v36, s8
	v_mul_lo_u32 v29, v18, s9
	v_add_nc_u32_e32 v28, 8, v0
	v_mad_u64_u32 v[17:18], null, s9, v19, s[14:15]
	v_mul_lo_u32 v21, v21, s8
	v_mul_lo_u32 v11, v11, s9
	;; [unrolled: 1-line block ×12, first 2 shown]
	v_cmp_lt_u32_e32 vcc_lo, s15, v28
	v_add_nc_u32_e32 v2, s19, v2
	v_add_nc_u32_e32 v3, s19, v3
	;; [unrolled: 1-line block ×6, first 2 shown]
	v_add3_u32 v18, v29, v27, s13
	v_add3_u32 v17, v17, v20, s13
	;; [unrolled: 1-line block ×3, first 2 shown]
	s_or_b32 s22, vcc_lo, s22
	v_add3_u32 v12, v12, v22, s13
	v_add3_u32 v13, v13, v23, s13
	;; [unrolled: 1-line block ×5, first 2 shown]
	s_waitcnt vmcnt(0)
	v_lshrrev_b32_e32 v19, 8, v9
	v_lshrrev_b32_e32 v20, 24, v9
	;; [unrolled: 1-line block ×4, first 2 shown]
	global_store_byte v18, v9, s[6:7]
	global_store_byte v17, v19, s[6:7]
	global_store_byte_d16_hi v11, v9, s[6:7]
	global_store_byte v12, v20, s[6:7]
	global_store_byte v13, v10, s[6:7]
	;; [unrolled: 1-line block ×3, first 2 shown]
	global_store_byte_d16_hi v15, v10, s[6:7]
	global_store_byte v16, v22, s[6:7]
	s_andn2_b32 exec_lo, exec_lo, s22
	s_cbranch_execnz .LBB107_3
; %bb.4:
	s_or_b32 exec_lo, exec_lo, s22
.LBB107_5:
	s_or_b32 exec_lo, exec_lo, s18
	v_cmp_gt_u32_e32 vcc_lo, s15, v0
	s_and_b32 exec_lo, exec_lo, vcc_lo
	s_cbranch_execz .LBB107_8
; %bb.6:
	s_cmp_eq_u32 s12, 1
	s_mov_b32 s3, 0
	s_cselect_b32 s1, s17, s16
	v_cvt_f32_u32_e32 v1, s1
	s_sub_i32 s2, 0, s1
	v_rcp_iflag_f32_e32 v1, v1
	v_mul_f32_e32 v1, 0x4f7ffffe, v1
	v_cvt_u32_f32_e32 v1, v1
	v_mul_lo_u32 v2, s2, v1
	v_mul_hi_u32 v2, v1, v2
	v_add_nc_u32_e32 v4, v1, v2
	v_mov_b32_e32 v1, 0
	v_mad_u64_u32 v[2:3], null, v0, v4, 0
	s_inst_prefetch 0x1
	.p2align	6
.LBB107_7:                              ; =>This Inner Loop Header: Depth=1
	v_add_co_u32 v5, vcc_lo, s10, v0
	v_add_co_ci_u32_e64 v6, null, s11, v1, vcc_lo
	v_add_nc_u32_e32 v8, 1, v3
	v_add_co_u32 v2, s0, v2, v4
	global_load_ubyte v7, v[5:6], off
	v_mul_lo_u32 v5, s1, v3
	v_not_b32_e32 v6, v3
	v_sub_nc_u32_e32 v9, v0, v5
	v_mad_u64_u32 v[5:6], null, s1, v6, v[0:1]
	v_cmp_le_u32_e32 vcc_lo, s1, v9
	v_cndmask_b32_e32 v6, v3, v8, vcc_lo
	v_cndmask_b32_e32 v5, v9, v5, vcc_lo
	v_add_co_ci_u32_e64 v3, null, 0, v3, s0
	v_add_nc_u32_e32 v8, 1, v6
	v_cmp_le_u32_e32 vcc_lo, s1, v5
	v_cndmask_b32_e32 v8, v6, v8, vcc_lo
	v_mad_u64_u32 v[5:6], null, s2, v8, v[0:1]
	v_mul_lo_u32 v6, v8, s8
	v_add_co_u32 v0, vcc_lo, v0, 1
	v_add_co_ci_u32_e64 v1, null, 0, v1, vcc_lo
	v_mul_lo_u32 v5, v5, s9
	v_cmp_le_u32_e32 vcc_lo, s15, v0
	s_or_b32 s3, vcc_lo, s3
	v_add3_u32 v5, v5, v6, s13
	s_waitcnt vmcnt(0)
	global_store_byte v5, v7, s[6:7]
	s_andn2_b32 exec_lo, exec_lo, s3
	s_cbranch_execnz .LBB107_7
.LBB107_8:
	s_inst_prefetch 0x2
	s_endpgm
	.section	.rodata,"a",@progbits
	.p2align	6, 0x0
	.amdhsa_kernel _ZN2at6native12_GLOBAL__N_135CatArrayBatchedCopy_alignedK_contigINS1_10OpaqueTypeILj1EEEjLi2ELi64ELi64ELi8EEEvPT_NS1_25CatArrInputTensorMetadataIS5_T0_XT2_EXT3_EEENS1_16TensorSizeStrideIS8_Lj4EEEiS8_
		.amdhsa_group_segment_fixed_size 0
		.amdhsa_private_segment_fixed_size 0
		.amdhsa_kernarg_size 3696
		.amdhsa_user_sgpr_count 6
		.amdhsa_user_sgpr_private_segment_buffer 1
		.amdhsa_user_sgpr_dispatch_ptr 0
		.amdhsa_user_sgpr_queue_ptr 0
		.amdhsa_user_sgpr_kernarg_segment_ptr 1
		.amdhsa_user_sgpr_dispatch_id 0
		.amdhsa_user_sgpr_flat_scratch_init 0
		.amdhsa_user_sgpr_private_segment_size 0
		.amdhsa_wavefront_size32 1
		.amdhsa_uses_dynamic_stack 0
		.amdhsa_system_sgpr_private_segment_wavefront_offset 0
		.amdhsa_system_sgpr_workgroup_id_x 1
		.amdhsa_system_sgpr_workgroup_id_y 1
		.amdhsa_system_sgpr_workgroup_id_z 0
		.amdhsa_system_sgpr_workgroup_info 0
		.amdhsa_system_vgpr_workitem_id 0
		.amdhsa_next_free_vgpr 48
		.amdhsa_next_free_sgpr 23
		.amdhsa_reserve_vcc 1
		.amdhsa_reserve_flat_scratch 0
		.amdhsa_float_round_mode_32 0
		.amdhsa_float_round_mode_16_64 0
		.amdhsa_float_denorm_mode_32 3
		.amdhsa_float_denorm_mode_16_64 3
		.amdhsa_dx10_clamp 1
		.amdhsa_ieee_mode 1
		.amdhsa_fp16_overflow 0
		.amdhsa_workgroup_processor_mode 1
		.amdhsa_memory_ordered 1
		.amdhsa_forward_progress 1
		.amdhsa_shared_vgpr_count 0
		.amdhsa_exception_fp_ieee_invalid_op 0
		.amdhsa_exception_fp_denorm_src 0
		.amdhsa_exception_fp_ieee_div_zero 0
		.amdhsa_exception_fp_ieee_overflow 0
		.amdhsa_exception_fp_ieee_underflow 0
		.amdhsa_exception_fp_ieee_inexact 0
		.amdhsa_exception_int_div_zero 0
	.end_amdhsa_kernel
	.section	.text._ZN2at6native12_GLOBAL__N_135CatArrayBatchedCopy_alignedK_contigINS1_10OpaqueTypeILj1EEEjLi2ELi64ELi64ELi8EEEvPT_NS1_25CatArrInputTensorMetadataIS5_T0_XT2_EXT3_EEENS1_16TensorSizeStrideIS8_Lj4EEEiS8_,"axG",@progbits,_ZN2at6native12_GLOBAL__N_135CatArrayBatchedCopy_alignedK_contigINS1_10OpaqueTypeILj1EEEjLi2ELi64ELi64ELi8EEEvPT_NS1_25CatArrInputTensorMetadataIS5_T0_XT2_EXT3_EEENS1_16TensorSizeStrideIS8_Lj4EEEiS8_,comdat
.Lfunc_end107:
	.size	_ZN2at6native12_GLOBAL__N_135CatArrayBatchedCopy_alignedK_contigINS1_10OpaqueTypeILj1EEEjLi2ELi64ELi64ELi8EEEvPT_NS1_25CatArrInputTensorMetadataIS5_T0_XT2_EXT3_EEENS1_16TensorSizeStrideIS8_Lj4EEEiS8_, .Lfunc_end107-_ZN2at6native12_GLOBAL__N_135CatArrayBatchedCopy_alignedK_contigINS1_10OpaqueTypeILj1EEEjLi2ELi64ELi64ELi8EEEvPT_NS1_25CatArrInputTensorMetadataIS5_T0_XT2_EXT3_EEENS1_16TensorSizeStrideIS8_Lj4EEEiS8_
                                        ; -- End function
	.set _ZN2at6native12_GLOBAL__N_135CatArrayBatchedCopy_alignedK_contigINS1_10OpaqueTypeILj1EEEjLi2ELi64ELi64ELi8EEEvPT_NS1_25CatArrInputTensorMetadataIS5_T0_XT2_EXT3_EEENS1_16TensorSizeStrideIS8_Lj4EEEiS8_.num_vgpr, 48
	.set _ZN2at6native12_GLOBAL__N_135CatArrayBatchedCopy_alignedK_contigINS1_10OpaqueTypeILj1EEEjLi2ELi64ELi64ELi8EEEvPT_NS1_25CatArrInputTensorMetadataIS5_T0_XT2_EXT3_EEENS1_16TensorSizeStrideIS8_Lj4EEEiS8_.num_agpr, 0
	.set _ZN2at6native12_GLOBAL__N_135CatArrayBatchedCopy_alignedK_contigINS1_10OpaqueTypeILj1EEEjLi2ELi64ELi64ELi8EEEvPT_NS1_25CatArrInputTensorMetadataIS5_T0_XT2_EXT3_EEENS1_16TensorSizeStrideIS8_Lj4EEEiS8_.numbered_sgpr, 23
	.set _ZN2at6native12_GLOBAL__N_135CatArrayBatchedCopy_alignedK_contigINS1_10OpaqueTypeILj1EEEjLi2ELi64ELi64ELi8EEEvPT_NS1_25CatArrInputTensorMetadataIS5_T0_XT2_EXT3_EEENS1_16TensorSizeStrideIS8_Lj4EEEiS8_.num_named_barrier, 0
	.set _ZN2at6native12_GLOBAL__N_135CatArrayBatchedCopy_alignedK_contigINS1_10OpaqueTypeILj1EEEjLi2ELi64ELi64ELi8EEEvPT_NS1_25CatArrInputTensorMetadataIS5_T0_XT2_EXT3_EEENS1_16TensorSizeStrideIS8_Lj4EEEiS8_.private_seg_size, 0
	.set _ZN2at6native12_GLOBAL__N_135CatArrayBatchedCopy_alignedK_contigINS1_10OpaqueTypeILj1EEEjLi2ELi64ELi64ELi8EEEvPT_NS1_25CatArrInputTensorMetadataIS5_T0_XT2_EXT3_EEENS1_16TensorSizeStrideIS8_Lj4EEEiS8_.uses_vcc, 1
	.set _ZN2at6native12_GLOBAL__N_135CatArrayBatchedCopy_alignedK_contigINS1_10OpaqueTypeILj1EEEjLi2ELi64ELi64ELi8EEEvPT_NS1_25CatArrInputTensorMetadataIS5_T0_XT2_EXT3_EEENS1_16TensorSizeStrideIS8_Lj4EEEiS8_.uses_flat_scratch, 0
	.set _ZN2at6native12_GLOBAL__N_135CatArrayBatchedCopy_alignedK_contigINS1_10OpaqueTypeILj1EEEjLi2ELi64ELi64ELi8EEEvPT_NS1_25CatArrInputTensorMetadataIS5_T0_XT2_EXT3_EEENS1_16TensorSizeStrideIS8_Lj4EEEiS8_.has_dyn_sized_stack, 0
	.set _ZN2at6native12_GLOBAL__N_135CatArrayBatchedCopy_alignedK_contigINS1_10OpaqueTypeILj1EEEjLi2ELi64ELi64ELi8EEEvPT_NS1_25CatArrInputTensorMetadataIS5_T0_XT2_EXT3_EEENS1_16TensorSizeStrideIS8_Lj4EEEiS8_.has_recursion, 0
	.set _ZN2at6native12_GLOBAL__N_135CatArrayBatchedCopy_alignedK_contigINS1_10OpaqueTypeILj1EEEjLi2ELi64ELi64ELi8EEEvPT_NS1_25CatArrInputTensorMetadataIS5_T0_XT2_EXT3_EEENS1_16TensorSizeStrideIS8_Lj4EEEiS8_.has_indirect_call, 0
	.section	.AMDGPU.csdata,"",@progbits
; Kernel info:
; codeLenInByte = 1648
; TotalNumSgprs: 25
; NumVgprs: 48
; ScratchSize: 0
; MemoryBound: 0
; FloatMode: 240
; IeeeMode: 1
; LDSByteSize: 0 bytes/workgroup (compile time only)
; SGPRBlocks: 0
; VGPRBlocks: 5
; NumSGPRsForWavesPerEU: 25
; NumVGPRsForWavesPerEU: 48
; Occupancy: 16
; WaveLimiterHint : 1
; COMPUTE_PGM_RSRC2:SCRATCH_EN: 0
; COMPUTE_PGM_RSRC2:USER_SGPR: 6
; COMPUTE_PGM_RSRC2:TRAP_HANDLER: 0
; COMPUTE_PGM_RSRC2:TGID_X_EN: 1
; COMPUTE_PGM_RSRC2:TGID_Y_EN: 1
; COMPUTE_PGM_RSRC2:TGID_Z_EN: 0
; COMPUTE_PGM_RSRC2:TIDIG_COMP_CNT: 0
	.section	.text._ZN2at6native12_GLOBAL__N_126CatArrayBatchedCopy_contigINS1_10OpaqueTypeILj1EEEjLi2ELi64ELi64EEEvPT_NS1_25CatArrInputTensorMetadataIS5_T0_XT2_EXT3_EEENS1_16TensorSizeStrideIS8_Lj4EEEiS8_,"axG",@progbits,_ZN2at6native12_GLOBAL__N_126CatArrayBatchedCopy_contigINS1_10OpaqueTypeILj1EEEjLi2ELi64ELi64EEEvPT_NS1_25CatArrInputTensorMetadataIS5_T0_XT2_EXT3_EEENS1_16TensorSizeStrideIS8_Lj4EEEiS8_,comdat
	.globl	_ZN2at6native12_GLOBAL__N_126CatArrayBatchedCopy_contigINS1_10OpaqueTypeILj1EEEjLi2ELi64ELi64EEEvPT_NS1_25CatArrInputTensorMetadataIS5_T0_XT2_EXT3_EEENS1_16TensorSizeStrideIS8_Lj4EEEiS8_ ; -- Begin function _ZN2at6native12_GLOBAL__N_126CatArrayBatchedCopy_contigINS1_10OpaqueTypeILj1EEEjLi2ELi64ELi64EEEvPT_NS1_25CatArrInputTensorMetadataIS5_T0_XT2_EXT3_EEENS1_16TensorSizeStrideIS8_Lj4EEEiS8_
	.p2align	8
	.type	_ZN2at6native12_GLOBAL__N_126CatArrayBatchedCopy_contigINS1_10OpaqueTypeILj1EEEjLi2ELi64ELi64EEEvPT_NS1_25CatArrInputTensorMetadataIS5_T0_XT2_EXT3_EEENS1_16TensorSizeStrideIS8_Lj4EEEiS8_,@function
_ZN2at6native12_GLOBAL__N_126CatArrayBatchedCopy_contigINS1_10OpaqueTypeILj1EEEjLi2ELi64ELi64EEEvPT_NS1_25CatArrInputTensorMetadataIS5_T0_XT2_EXT3_EEENS1_16TensorSizeStrideIS8_Lj4EEEiS8_: ; @_ZN2at6native12_GLOBAL__N_126CatArrayBatchedCopy_contigINS1_10OpaqueTypeILj1EEEjLi2ELi64ELi64EEEvPT_NS1_25CatArrInputTensorMetadataIS5_T0_XT2_EXT3_EEENS1_16TensorSizeStrideIS8_Lj4EEEiS8_
; %bb.0:
	s_mov_b32 s0, s7
	s_load_dword s7, s[4:5], 0xd7c
	s_mov_b32 s1, 0
	s_add_u32 s8, s4, 0xd70
	s_addc_u32 s9, s5, 0
	s_lshl_b64 s[2:3], s[0:1], 2
	s_mov_b32 s10, exec_lo
	s_waitcnt lgkmcnt(0)
	s_and_b32 s11, s7, 0xffff
	s_add_u32 s12, s4, s2
	s_addc_u32 s13, s5, s3
	v_mad_u64_u32 v[0:1], null, s6, s11, v[0:1]
	s_load_dword s0, s[12:13], 0x408
	s_add_u32 s6, s12, 8
	s_addc_u32 s7, s13, 0
	s_waitcnt lgkmcnt(0)
	v_cmpx_gt_u32_e64 s0, v0
	s_cbranch_execz .LBB108_3
; %bb.1:
	s_add_u32 s6, s6, s2
	s_addc_u32 s7, s7, s3
	s_sub_u32 s2, 0, s2
	s_subb_u32 s3, 0, s3
	s_add_u32 s12, s6, s2
	s_addc_u32 s13, s7, s3
	s_clause 0x5
	s_load_dwordx2 s[14:15], s[4:5], 0xd68
	s_load_dword s10, s[12:13], 0x300
	s_load_dword s16, s[4:5], 0xd4c
	s_load_dwordx2 s[2:3], s[4:5], 0xd58
	s_load_dwordx2 s[4:5], s[4:5], 0x0
	s_load_dword s13, s[12:13], 0x200
	s_load_dword s9, s[8:9], 0x0
	s_load_dwordx2 s[6:7], s[6:7], 0x0
	s_waitcnt lgkmcnt(0)
	s_cmp_eq_u32 s14, 1
	s_cselect_b32 s10, s10, s16
	s_mul_i32 s8, s13, s15
	v_cvt_f32_u32_e32 v1, s10
	s_sub_i32 s12, 0, s10
	s_mul_i32 s9, s9, s11
	v_rcp_iflag_f32_e32 v1, v1
	v_mul_f32_e32 v1, 0x4f7ffffe, v1
	v_cvt_u32_f32_e32 v1, v1
	v_mul_lo_u32 v2, s12, v1
	v_mul_hi_u32 v2, v1, v2
	v_add_nc_u32_e32 v1, v1, v2
	.p2align	6
.LBB108_2:                              ; =>This Inner Loop Header: Depth=1
	global_load_ubyte v4, v0, s[6:7]
	v_mul_hi_u32 v5, v1, v0
	v_mul_lo_u32 v2, s10, v5
	v_not_b32_e32 v3, v5
	v_add_nc_u32_e32 v6, 1, v5
	v_sub_nc_u32_e32 v7, v0, v2
	v_mad_u64_u32 v[2:3], null, s10, v3, v[0:1]
	v_cmp_le_u32_e32 vcc_lo, s10, v7
	v_cndmask_b32_e32 v3, v5, v6, vcc_lo
	v_cndmask_b32_e32 v2, v7, v2, vcc_lo
	v_add_nc_u32_e32 v5, 1, v3
	v_cmp_le_u32_e32 vcc_lo, s10, v2
	v_cndmask_b32_e32 v5, v3, v5, vcc_lo
	v_mad_u64_u32 v[2:3], null, s12, v5, v[0:1]
	v_mul_lo_u32 v3, v5, s2
	v_add_nc_u32_e32 v0, s9, v0
	v_cmp_le_u32_e32 vcc_lo, s0, v0
	v_mul_lo_u32 v2, v2, s3
	s_or_b32 s1, vcc_lo, s1
	v_add3_u32 v2, v3, s8, v2
	s_waitcnt vmcnt(0)
	global_store_byte v2, v4, s[4:5]
	s_andn2_b32 exec_lo, exec_lo, s1
	s_cbranch_execnz .LBB108_2
.LBB108_3:
	s_endpgm
	.section	.rodata,"a",@progbits
	.p2align	6, 0x0
	.amdhsa_kernel _ZN2at6native12_GLOBAL__N_126CatArrayBatchedCopy_contigINS1_10OpaqueTypeILj1EEEjLi2ELi64ELi64EEEvPT_NS1_25CatArrInputTensorMetadataIS5_T0_XT2_EXT3_EEENS1_16TensorSizeStrideIS8_Lj4EEEiS8_
		.amdhsa_group_segment_fixed_size 0
		.amdhsa_private_segment_fixed_size 0
		.amdhsa_kernarg_size 3696
		.amdhsa_user_sgpr_count 6
		.amdhsa_user_sgpr_private_segment_buffer 1
		.amdhsa_user_sgpr_dispatch_ptr 0
		.amdhsa_user_sgpr_queue_ptr 0
		.amdhsa_user_sgpr_kernarg_segment_ptr 1
		.amdhsa_user_sgpr_dispatch_id 0
		.amdhsa_user_sgpr_flat_scratch_init 0
		.amdhsa_user_sgpr_private_segment_size 0
		.amdhsa_wavefront_size32 1
		.amdhsa_uses_dynamic_stack 0
		.amdhsa_system_sgpr_private_segment_wavefront_offset 0
		.amdhsa_system_sgpr_workgroup_id_x 1
		.amdhsa_system_sgpr_workgroup_id_y 1
		.amdhsa_system_sgpr_workgroup_id_z 0
		.amdhsa_system_sgpr_workgroup_info 0
		.amdhsa_system_vgpr_workitem_id 0
		.amdhsa_next_free_vgpr 8
		.amdhsa_next_free_sgpr 17
		.amdhsa_reserve_vcc 1
		.amdhsa_reserve_flat_scratch 0
		.amdhsa_float_round_mode_32 0
		.amdhsa_float_round_mode_16_64 0
		.amdhsa_float_denorm_mode_32 3
		.amdhsa_float_denorm_mode_16_64 3
		.amdhsa_dx10_clamp 1
		.amdhsa_ieee_mode 1
		.amdhsa_fp16_overflow 0
		.amdhsa_workgroup_processor_mode 1
		.amdhsa_memory_ordered 1
		.amdhsa_forward_progress 1
		.amdhsa_shared_vgpr_count 0
		.amdhsa_exception_fp_ieee_invalid_op 0
		.amdhsa_exception_fp_denorm_src 0
		.amdhsa_exception_fp_ieee_div_zero 0
		.amdhsa_exception_fp_ieee_overflow 0
		.amdhsa_exception_fp_ieee_underflow 0
		.amdhsa_exception_fp_ieee_inexact 0
		.amdhsa_exception_int_div_zero 0
	.end_amdhsa_kernel
	.section	.text._ZN2at6native12_GLOBAL__N_126CatArrayBatchedCopy_contigINS1_10OpaqueTypeILj1EEEjLi2ELi64ELi64EEEvPT_NS1_25CatArrInputTensorMetadataIS5_T0_XT2_EXT3_EEENS1_16TensorSizeStrideIS8_Lj4EEEiS8_,"axG",@progbits,_ZN2at6native12_GLOBAL__N_126CatArrayBatchedCopy_contigINS1_10OpaqueTypeILj1EEEjLi2ELi64ELi64EEEvPT_NS1_25CatArrInputTensorMetadataIS5_T0_XT2_EXT3_EEENS1_16TensorSizeStrideIS8_Lj4EEEiS8_,comdat
.Lfunc_end108:
	.size	_ZN2at6native12_GLOBAL__N_126CatArrayBatchedCopy_contigINS1_10OpaqueTypeILj1EEEjLi2ELi64ELi64EEEvPT_NS1_25CatArrInputTensorMetadataIS5_T0_XT2_EXT3_EEENS1_16TensorSizeStrideIS8_Lj4EEEiS8_, .Lfunc_end108-_ZN2at6native12_GLOBAL__N_126CatArrayBatchedCopy_contigINS1_10OpaqueTypeILj1EEEjLi2ELi64ELi64EEEvPT_NS1_25CatArrInputTensorMetadataIS5_T0_XT2_EXT3_EEENS1_16TensorSizeStrideIS8_Lj4EEEiS8_
                                        ; -- End function
	.set _ZN2at6native12_GLOBAL__N_126CatArrayBatchedCopy_contigINS1_10OpaqueTypeILj1EEEjLi2ELi64ELi64EEEvPT_NS1_25CatArrInputTensorMetadataIS5_T0_XT2_EXT3_EEENS1_16TensorSizeStrideIS8_Lj4EEEiS8_.num_vgpr, 8
	.set _ZN2at6native12_GLOBAL__N_126CatArrayBatchedCopy_contigINS1_10OpaqueTypeILj1EEEjLi2ELi64ELi64EEEvPT_NS1_25CatArrInputTensorMetadataIS5_T0_XT2_EXT3_EEENS1_16TensorSizeStrideIS8_Lj4EEEiS8_.num_agpr, 0
	.set _ZN2at6native12_GLOBAL__N_126CatArrayBatchedCopy_contigINS1_10OpaqueTypeILj1EEEjLi2ELi64ELi64EEEvPT_NS1_25CatArrInputTensorMetadataIS5_T0_XT2_EXT3_EEENS1_16TensorSizeStrideIS8_Lj4EEEiS8_.numbered_sgpr, 17
	.set _ZN2at6native12_GLOBAL__N_126CatArrayBatchedCopy_contigINS1_10OpaqueTypeILj1EEEjLi2ELi64ELi64EEEvPT_NS1_25CatArrInputTensorMetadataIS5_T0_XT2_EXT3_EEENS1_16TensorSizeStrideIS8_Lj4EEEiS8_.num_named_barrier, 0
	.set _ZN2at6native12_GLOBAL__N_126CatArrayBatchedCopy_contigINS1_10OpaqueTypeILj1EEEjLi2ELi64ELi64EEEvPT_NS1_25CatArrInputTensorMetadataIS5_T0_XT2_EXT3_EEENS1_16TensorSizeStrideIS8_Lj4EEEiS8_.private_seg_size, 0
	.set _ZN2at6native12_GLOBAL__N_126CatArrayBatchedCopy_contigINS1_10OpaqueTypeILj1EEEjLi2ELi64ELi64EEEvPT_NS1_25CatArrInputTensorMetadataIS5_T0_XT2_EXT3_EEENS1_16TensorSizeStrideIS8_Lj4EEEiS8_.uses_vcc, 1
	.set _ZN2at6native12_GLOBAL__N_126CatArrayBatchedCopy_contigINS1_10OpaqueTypeILj1EEEjLi2ELi64ELi64EEEvPT_NS1_25CatArrInputTensorMetadataIS5_T0_XT2_EXT3_EEENS1_16TensorSizeStrideIS8_Lj4EEEiS8_.uses_flat_scratch, 0
	.set _ZN2at6native12_GLOBAL__N_126CatArrayBatchedCopy_contigINS1_10OpaqueTypeILj1EEEjLi2ELi64ELi64EEEvPT_NS1_25CatArrInputTensorMetadataIS5_T0_XT2_EXT3_EEENS1_16TensorSizeStrideIS8_Lj4EEEiS8_.has_dyn_sized_stack, 0
	.set _ZN2at6native12_GLOBAL__N_126CatArrayBatchedCopy_contigINS1_10OpaqueTypeILj1EEEjLi2ELi64ELi64EEEvPT_NS1_25CatArrInputTensorMetadataIS5_T0_XT2_EXT3_EEENS1_16TensorSizeStrideIS8_Lj4EEEiS8_.has_recursion, 0
	.set _ZN2at6native12_GLOBAL__N_126CatArrayBatchedCopy_contigINS1_10OpaqueTypeILj1EEEjLi2ELi64ELi64EEEvPT_NS1_25CatArrInputTensorMetadataIS5_T0_XT2_EXT3_EEENS1_16TensorSizeStrideIS8_Lj4EEEiS8_.has_indirect_call, 0
	.section	.AMDGPU.csdata,"",@progbits
; Kernel info:
; codeLenInByte = 392
; TotalNumSgprs: 19
; NumVgprs: 8
; ScratchSize: 0
; MemoryBound: 0
; FloatMode: 240
; IeeeMode: 1
; LDSByteSize: 0 bytes/workgroup (compile time only)
; SGPRBlocks: 0
; VGPRBlocks: 0
; NumSGPRsForWavesPerEU: 19
; NumVGPRsForWavesPerEU: 8
; Occupancy: 16
; WaveLimiterHint : 1
; COMPUTE_PGM_RSRC2:SCRATCH_EN: 0
; COMPUTE_PGM_RSRC2:USER_SGPR: 6
; COMPUTE_PGM_RSRC2:TRAP_HANDLER: 0
; COMPUTE_PGM_RSRC2:TGID_X_EN: 1
; COMPUTE_PGM_RSRC2:TGID_Y_EN: 1
; COMPUTE_PGM_RSRC2:TGID_Z_EN: 0
; COMPUTE_PGM_RSRC2:TIDIG_COMP_CNT: 0
	.section	.text._ZN2at6native12_GLOBAL__N_119CatArrayBatchedCopyINS1_10OpaqueTypeILj1EEEjLi2ELi64ELi64EEEvPT_NS1_25CatArrInputTensorMetadataIS5_T0_XT2_EXT3_EEENS1_16TensorSizeStrideIS8_Lj4EEEiS8_,"axG",@progbits,_ZN2at6native12_GLOBAL__N_119CatArrayBatchedCopyINS1_10OpaqueTypeILj1EEEjLi2ELi64ELi64EEEvPT_NS1_25CatArrInputTensorMetadataIS5_T0_XT2_EXT3_EEENS1_16TensorSizeStrideIS8_Lj4EEEiS8_,comdat
	.globl	_ZN2at6native12_GLOBAL__N_119CatArrayBatchedCopyINS1_10OpaqueTypeILj1EEEjLi2ELi64ELi64EEEvPT_NS1_25CatArrInputTensorMetadataIS5_T0_XT2_EXT3_EEENS1_16TensorSizeStrideIS8_Lj4EEEiS8_ ; -- Begin function _ZN2at6native12_GLOBAL__N_119CatArrayBatchedCopyINS1_10OpaqueTypeILj1EEEjLi2ELi64ELi64EEEvPT_NS1_25CatArrInputTensorMetadataIS5_T0_XT2_EXT3_EEENS1_16TensorSizeStrideIS8_Lj4EEEiS8_
	.p2align	8
	.type	_ZN2at6native12_GLOBAL__N_119CatArrayBatchedCopyINS1_10OpaqueTypeILj1EEEjLi2ELi64ELi64EEEvPT_NS1_25CatArrInputTensorMetadataIS5_T0_XT2_EXT3_EEENS1_16TensorSizeStrideIS8_Lj4EEEiS8_,@function
_ZN2at6native12_GLOBAL__N_119CatArrayBatchedCopyINS1_10OpaqueTypeILj1EEEjLi2ELi64ELi64EEEvPT_NS1_25CatArrInputTensorMetadataIS5_T0_XT2_EXT3_EEENS1_16TensorSizeStrideIS8_Lj4EEEiS8_: ; @_ZN2at6native12_GLOBAL__N_119CatArrayBatchedCopyINS1_10OpaqueTypeILj1EEEjLi2ELi64ELi64EEEvPT_NS1_25CatArrInputTensorMetadataIS5_T0_XT2_EXT3_EEENS1_16TensorSizeStrideIS8_Lj4EEEiS8_
; %bb.0:
	s_load_dword s8, s[4:5], 0xd7c
	s_mov_b32 s0, s7
	s_or_b32 s7, s4, 8
	s_mov_b32 s1, 0
	s_add_u32 s10, s4, 0xd70
	s_addc_u32 s11, s5, 0
	s_lshl_b64 s[2:3], s[0:1], 2
	s_mov_b32 s13, exec_lo
	s_waitcnt lgkmcnt(0)
	s_and_b32 s15, s8, 0xffff
	s_add_u32 s8, s7, s2
	s_addc_u32 s9, s5, s3
	v_mad_u64_u32 v[0:1], null, s6, s15, v[0:1]
	s_load_dword s12, s[8:9], 0x400
	s_waitcnt lgkmcnt(0)
	v_cmpx_gt_u32_e64 s12, v0
	s_cbranch_execz .LBB109_5
; %bb.1:
	s_mul_i32 s13, s0, 28
	s_mul_hi_u32 s14, s0, 28
	s_add_u32 s8, s8, s13
	v_mov_b32_e32 v1, 0
	s_addc_u32 s9, s9, s14
	s_add_u32 s16, s7, s0
	s_addc_u32 s17, s5, 0
	s_load_dwordx2 s[18:19], s[4:5], 0xd68
	global_load_ubyte v2, v1, s[16:17] offset:1280
	s_mul_i32 s7, s0, 7
	s_mul_hi_u32 s6, s0, 7
	s_waitcnt vmcnt(0)
	v_and_b32_e32 v2, 1, v2
	v_cmp_eq_u32_e32 vcc_lo, 1, v2
	s_xor_b32 s0, vcc_lo, -1
	s_add_u32 s16, s16, s7
	s_addc_u32 s17, s17, s6
	s_sub_u32 s2, 0, s2
	s_subb_u32 s3, 0, s3
	s_add_u32 s20, s16, s2
	s_addc_u32 s21, s17, s3
	s_clause 0x3
	s_load_dword s13, s[4:5], 0xd4c
	s_load_dword s14, s[20:21], 0x300
	;; [unrolled: 1-line block ×3, first 2 shown]
	s_load_dwordx2 s[2:3], s[4:5], 0xd58
	s_waitcnt lgkmcnt(0)
	s_cmp_eq_u32 s18, 1
	s_clause 0x2
	s_load_dwordx2 s[6:7], s[8:9], 0x550
	s_load_dwordx2 s[8:9], s[16:17], 0x0
	s_load_dword s16, s[20:21], 0x200
	s_load_dword s17, s[10:11], 0x0
	s_load_dwordx2 s[4:5], s[4:5], 0x0
	s_cselect_b32 s13, s14, s13
	s_cselect_b32 s14, s14, s22
	v_cvt_f32_u32_e32 v2, s13
	v_cvt_f32_u32_e32 v3, s14
	s_sub_i32 s10, 0, s13
	s_sub_i32 s11, 0, s14
	s_waitcnt lgkmcnt(0)
	s_mul_i32 s16, s16, s19
	v_rcp_iflag_f32_e32 v2, v2
	v_rcp_iflag_f32_e32 v3, v3
	s_mul_i32 s15, s17, s15
	v_mul_f32_e32 v2, 0x4f7ffffe, v2
	v_mul_f32_e32 v3, 0x4f7ffffe, v3
	v_cvt_u32_f32_e32 v2, v2
	v_cvt_u32_f32_e32 v3, v3
	v_mul_lo_u32 v4, s10, v2
	v_mul_lo_u32 v5, s11, v3
	v_mul_hi_u32 v4, v2, v4
	v_mul_hi_u32 v5, v3, v5
	v_add_nc_u32_e32 v4, v2, v4
	v_add_nc_u32_e32 v5, v3, v5
	s_branch .LBB109_3
.LBB109_2:                              ;   in Loop: Header=BB109_3 Depth=1
	v_add_co_u32 v2, vcc_lo, s8, v2
	v_add_co_ci_u32_e64 v3, null, s9, v3, vcc_lo
	v_mul_hi_u32 v9, v4, v0
	global_load_ubyte v8, v[2:3], off
	v_not_b32_e32 v6, v9
	v_mad_u64_u32 v[2:3], null, s10, v9, v[0:1]
	v_add_nc_u32_e32 v3, 1, v9
	v_mad_u64_u32 v[6:7], null, s13, v6, v[0:1]
	v_cmp_le_u32_e32 vcc_lo, s13, v2
	v_cndmask_b32_e32 v3, v9, v3, vcc_lo
	v_cndmask_b32_e32 v2, v2, v6, vcc_lo
	v_add_nc_u32_e32 v6, 1, v3
	v_cmp_le_u32_e32 vcc_lo, s13, v2
	v_cndmask_b32_e32 v6, v3, v6, vcc_lo
	v_mad_u64_u32 v[2:3], null, s10, v6, v[0:1]
	v_mul_lo_u32 v3, v6, s2
	v_add_nc_u32_e32 v0, s15, v0
	v_mul_lo_u32 v2, v2, s3
	v_cmp_le_u32_e32 vcc_lo, s12, v0
	s_or_b32 s1, vcc_lo, s1
	v_add3_u32 v2, v2, v3, s16
	s_waitcnt vmcnt(0)
	global_store_byte v2, v8, s[4:5]
	s_andn2_b32 exec_lo, exec_lo, s1
	s_cbranch_execz .LBB109_5
.LBB109_3:                              ; =>This Inner Loop Header: Depth=1
	v_mov_b32_e32 v3, v1
	v_mov_b32_e32 v2, v0
	s_andn2_b32 vcc_lo, exec_lo, s0
	s_cbranch_vccnz .LBB109_2
; %bb.4:                                ;   in Loop: Header=BB109_3 Depth=1
	v_mul_hi_u32 v8, v5, v0
	v_not_b32_e32 v6, v8
	v_mad_u64_u32 v[2:3], null, s11, v8, v[0:1]
	v_add_nc_u32_e32 v3, 1, v8
	v_mad_u64_u32 v[6:7], null, s14, v6, v[0:1]
	v_cmp_le_u32_e32 vcc_lo, s14, v2
	v_cndmask_b32_e32 v3, v8, v3, vcc_lo
	v_cndmask_b32_e32 v2, v2, v6, vcc_lo
	v_add_nc_u32_e32 v6, 1, v3
	v_cmp_le_u32_e32 vcc_lo, s14, v2
	v_cndmask_b32_e32 v6, v3, v6, vcc_lo
	v_mad_u64_u32 v[2:3], null, s11, v6, v[0:1]
	v_mul_lo_u32 v3, v6, s6
	v_mad_u64_u32 v[2:3], null, v2, s7, v[3:4]
	v_mov_b32_e32 v3, v1
	s_branch .LBB109_2
.LBB109_5:
	s_endpgm
	.section	.rodata,"a",@progbits
	.p2align	6, 0x0
	.amdhsa_kernel _ZN2at6native12_GLOBAL__N_119CatArrayBatchedCopyINS1_10OpaqueTypeILj1EEEjLi2ELi64ELi64EEEvPT_NS1_25CatArrInputTensorMetadataIS5_T0_XT2_EXT3_EEENS1_16TensorSizeStrideIS8_Lj4EEEiS8_
		.amdhsa_group_segment_fixed_size 0
		.amdhsa_private_segment_fixed_size 0
		.amdhsa_kernarg_size 3696
		.amdhsa_user_sgpr_count 6
		.amdhsa_user_sgpr_private_segment_buffer 1
		.amdhsa_user_sgpr_dispatch_ptr 0
		.amdhsa_user_sgpr_queue_ptr 0
		.amdhsa_user_sgpr_kernarg_segment_ptr 1
		.amdhsa_user_sgpr_dispatch_id 0
		.amdhsa_user_sgpr_flat_scratch_init 0
		.amdhsa_user_sgpr_private_segment_size 0
		.amdhsa_wavefront_size32 1
		.amdhsa_uses_dynamic_stack 0
		.amdhsa_system_sgpr_private_segment_wavefront_offset 0
		.amdhsa_system_sgpr_workgroup_id_x 1
		.amdhsa_system_sgpr_workgroup_id_y 1
		.amdhsa_system_sgpr_workgroup_id_z 0
		.amdhsa_system_sgpr_workgroup_info 0
		.amdhsa_system_vgpr_workitem_id 0
		.amdhsa_next_free_vgpr 10
		.amdhsa_next_free_sgpr 23
		.amdhsa_reserve_vcc 1
		.amdhsa_reserve_flat_scratch 0
		.amdhsa_float_round_mode_32 0
		.amdhsa_float_round_mode_16_64 0
		.amdhsa_float_denorm_mode_32 3
		.amdhsa_float_denorm_mode_16_64 3
		.amdhsa_dx10_clamp 1
		.amdhsa_ieee_mode 1
		.amdhsa_fp16_overflow 0
		.amdhsa_workgroup_processor_mode 1
		.amdhsa_memory_ordered 1
		.amdhsa_forward_progress 1
		.amdhsa_shared_vgpr_count 0
		.amdhsa_exception_fp_ieee_invalid_op 0
		.amdhsa_exception_fp_denorm_src 0
		.amdhsa_exception_fp_ieee_div_zero 0
		.amdhsa_exception_fp_ieee_overflow 0
		.amdhsa_exception_fp_ieee_underflow 0
		.amdhsa_exception_fp_ieee_inexact 0
		.amdhsa_exception_int_div_zero 0
	.end_amdhsa_kernel
	.section	.text._ZN2at6native12_GLOBAL__N_119CatArrayBatchedCopyINS1_10OpaqueTypeILj1EEEjLi2ELi64ELi64EEEvPT_NS1_25CatArrInputTensorMetadataIS5_T0_XT2_EXT3_EEENS1_16TensorSizeStrideIS8_Lj4EEEiS8_,"axG",@progbits,_ZN2at6native12_GLOBAL__N_119CatArrayBatchedCopyINS1_10OpaqueTypeILj1EEEjLi2ELi64ELi64EEEvPT_NS1_25CatArrInputTensorMetadataIS5_T0_XT2_EXT3_EEENS1_16TensorSizeStrideIS8_Lj4EEEiS8_,comdat
.Lfunc_end109:
	.size	_ZN2at6native12_GLOBAL__N_119CatArrayBatchedCopyINS1_10OpaqueTypeILj1EEEjLi2ELi64ELi64EEEvPT_NS1_25CatArrInputTensorMetadataIS5_T0_XT2_EXT3_EEENS1_16TensorSizeStrideIS8_Lj4EEEiS8_, .Lfunc_end109-_ZN2at6native12_GLOBAL__N_119CatArrayBatchedCopyINS1_10OpaqueTypeILj1EEEjLi2ELi64ELi64EEEvPT_NS1_25CatArrInputTensorMetadataIS5_T0_XT2_EXT3_EEENS1_16TensorSizeStrideIS8_Lj4EEEiS8_
                                        ; -- End function
	.set _ZN2at6native12_GLOBAL__N_119CatArrayBatchedCopyINS1_10OpaqueTypeILj1EEEjLi2ELi64ELi64EEEvPT_NS1_25CatArrInputTensorMetadataIS5_T0_XT2_EXT3_EEENS1_16TensorSizeStrideIS8_Lj4EEEiS8_.num_vgpr, 10
	.set _ZN2at6native12_GLOBAL__N_119CatArrayBatchedCopyINS1_10OpaqueTypeILj1EEEjLi2ELi64ELi64EEEvPT_NS1_25CatArrInputTensorMetadataIS5_T0_XT2_EXT3_EEENS1_16TensorSizeStrideIS8_Lj4EEEiS8_.num_agpr, 0
	.set _ZN2at6native12_GLOBAL__N_119CatArrayBatchedCopyINS1_10OpaqueTypeILj1EEEjLi2ELi64ELi64EEEvPT_NS1_25CatArrInputTensorMetadataIS5_T0_XT2_EXT3_EEENS1_16TensorSizeStrideIS8_Lj4EEEiS8_.numbered_sgpr, 23
	.set _ZN2at6native12_GLOBAL__N_119CatArrayBatchedCopyINS1_10OpaqueTypeILj1EEEjLi2ELi64ELi64EEEvPT_NS1_25CatArrInputTensorMetadataIS5_T0_XT2_EXT3_EEENS1_16TensorSizeStrideIS8_Lj4EEEiS8_.num_named_barrier, 0
	.set _ZN2at6native12_GLOBAL__N_119CatArrayBatchedCopyINS1_10OpaqueTypeILj1EEEjLi2ELi64ELi64EEEvPT_NS1_25CatArrInputTensorMetadataIS5_T0_XT2_EXT3_EEENS1_16TensorSizeStrideIS8_Lj4EEEiS8_.private_seg_size, 0
	.set _ZN2at6native12_GLOBAL__N_119CatArrayBatchedCopyINS1_10OpaqueTypeILj1EEEjLi2ELi64ELi64EEEvPT_NS1_25CatArrInputTensorMetadataIS5_T0_XT2_EXT3_EEENS1_16TensorSizeStrideIS8_Lj4EEEiS8_.uses_vcc, 1
	.set _ZN2at6native12_GLOBAL__N_119CatArrayBatchedCopyINS1_10OpaqueTypeILj1EEEjLi2ELi64ELi64EEEvPT_NS1_25CatArrInputTensorMetadataIS5_T0_XT2_EXT3_EEENS1_16TensorSizeStrideIS8_Lj4EEEiS8_.uses_flat_scratch, 0
	.set _ZN2at6native12_GLOBAL__N_119CatArrayBatchedCopyINS1_10OpaqueTypeILj1EEEjLi2ELi64ELi64EEEvPT_NS1_25CatArrInputTensorMetadataIS5_T0_XT2_EXT3_EEENS1_16TensorSizeStrideIS8_Lj4EEEiS8_.has_dyn_sized_stack, 0
	.set _ZN2at6native12_GLOBAL__N_119CatArrayBatchedCopyINS1_10OpaqueTypeILj1EEEjLi2ELi64ELi64EEEvPT_NS1_25CatArrInputTensorMetadataIS5_T0_XT2_EXT3_EEENS1_16TensorSizeStrideIS8_Lj4EEEiS8_.has_recursion, 0
	.set _ZN2at6native12_GLOBAL__N_119CatArrayBatchedCopyINS1_10OpaqueTypeILj1EEEjLi2ELi64ELi64EEEvPT_NS1_25CatArrInputTensorMetadataIS5_T0_XT2_EXT3_EEENS1_16TensorSizeStrideIS8_Lj4EEEiS8_.has_indirect_call, 0
	.section	.AMDGPU.csdata,"",@progbits
; Kernel info:
; codeLenInByte = 636
; TotalNumSgprs: 25
; NumVgprs: 10
; ScratchSize: 0
; MemoryBound: 0
; FloatMode: 240
; IeeeMode: 1
; LDSByteSize: 0 bytes/workgroup (compile time only)
; SGPRBlocks: 0
; VGPRBlocks: 1
; NumSGPRsForWavesPerEU: 25
; NumVGPRsForWavesPerEU: 10
; Occupancy: 16
; WaveLimiterHint : 1
; COMPUTE_PGM_RSRC2:SCRATCH_EN: 0
; COMPUTE_PGM_RSRC2:USER_SGPR: 6
; COMPUTE_PGM_RSRC2:TRAP_HANDLER: 0
; COMPUTE_PGM_RSRC2:TGID_X_EN: 1
; COMPUTE_PGM_RSRC2:TGID_Y_EN: 1
; COMPUTE_PGM_RSRC2:TGID_Z_EN: 0
; COMPUTE_PGM_RSRC2:TIDIG_COMP_CNT: 0
	.section	.text._ZN2at6native12_GLOBAL__N_130CatArrayBatchedCopy_vectorizedINS1_10OpaqueTypeILj1EEEjLi3ELi64ELi64ELi16ELi16EEEvPcNS1_25CatArrInputTensorMetadataIT_T0_XT2_EXT3_EEENS1_16TensorSizeStrideIS8_Lj4EEEiS8_,"axG",@progbits,_ZN2at6native12_GLOBAL__N_130CatArrayBatchedCopy_vectorizedINS1_10OpaqueTypeILj1EEEjLi3ELi64ELi64ELi16ELi16EEEvPcNS1_25CatArrInputTensorMetadataIT_T0_XT2_EXT3_EEENS1_16TensorSizeStrideIS8_Lj4EEEiS8_,comdat
	.globl	_ZN2at6native12_GLOBAL__N_130CatArrayBatchedCopy_vectorizedINS1_10OpaqueTypeILj1EEEjLi3ELi64ELi64ELi16ELi16EEEvPcNS1_25CatArrInputTensorMetadataIT_T0_XT2_EXT3_EEENS1_16TensorSizeStrideIS8_Lj4EEEiS8_ ; -- Begin function _ZN2at6native12_GLOBAL__N_130CatArrayBatchedCopy_vectorizedINS1_10OpaqueTypeILj1EEEjLi3ELi64ELi64ELi16ELi16EEEvPcNS1_25CatArrInputTensorMetadataIT_T0_XT2_EXT3_EEENS1_16TensorSizeStrideIS8_Lj4EEEiS8_
	.p2align	8
	.type	_ZN2at6native12_GLOBAL__N_130CatArrayBatchedCopy_vectorizedINS1_10OpaqueTypeILj1EEEjLi3ELi64ELi64ELi16ELi16EEEvPcNS1_25CatArrInputTensorMetadataIT_T0_XT2_EXT3_EEENS1_16TensorSizeStrideIS8_Lj4EEEiS8_,@function
_ZN2at6native12_GLOBAL__N_130CatArrayBatchedCopy_vectorizedINS1_10OpaqueTypeILj1EEEjLi3ELi64ELi64ELi16ELi16EEEvPcNS1_25CatArrInputTensorMetadataIT_T0_XT2_EXT3_EEENS1_16TensorSizeStrideIS8_Lj4EEEiS8_: ; @_ZN2at6native12_GLOBAL__N_130CatArrayBatchedCopy_vectorizedINS1_10OpaqueTypeILj1EEEjLi3ELi64ELi64ELi16ELi16EEEvPcNS1_25CatArrInputTensorMetadataIT_T0_XT2_EXT3_EEENS1_16TensorSizeStrideIS8_Lj4EEEiS8_
; %bb.0:
	s_mov_b32 s0, s7
	s_load_dword s7, s[4:5], 0xd7c
	s_mov_b32 s1, 0
	s_add_u32 s2, s4, 0xd70
	s_addc_u32 s3, s5, 0
	s_lshl_b64 s[8:9], s[0:1], 2
	s_waitcnt lgkmcnt(0)
	s_and_b32 s0, s7, 0xffff
	s_add_u32 s10, s4, s8
	s_addc_u32 s11, s5, s9
	v_mad_u64_u32 v[0:1], null, s6, s0, v[0:1]
	s_load_dword s12, s[10:11], 0x408
	s_add_u32 s7, s10, 8
	s_addc_u32 s10, s11, 0
	s_mov_b32 s11, exec_lo
	s_waitcnt lgkmcnt(0)
	s_lshr_b32 s6, s12, 4
	v_cmpx_gt_u32_e64 s6, v0
	s_cbranch_execz .LBB110_3
; %bb.1:
	s_add_u32 s14, s7, s8
	s_addc_u32 s15, s10, s9
	s_sub_u32 s7, 0, s8
	s_subb_u32 s9, 0, s9
	s_add_u32 s8, s14, s7
	s_addc_u32 s9, s15, s9
	s_clause 0x4
	s_load_dwordx2 s[12:13], s[4:5], 0xd68
	s_load_dword s7, s[8:9], 0x200
	s_load_dword s18, s[8:9], 0x300
	s_load_dwordx2 s[16:17], s[4:5], 0xd4c
	s_load_dwordx4 s[8:11], s[4:5], 0xd58
	s_waitcnt lgkmcnt(0)
	s_mul_i32 s7, s7, s13
	s_mul_i32 s18, s18, s13
	s_and_b32 s7, s7, -16
	s_lshr_b32 s11, s18, 4
	s_cmp_eq_u32 s12, 2
	s_load_dwordx2 s[18:19], s[4:5], 0x0
	s_cselect_b32 s4, s11, s17
	s_cmp_eq_u32 s12, 1
	v_cvt_f32_u32_e32 v1, s4
	s_cselect_b32 s5, s11, s16
	s_load_dword s16, s[2:3], 0x0
	v_cvt_f32_u32_e32 v2, s5
	s_load_dwordx2 s[2:3], s[14:15], 0x0
	v_rcp_iflag_f32_e32 v1, v1
	v_rcp_iflag_f32_e32 v2, v2
	v_mul_f32_e32 v1, 0x4f7ffffe, v1
	s_waitcnt lgkmcnt(0)
	s_add_u32 s7, s18, s7
	v_mul_f32_e32 v2, 0x4f7ffffe, v2
	s_addc_u32 s11, s19, 0
	v_cvt_u32_f32_e32 v1, v1
	s_sub_i32 s12, 0, s4
	s_sub_i32 s13, 0, s5
	v_cvt_u32_f32_e32 v3, v2
	v_mul_lo_u32 v2, s12, v1
	v_mul_lo_u32 v4, s13, v3
	s_mul_i32 s13, s16, s0
	v_mul_hi_u32 v2, v1, v2
	v_mul_hi_u32 v4, v3, v4
	v_add_nc_u32_e32 v2, v1, v2
	v_mov_b32_e32 v1, 0
	v_add_nc_u32_e32 v3, v3, v4
.LBB110_2:                              ; =>This Inner Loop Header: Depth=1
	v_lshlrev_b64 v[4:5], 4, v[0:1]
	v_mul_hi_u32 v10, v2, v0
	v_add_co_u32 v4, vcc_lo, s2, v4
	v_add_co_ci_u32_e64 v5, null, s3, v5, vcc_lo
	v_mul_lo_u32 v11, s4, v10
	v_not_b32_e32 v8, v10
	v_add_nc_u32_e32 v12, 1, v10
	global_load_dwordx4 v[4:7], v[4:5], off
	v_mad_u64_u32 v[8:9], null, s4, v8, v[0:1]
	v_sub_nc_u32_e32 v9, v0, v11
	v_cmp_le_u32_e32 vcc_lo, s4, v9
	v_cndmask_b32_e32 v10, v10, v12, vcc_lo
	v_cndmask_b32_e32 v8, v9, v8, vcc_lo
	v_add_nc_u32_e32 v9, 1, v10
	v_cmp_le_u32_e32 vcc_lo, s4, v8
	v_cndmask_b32_e32 v10, v10, v9, vcc_lo
	v_mul_hi_u32 v8, v10, v3
	v_mul_lo_u32 v9, v8, s5
	v_add_nc_u32_e32 v11, 1, v8
	v_sub_nc_u32_e32 v9, v10, v9
	v_subrev_nc_u32_e32 v12, s5, v9
	v_cmp_le_u32_e32 vcc_lo, s5, v9
	v_cndmask_b32_e32 v8, v8, v11, vcc_lo
	v_cndmask_b32_e32 v9, v9, v12, vcc_lo
	v_add_nc_u32_e32 v11, 1, v8
	v_cmp_le_u32_e32 vcc_lo, s5, v9
	v_cndmask_b32_e32 v11, v8, v11, vcc_lo
	v_mad_u64_u32 v[8:9], null, s12, v10, v[0:1]
	v_add_nc_u32_e32 v0, s13, v0
	v_mul_lo_u32 v12, v11, s5
	v_cmp_le_u32_e32 vcc_lo, s6, v0
	v_mul_lo_u32 v8, v8, s10
	v_sub_nc_u32_e32 v9, v10, v12
	v_mul_lo_u32 v10, v11, s8
	s_or_b32 s1, vcc_lo, s1
	v_mul_lo_u32 v11, v9, s9
	v_mov_b32_e32 v9, v1
	v_add3_u32 v8, v8, v10, v11
	v_lshlrev_b64 v[8:9], 4, v[8:9]
	v_add_co_u32 v8, s0, s7, v8
	v_add_co_ci_u32_e64 v9, null, s11, v9, s0
	s_waitcnt vmcnt(0)
	global_store_dwordx4 v[8:9], v[4:7], off
	s_andn2_b32 exec_lo, exec_lo, s1
	s_cbranch_execnz .LBB110_2
.LBB110_3:
	s_endpgm
	.section	.rodata,"a",@progbits
	.p2align	6, 0x0
	.amdhsa_kernel _ZN2at6native12_GLOBAL__N_130CatArrayBatchedCopy_vectorizedINS1_10OpaqueTypeILj1EEEjLi3ELi64ELi64ELi16ELi16EEEvPcNS1_25CatArrInputTensorMetadataIT_T0_XT2_EXT3_EEENS1_16TensorSizeStrideIS8_Lj4EEEiS8_
		.amdhsa_group_segment_fixed_size 0
		.amdhsa_private_segment_fixed_size 0
		.amdhsa_kernarg_size 3696
		.amdhsa_user_sgpr_count 6
		.amdhsa_user_sgpr_private_segment_buffer 1
		.amdhsa_user_sgpr_dispatch_ptr 0
		.amdhsa_user_sgpr_queue_ptr 0
		.amdhsa_user_sgpr_kernarg_segment_ptr 1
		.amdhsa_user_sgpr_dispatch_id 0
		.amdhsa_user_sgpr_flat_scratch_init 0
		.amdhsa_user_sgpr_private_segment_size 0
		.amdhsa_wavefront_size32 1
		.amdhsa_uses_dynamic_stack 0
		.amdhsa_system_sgpr_private_segment_wavefront_offset 0
		.amdhsa_system_sgpr_workgroup_id_x 1
		.amdhsa_system_sgpr_workgroup_id_y 1
		.amdhsa_system_sgpr_workgroup_id_z 0
		.amdhsa_system_sgpr_workgroup_info 0
		.amdhsa_system_vgpr_workitem_id 0
		.amdhsa_next_free_vgpr 13
		.amdhsa_next_free_sgpr 20
		.amdhsa_reserve_vcc 1
		.amdhsa_reserve_flat_scratch 0
		.amdhsa_float_round_mode_32 0
		.amdhsa_float_round_mode_16_64 0
		.amdhsa_float_denorm_mode_32 3
		.amdhsa_float_denorm_mode_16_64 3
		.amdhsa_dx10_clamp 1
		.amdhsa_ieee_mode 1
		.amdhsa_fp16_overflow 0
		.amdhsa_workgroup_processor_mode 1
		.amdhsa_memory_ordered 1
		.amdhsa_forward_progress 1
		.amdhsa_shared_vgpr_count 0
		.amdhsa_exception_fp_ieee_invalid_op 0
		.amdhsa_exception_fp_denorm_src 0
		.amdhsa_exception_fp_ieee_div_zero 0
		.amdhsa_exception_fp_ieee_overflow 0
		.amdhsa_exception_fp_ieee_underflow 0
		.amdhsa_exception_fp_ieee_inexact 0
		.amdhsa_exception_int_div_zero 0
	.end_amdhsa_kernel
	.section	.text._ZN2at6native12_GLOBAL__N_130CatArrayBatchedCopy_vectorizedINS1_10OpaqueTypeILj1EEEjLi3ELi64ELi64ELi16ELi16EEEvPcNS1_25CatArrInputTensorMetadataIT_T0_XT2_EXT3_EEENS1_16TensorSizeStrideIS8_Lj4EEEiS8_,"axG",@progbits,_ZN2at6native12_GLOBAL__N_130CatArrayBatchedCopy_vectorizedINS1_10OpaqueTypeILj1EEEjLi3ELi64ELi64ELi16ELi16EEEvPcNS1_25CatArrInputTensorMetadataIT_T0_XT2_EXT3_EEENS1_16TensorSizeStrideIS8_Lj4EEEiS8_,comdat
.Lfunc_end110:
	.size	_ZN2at6native12_GLOBAL__N_130CatArrayBatchedCopy_vectorizedINS1_10OpaqueTypeILj1EEEjLi3ELi64ELi64ELi16ELi16EEEvPcNS1_25CatArrInputTensorMetadataIT_T0_XT2_EXT3_EEENS1_16TensorSizeStrideIS8_Lj4EEEiS8_, .Lfunc_end110-_ZN2at6native12_GLOBAL__N_130CatArrayBatchedCopy_vectorizedINS1_10OpaqueTypeILj1EEEjLi3ELi64ELi64ELi16ELi16EEEvPcNS1_25CatArrInputTensorMetadataIT_T0_XT2_EXT3_EEENS1_16TensorSizeStrideIS8_Lj4EEEiS8_
                                        ; -- End function
	.set _ZN2at6native12_GLOBAL__N_130CatArrayBatchedCopy_vectorizedINS1_10OpaqueTypeILj1EEEjLi3ELi64ELi64ELi16ELi16EEEvPcNS1_25CatArrInputTensorMetadataIT_T0_XT2_EXT3_EEENS1_16TensorSizeStrideIS8_Lj4EEEiS8_.num_vgpr, 13
	.set _ZN2at6native12_GLOBAL__N_130CatArrayBatchedCopy_vectorizedINS1_10OpaqueTypeILj1EEEjLi3ELi64ELi64ELi16ELi16EEEvPcNS1_25CatArrInputTensorMetadataIT_T0_XT2_EXT3_EEENS1_16TensorSizeStrideIS8_Lj4EEEiS8_.num_agpr, 0
	.set _ZN2at6native12_GLOBAL__N_130CatArrayBatchedCopy_vectorizedINS1_10OpaqueTypeILj1EEEjLi3ELi64ELi64ELi16ELi16EEEvPcNS1_25CatArrInputTensorMetadataIT_T0_XT2_EXT3_EEENS1_16TensorSizeStrideIS8_Lj4EEEiS8_.numbered_sgpr, 20
	.set _ZN2at6native12_GLOBAL__N_130CatArrayBatchedCopy_vectorizedINS1_10OpaqueTypeILj1EEEjLi3ELi64ELi64ELi16ELi16EEEvPcNS1_25CatArrInputTensorMetadataIT_T0_XT2_EXT3_EEENS1_16TensorSizeStrideIS8_Lj4EEEiS8_.num_named_barrier, 0
	.set _ZN2at6native12_GLOBAL__N_130CatArrayBatchedCopy_vectorizedINS1_10OpaqueTypeILj1EEEjLi3ELi64ELi64ELi16ELi16EEEvPcNS1_25CatArrInputTensorMetadataIT_T0_XT2_EXT3_EEENS1_16TensorSizeStrideIS8_Lj4EEEiS8_.private_seg_size, 0
	.set _ZN2at6native12_GLOBAL__N_130CatArrayBatchedCopy_vectorizedINS1_10OpaqueTypeILj1EEEjLi3ELi64ELi64ELi16ELi16EEEvPcNS1_25CatArrInputTensorMetadataIT_T0_XT2_EXT3_EEENS1_16TensorSizeStrideIS8_Lj4EEEiS8_.uses_vcc, 1
	.set _ZN2at6native12_GLOBAL__N_130CatArrayBatchedCopy_vectorizedINS1_10OpaqueTypeILj1EEEjLi3ELi64ELi64ELi16ELi16EEEvPcNS1_25CatArrInputTensorMetadataIT_T0_XT2_EXT3_EEENS1_16TensorSizeStrideIS8_Lj4EEEiS8_.uses_flat_scratch, 0
	.set _ZN2at6native12_GLOBAL__N_130CatArrayBatchedCopy_vectorizedINS1_10OpaqueTypeILj1EEEjLi3ELi64ELi64ELi16ELi16EEEvPcNS1_25CatArrInputTensorMetadataIT_T0_XT2_EXT3_EEENS1_16TensorSizeStrideIS8_Lj4EEEiS8_.has_dyn_sized_stack, 0
	.set _ZN2at6native12_GLOBAL__N_130CatArrayBatchedCopy_vectorizedINS1_10OpaqueTypeILj1EEEjLi3ELi64ELi64ELi16ELi16EEEvPcNS1_25CatArrInputTensorMetadataIT_T0_XT2_EXT3_EEENS1_16TensorSizeStrideIS8_Lj4EEEiS8_.has_recursion, 0
	.set _ZN2at6native12_GLOBAL__N_130CatArrayBatchedCopy_vectorizedINS1_10OpaqueTypeILj1EEEjLi3ELi64ELi64ELi16ELi16EEEvPcNS1_25CatArrInputTensorMetadataIT_T0_XT2_EXT3_EEENS1_16TensorSizeStrideIS8_Lj4EEEiS8_.has_indirect_call, 0
	.section	.AMDGPU.csdata,"",@progbits
; Kernel info:
; codeLenInByte = 596
; TotalNumSgprs: 22
; NumVgprs: 13
; ScratchSize: 0
; MemoryBound: 0
; FloatMode: 240
; IeeeMode: 1
; LDSByteSize: 0 bytes/workgroup (compile time only)
; SGPRBlocks: 0
; VGPRBlocks: 1
; NumSGPRsForWavesPerEU: 22
; NumVGPRsForWavesPerEU: 13
; Occupancy: 16
; WaveLimiterHint : 1
; COMPUTE_PGM_RSRC2:SCRATCH_EN: 0
; COMPUTE_PGM_RSRC2:USER_SGPR: 6
; COMPUTE_PGM_RSRC2:TRAP_HANDLER: 0
; COMPUTE_PGM_RSRC2:TGID_X_EN: 1
; COMPUTE_PGM_RSRC2:TGID_Y_EN: 1
; COMPUTE_PGM_RSRC2:TGID_Z_EN: 0
; COMPUTE_PGM_RSRC2:TIDIG_COMP_CNT: 0
	.section	.text._ZN2at6native12_GLOBAL__N_135CatArrayBatchedCopy_alignedK_contigINS1_10OpaqueTypeILj1EEEjLi3ELi64ELi64ELi16EEEvPT_NS1_25CatArrInputTensorMetadataIS5_T0_XT2_EXT3_EEENS1_16TensorSizeStrideIS8_Lj4EEEiS8_,"axG",@progbits,_ZN2at6native12_GLOBAL__N_135CatArrayBatchedCopy_alignedK_contigINS1_10OpaqueTypeILj1EEEjLi3ELi64ELi64ELi16EEEvPT_NS1_25CatArrInputTensorMetadataIS5_T0_XT2_EXT3_EEENS1_16TensorSizeStrideIS8_Lj4EEEiS8_,comdat
	.globl	_ZN2at6native12_GLOBAL__N_135CatArrayBatchedCopy_alignedK_contigINS1_10OpaqueTypeILj1EEEjLi3ELi64ELi64ELi16EEEvPT_NS1_25CatArrInputTensorMetadataIS5_T0_XT2_EXT3_EEENS1_16TensorSizeStrideIS8_Lj4EEEiS8_ ; -- Begin function _ZN2at6native12_GLOBAL__N_135CatArrayBatchedCopy_alignedK_contigINS1_10OpaqueTypeILj1EEEjLi3ELi64ELi64ELi16EEEvPT_NS1_25CatArrInputTensorMetadataIS5_T0_XT2_EXT3_EEENS1_16TensorSizeStrideIS8_Lj4EEEiS8_
	.p2align	8
	.type	_ZN2at6native12_GLOBAL__N_135CatArrayBatchedCopy_alignedK_contigINS1_10OpaqueTypeILj1EEEjLi3ELi64ELi64ELi16EEEvPT_NS1_25CatArrInputTensorMetadataIS5_T0_XT2_EXT3_EEENS1_16TensorSizeStrideIS8_Lj4EEEiS8_,@function
_ZN2at6native12_GLOBAL__N_135CatArrayBatchedCopy_alignedK_contigINS1_10OpaqueTypeILj1EEEjLi3ELi64ELi64ELi16EEEvPT_NS1_25CatArrInputTensorMetadataIS5_T0_XT2_EXT3_EEENS1_16TensorSizeStrideIS8_Lj4EEEiS8_: ; @_ZN2at6native12_GLOBAL__N_135CatArrayBatchedCopy_alignedK_contigINS1_10OpaqueTypeILj1EEEjLi3ELi64ELi64ELi16EEEvPT_NS1_25CatArrInputTensorMetadataIS5_T0_XT2_EXT3_EEENS1_16TensorSizeStrideIS8_Lj4EEEiS8_
; %bb.0:
	s_mov_b32 s2, s7
	s_load_dword s7, s[4:5], 0xd7c
	s_mov_b32 s3, 0
	s_add_u32 s0, s4, 0xd70
	s_addc_u32 s1, s5, 0
	s_lshl_b64 s[2:3], s[2:3], 2
	s_waitcnt lgkmcnt(0)
	s_and_b32 s18, s7, 0xffff
	s_add_u32 s8, s4, s2
	s_addc_u32 s9, s5, s3
	s_mul_i32 s6, s6, s18
	s_load_dword s20, s[8:9], 0x408
	v_add_lshl_u32 v16, s6, v0, 4
	s_add_u32 s6, s8, 8
	s_addc_u32 s7, s9, 0
	s_mov_b32 s8, exec_lo
	s_waitcnt lgkmcnt(0)
	v_cmpx_gt_u32_e64 s20, v16
	s_cbranch_execz .LBB111_10
; %bb.1:
	s_add_u32 s10, s6, s2
	s_addc_u32 s11, s7, s3
	s_sub_u32 s2, 0, s2
	s_subb_u32 s3, 0, s3
	s_add_u32 s2, s10, s2
	s_addc_u32 s3, s11, s3
	s_clause 0x5
	s_load_dwordx2 s[8:9], s[4:5], 0x0
	s_load_dwordx2 s[12:13], s[4:5], 0xd4c
	;; [unrolled: 1-line block ×3, first 2 shown]
	s_load_dwordx4 s[4:7], s[4:5], 0xd58
	s_load_dword s19, s[2:3], 0x200
	s_load_dwordx2 s[10:11], s[10:11], 0x0
	s_waitcnt lgkmcnt(0)
	s_load_dword s7, s[2:3], 0x300
	v_add_nc_u32_e32 v0, 16, v16
	s_mov_b64 s[16:17], 0
	s_mul_i32 s3, s19, s15
	s_mov_b32 s15, exec_lo
	v_cmpx_ge_u32_e64 s20, v0
	s_cbranch_execz .LBB111_7
; %bb.2:
	s_load_dword s0, s[0:1], 0x0
	v_mov_b32_e32 v17, 0
	v_add_nc_u32_e32 v19, 3, v16
	v_add_nc_u32_e32 v20, 2, v16
	;; [unrolled: 1-line block ×3, first 2 shown]
	s_mov_b32 s25, 0
	v_mov_b32_e32 v2, v17
	v_mov_b32_e32 v5, v17
	;; [unrolled: 1-line block ×10, first 2 shown]
	s_waitcnt lgkmcnt(0)
	s_mul_i32 s0, s0, s18
	s_lshl_b32 s21, s0, 4
	s_cmp_eq_u32 s14, 2
	s_cselect_b32 s22, s7, s13
	s_cmp_eq_u32 s14, 1
	v_cvt_f32_u32_e32 v0, s22
	s_cselect_b32 s23, s7, s12
	s_sub_i32 s24, 0, s22
	v_cvt_f32_u32_e32 v1, s23
	s_sub_i32 s0, 0, s23
	v_rcp_iflag_f32_e32 v0, v0
	v_rcp_iflag_f32_e32 v1, v1
	v_mul_f32_e32 v3, 0x4f7ffffe, v0
	v_mov_b32_e32 v0, v17
	v_mul_f32_e32 v4, 0x4f7ffffe, v1
	v_mov_b32_e32 v1, v17
	v_cvt_u32_f32_e32 v18, v3
	v_mov_b32_e32 v3, v17
	v_cvt_u32_f32_e32 v23, v4
	v_mov_b32_e32 v4, v17
	v_mul_lo_u32 v10, s24, v18
	v_mul_lo_u32 v11, s0, v23
	v_mul_hi_u32 v22, v18, v10
	v_mov_b32_e32 v10, v17
	v_mul_hi_u32 v24, v23, v11
	v_mov_b32_e32 v11, v17
	v_add_nc_u32_e32 v22, v18, v22
	v_mov_b32_e32 v18, v17
	v_mov_b32_e32 v17, v16
	v_add_nc_u32_e32 v23, v23, v24
.LBB111_3:                              ; =>This Loop Header: Depth=1
                                        ;     Child Loop BB111_4 Depth 2
	v_add_co_u32 v24, null, v16, s16
	v_mov_b32_e32 v25, v17
	v_mov_b32_e32 v26, v21
	;; [unrolled: 1-line block ×4, first 2 shown]
	s_mov_b64 s[18:19], 0
.LBB111_4:                              ;   Parent Loop BB111_3 Depth=1
                                        ; =>  This Inner Loop Header: Depth=2
	v_add_nc_u32_e32 v29, s18, v17
	v_mul_hi_u32 v32, v22, v28
	v_mul_hi_u32 v33, v22, v27
	;; [unrolled: 1-line block ×4, first 2 shown]
	v_add_nc_u32_e32 v30, 2, v29
	v_add_nc_u32_e32 v36, s18, v24
	v_mul_hi_u32 v37, v29, v22
	v_add_nc_u32_e32 v38, 1, v29
	v_mul_lo_u32 v39, s22, v32
	v_not_b32_e32 v40, v32
	v_mul_lo_u32 v41, s22, v33
	v_not_b32_e32 v42, v33
	;; [unrolled: 2-line block ×3, first 2 shown]
	v_not_b32_e32 v44, v35
	v_mad_u64_u32 v[32:33], null, s24, v35, v[29:30]
	v_mul_hi_u32 v35, v38, v22
	v_mul_lo_u32 v46, s22, v34
	v_mad_u64_u32 v[33:34], null, s22, v44, v[29:30]
	v_sub_nc_u32_e32 v34, v36, v43
	v_add_nc_u32_e32 v47, 1, v37
	v_cmp_le_u32_e32 vcc_lo, s22, v32
	v_sub_nc_u32_e32 v41, v36, v41
	v_mul_lo_u32 v40, s22, v40
	v_mul_lo_u32 v42, s22, v42
	v_add_nc_u32_e32 v31, 3, v29
	v_cndmask_b32_e32 v32, v32, v33, vcc_lo
	v_add_nc_u32_e32 v33, 1, v34
	v_mul_hi_u32 v38, v30, v22
	v_cndmask_b32_e32 v37, v37, v47, vcc_lo
	v_sub_nc_u32_e32 v39, v36, v39
	v_add_nc_u32_e32 v43, 1, v35
	v_add3_u32 v34, v46, v36, 1
	v_add_nc_u32_e32 v41, 2, v41
	v_cmp_le_u32_e32 vcc_lo, s22, v33
	v_mul_hi_u32 v45, v31, v22
	v_add3_u32 v42, v42, v36, 2
	v_add3_u32 v36, v40, v36, 3
	v_add_nc_u32_e32 v40, 1, v37
	v_cmp_le_u32_e64 s2, s22, v32
	v_add_nc_u32_e32 v44, 1, v38
	v_add_nc_u32_e32 v39, 3, v39
	v_cndmask_b32_e32 v35, v35, v43, vcc_lo
	v_cmp_le_u32_e64 s0, s22, v41
	v_cndmask_b32_e32 v34, v33, v34, vcc_lo
	v_cndmask_b32_e64 v37, v37, v40, s2
	v_add_nc_u32_e32 v47, 1, v45
	v_cmp_le_u32_e64 s1, s22, v39
	v_cndmask_b32_e64 v38, v38, v44, s0
	v_add_nc_u32_e32 v40, 1, v35
	v_cndmask_b32_e64 v41, v41, v42, s0
	v_cmp_le_u32_e32 vcc_lo, s22, v34
	v_mad_u64_u32 v[32:33], null, s24, v37, v[29:30]
	v_cndmask_b32_e64 v43, v45, v47, s1
	v_add_nc_u32_e32 v42, 1, v38
	v_cndmask_b32_e64 v36, v39, v36, s1
	v_cndmask_b32_e32 v34, v35, v40, vcc_lo
	v_cmp_le_u32_e32 vcc_lo, s22, v41
	v_mul_hi_u32 v44, v37, v23
	v_add_nc_u32_e32 v39, 1, v43
	s_mov_b32 m0, s18
	v_add_nc_u32_e32 v28, 4, v28
	v_cndmask_b32_e32 v35, v38, v42, vcc_lo
	v_cmp_le_u32_e32 vcc_lo, s22, v36
	v_mul_lo_u32 v38, v32, s6
	v_mad_u64_u32 v[32:33], null, s24, v34, v[29:30]
	v_mul_hi_u32 v33, v34, v23
	v_cndmask_b32_e32 v36, v43, v39, vcc_lo
	v_mul_lo_u32 v39, v44, s23
	v_mad_u64_u32 v[29:30], null, s24, v35, v[30:31]
	v_mul_hi_u32 v41, v35, v23
	v_mad_u64_u32 v[30:31], null, s24, v36, v[31:32]
	v_mad_u64_u32 v[31:32], null, s6, v32, s[6:7]
	v_mul_lo_u32 v32, v33, s23
	v_mul_hi_u32 v42, v36, v23
	v_sub_nc_u32_e32 v39, v37, v39
	v_mul_lo_u32 v45, v41, s23
	v_add_nc_u32_e32 v40, 1, v44
	v_add_nc_u32_e32 v43, 1, v33
	;; [unrolled: 1-line block ×3, first 2 shown]
	v_subrev_nc_u32_e32 v49, s23, v39
	v_cmp_le_u32_e32 vcc_lo, s23, v39
	v_sub_nc_u32_e32 v32, v34, v32
	v_mul_lo_u32 v47, v42, s23
	v_add_nc_u32_e32 v48, 1, v42
	v_mul_lo_u32 v29, v29, s6
	v_cndmask_b32_e32 v40, v44, v40, vcc_lo
	v_sub_nc_u32_e32 v44, v35, v45
	v_cndmask_b32_e32 v39, v39, v49, vcc_lo
	v_cmp_le_u32_e32 vcc_lo, s23, v32
	v_mul_lo_u32 v30, v30, s6
	v_sub_nc_u32_e32 v45, v36, v47
	v_cmp_le_u32_e64 s0, s23, v44
	v_add_nc_u32_e32 v47, 1, v40
	v_cndmask_b32_e32 v33, v33, v43, vcc_lo
	v_subrev_nc_u32_e32 v43, s23, v32
	v_cmp_le_u32_e64 s1, s23, v45
	v_cndmask_b32_e64 v41, v41, v46, s0
	v_subrev_nc_u32_e32 v46, s23, v44
	v_cmp_le_u32_e64 s2, s23, v39
	v_cndmask_b32_e32 v32, v32, v43, vcc_lo
	v_cndmask_b32_e64 v42, v42, v48, s1
	v_subrev_nc_u32_e32 v48, s23, v45
	v_cndmask_b32_e64 v43, v44, v46, s0
	v_cndmask_b32_e64 v39, v40, v47, s2
	v_add_nc_u32_e32 v40, 1, v33
	v_cmp_le_u32_e32 vcc_lo, s23, v32
	v_add_nc_u32_e32 v44, 1, v41
	v_cndmask_b32_e64 v45, v45, v48, s1
	v_add_nc_u32_e32 v46, 1, v42
	v_mul_lo_u32 v47, v39, s23
	v_cndmask_b32_e32 v32, v33, v40, vcc_lo
	v_cmp_le_u32_e32 vcc_lo, s23, v43
	v_mul_lo_u32 v39, v39, s4
	v_add_nc_u32_e32 v27, 4, v27
	v_add_nc_u32_e32 v26, 4, v26
	;; [unrolled: 1-line block ×3, first 2 shown]
	v_cndmask_b32_e32 v33, v41, v44, vcc_lo
	v_cmp_le_u32_e32 vcc_lo, s23, v45
	v_mul_lo_u32 v41, v32, s23
	v_sub_nc_u32_e32 v37, v37, v47
	v_mul_lo_u32 v32, v32, s4
	v_cndmask_b32_e32 v40, v42, v46, vcc_lo
	v_mul_lo_u32 v42, v33, s23
	v_mul_lo_u32 v37, v37, s5
	;; [unrolled: 1-line block ×3, first 2 shown]
	v_sub_nc_u32_e32 v34, v34, v41
	v_mul_lo_u32 v41, v40, s23
	v_sub_nc_u32_e32 v35, v35, v42
	v_mul_lo_u32 v34, v34, s5
	v_add3_u32 v37, v38, v39, v37
	v_mul_lo_u32 v38, v40, s4
	v_sub_nc_u32_e32 v36, v36, v41
	v_mul_lo_u32 v35, v35, s5
	v_movreld_b32_e32 v0, v37
	s_add_i32 m0, s18, 1
	v_add3_u32 v31, v31, v32, v34
	v_mul_lo_u32 v32, v36, s5
	v_add3_u32 v29, v29, v33, v35
	v_movreld_b32_e32 v0, v31
	s_add_i32 m0, s18, 2
	v_add3_u32 v30, v30, v38, v32
	v_movreld_b32_e32 v0, v29
	s_add_i32 m0, s18, 3
	s_add_u32 s18, s18, 4
	s_addc_u32 s19, s19, 0
	s_cmp_eq_u32 s18, 16
	v_movreld_b32_e32 v0, v30
	s_cbranch_scc0 .LBB111_4
; %bb.5:                                ;   in Loop: Header=BB111_3 Depth=1
	global_load_dwordx4 v[24:27], v17, s[10:11]
	v_add_co_u32 v17, vcc_lo, v17, s21
	v_add_co_ci_u32_e64 v18, null, 0, v18, vcc_lo
	v_add_nc_u32_e32 v28, s3, v0
	v_add_nc_u32_e32 v41, 16, v17
	;; [unrolled: 1-line block ×6, first 2 shown]
	v_cmp_lt_u32_e32 vcc_lo, s20, v41
	s_add_u32 s16, s16, s21
	v_add_nc_u32_e32 v30, s3, v2
	s_addc_u32 s17, s17, 0
	v_add_nc_u32_e32 v31, s3, v3
	s_or_b32 s25, vcc_lo, s25
	v_add_nc_u32_e32 v32, s3, v4
	v_add_nc_u32_e32 v33, s3, v5
	;; [unrolled: 1-line block ×12, first 2 shown]
	s_waitcnt vmcnt(0)
	v_lshrrev_b32_e32 v41, 8, v24
	v_lshrrev_b32_e32 v45, 24, v24
	;; [unrolled: 1-line block ×8, first 2 shown]
	global_store_byte v28, v24, s[8:9]
	global_store_byte v29, v41, s[8:9]
	global_store_byte_d16_hi v30, v24, s[8:9]
	global_store_byte v31, v45, s[8:9]
	global_store_byte v32, v25, s[8:9]
	global_store_byte v33, v46, s[8:9]
	global_store_byte_d16_hi v34, v25, s[8:9]
	global_store_byte v35, v47, s[8:9]
	;; [unrolled: 4-line block ×4, first 2 shown]
	s_andn2_b32 exec_lo, exec_lo, s25
	s_cbranch_execnz .LBB111_3
; %bb.6:
	s_or_b32 exec_lo, exec_lo, s25
	v_mov_b32_e32 v16, v17
.LBB111_7:
	s_or_b32 exec_lo, exec_lo, s15
	v_cmp_gt_u32_e32 vcc_lo, s20, v16
	s_and_b32 exec_lo, exec_lo, vcc_lo
	s_cbranch_execz .LBB111_10
; %bb.8:
	s_cmp_eq_u32 s14, 2
	v_mov_b32_e32 v17, 0
	s_waitcnt lgkmcnt(0)
	s_cselect_b32 s1, s7, s13
	s_cmp_eq_u32 s14, 1
	v_cvt_f32_u32_e32 v0, s1
	s_cselect_b32 s2, s7, s12
	s_sub_i32 s7, 0, s1
	v_cvt_f32_u32_e32 v1, s2
	s_sub_i32 s0, 0, s2
	v_rcp_iflag_f32_e32 v0, v0
	s_mov_b32 s12, 0
	v_rcp_iflag_f32_e32 v1, v1
	v_mul_f32_e32 v0, 0x4f7ffffe, v0
	v_mul_f32_e32 v1, 0x4f7ffffe, v1
	v_cvt_u32_f32_e32 v0, v0
	v_cvt_u32_f32_e32 v3, v1
	v_mul_lo_u32 v2, s7, v0
	v_mul_lo_u32 v4, s0, v3
	v_mul_hi_u32 v1, v0, v2
	v_mul_hi_u32 v4, v3, v4
	v_add_nc_u32_e32 v2, v0, v1
	v_add_nc_u32_e32 v3, v3, v4
	v_mad_u64_u32 v[0:1], null, v16, v2, 0
.LBB111_9:                              ; =>This Inner Loop Header: Depth=1
	v_add_co_u32 v4, vcc_lo, s10, v16
	v_add_co_ci_u32_e64 v5, null, s11, v17, vcc_lo
	v_mul_lo_u32 v7, s1, v1
	v_add_nc_u32_e32 v8, 1, v1
	v_add_co_u32 v0, s0, v0, v2
	global_load_ubyte v6, v[4:5], off
	v_not_b32_e32 v4, v1
	v_mad_u64_u32 v[4:5], null, s1, v4, v[16:17]
	v_sub_nc_u32_e32 v5, v16, v7
	v_cmp_le_u32_e32 vcc_lo, s1, v5
	v_cndmask_b32_e32 v7, v1, v8, vcc_lo
	v_cndmask_b32_e32 v4, v5, v4, vcc_lo
	v_add_co_ci_u32_e64 v1, null, 0, v1, s0
	v_add_nc_u32_e32 v5, 1, v7
	v_cmp_le_u32_e32 vcc_lo, s1, v4
	v_cndmask_b32_e32 v7, v7, v5, vcc_lo
	v_mul_hi_u32 v4, v7, v3
	v_mul_lo_u32 v5, v4, s2
	v_add_nc_u32_e32 v8, 1, v4
	v_sub_nc_u32_e32 v5, v7, v5
	v_subrev_nc_u32_e32 v9, s2, v5
	v_cmp_le_u32_e32 vcc_lo, s2, v5
	v_cndmask_b32_e32 v4, v4, v8, vcc_lo
	v_cndmask_b32_e32 v5, v5, v9, vcc_lo
	v_add_nc_u32_e32 v8, 1, v4
	v_cmp_le_u32_e32 vcc_lo, s2, v5
	v_cndmask_b32_e32 v8, v4, v8, vcc_lo
	v_mad_u64_u32 v[4:5], null, s7, v7, v[16:17]
	v_add_co_u32 v16, vcc_lo, v16, 1
	v_mul_lo_u32 v9, v8, s2
	v_mul_lo_u32 v5, v8, s4
	v_add_co_ci_u32_e64 v17, null, 0, v17, vcc_lo
	v_cmp_le_u32_e32 vcc_lo, s20, v16
	v_sub_nc_u32_e32 v7, v7, v9
	s_or_b32 s12, vcc_lo, s12
	s_waitcnt vmcnt(0)
	v_mad_u64_u32 v[4:5], null, v4, s6, v[5:6]
	v_mul_lo_u32 v5, v7, s5
	v_add3_u32 v4, v4, v5, s3
	global_store_byte v4, v6, s[8:9]
	s_andn2_b32 exec_lo, exec_lo, s12
	s_cbranch_execnz .LBB111_9
.LBB111_10:
	s_endpgm
	.section	.rodata,"a",@progbits
	.p2align	6, 0x0
	.amdhsa_kernel _ZN2at6native12_GLOBAL__N_135CatArrayBatchedCopy_alignedK_contigINS1_10OpaqueTypeILj1EEEjLi3ELi64ELi64ELi16EEEvPT_NS1_25CatArrInputTensorMetadataIS5_T0_XT2_EXT3_EEENS1_16TensorSizeStrideIS8_Lj4EEEiS8_
		.amdhsa_group_segment_fixed_size 0
		.amdhsa_private_segment_fixed_size 0
		.amdhsa_kernarg_size 3696
		.amdhsa_user_sgpr_count 6
		.amdhsa_user_sgpr_private_segment_buffer 1
		.amdhsa_user_sgpr_dispatch_ptr 0
		.amdhsa_user_sgpr_queue_ptr 0
		.amdhsa_user_sgpr_kernarg_segment_ptr 1
		.amdhsa_user_sgpr_dispatch_id 0
		.amdhsa_user_sgpr_flat_scratch_init 0
		.amdhsa_user_sgpr_private_segment_size 0
		.amdhsa_wavefront_size32 1
		.amdhsa_uses_dynamic_stack 0
		.amdhsa_system_sgpr_private_segment_wavefront_offset 0
		.amdhsa_system_sgpr_workgroup_id_x 1
		.amdhsa_system_sgpr_workgroup_id_y 1
		.amdhsa_system_sgpr_workgroup_id_z 0
		.amdhsa_system_sgpr_workgroup_info 0
		.amdhsa_system_vgpr_workitem_id 0
		.amdhsa_next_free_vgpr 52
		.amdhsa_next_free_sgpr 26
		.amdhsa_reserve_vcc 1
		.amdhsa_reserve_flat_scratch 0
		.amdhsa_float_round_mode_32 0
		.amdhsa_float_round_mode_16_64 0
		.amdhsa_float_denorm_mode_32 3
		.amdhsa_float_denorm_mode_16_64 3
		.amdhsa_dx10_clamp 1
		.amdhsa_ieee_mode 1
		.amdhsa_fp16_overflow 0
		.amdhsa_workgroup_processor_mode 1
		.amdhsa_memory_ordered 1
		.amdhsa_forward_progress 1
		.amdhsa_shared_vgpr_count 0
		.amdhsa_exception_fp_ieee_invalid_op 0
		.amdhsa_exception_fp_denorm_src 0
		.amdhsa_exception_fp_ieee_div_zero 0
		.amdhsa_exception_fp_ieee_overflow 0
		.amdhsa_exception_fp_ieee_underflow 0
		.amdhsa_exception_fp_ieee_inexact 0
		.amdhsa_exception_int_div_zero 0
	.end_amdhsa_kernel
	.section	.text._ZN2at6native12_GLOBAL__N_135CatArrayBatchedCopy_alignedK_contigINS1_10OpaqueTypeILj1EEEjLi3ELi64ELi64ELi16EEEvPT_NS1_25CatArrInputTensorMetadataIS5_T0_XT2_EXT3_EEENS1_16TensorSizeStrideIS8_Lj4EEEiS8_,"axG",@progbits,_ZN2at6native12_GLOBAL__N_135CatArrayBatchedCopy_alignedK_contigINS1_10OpaqueTypeILj1EEEjLi3ELi64ELi64ELi16EEEvPT_NS1_25CatArrInputTensorMetadataIS5_T0_XT2_EXT3_EEENS1_16TensorSizeStrideIS8_Lj4EEEiS8_,comdat
.Lfunc_end111:
	.size	_ZN2at6native12_GLOBAL__N_135CatArrayBatchedCopy_alignedK_contigINS1_10OpaqueTypeILj1EEEjLi3ELi64ELi64ELi16EEEvPT_NS1_25CatArrInputTensorMetadataIS5_T0_XT2_EXT3_EEENS1_16TensorSizeStrideIS8_Lj4EEEiS8_, .Lfunc_end111-_ZN2at6native12_GLOBAL__N_135CatArrayBatchedCopy_alignedK_contigINS1_10OpaqueTypeILj1EEEjLi3ELi64ELi64ELi16EEEvPT_NS1_25CatArrInputTensorMetadataIS5_T0_XT2_EXT3_EEENS1_16TensorSizeStrideIS8_Lj4EEEiS8_
                                        ; -- End function
	.set _ZN2at6native12_GLOBAL__N_135CatArrayBatchedCopy_alignedK_contigINS1_10OpaqueTypeILj1EEEjLi3ELi64ELi64ELi16EEEvPT_NS1_25CatArrInputTensorMetadataIS5_T0_XT2_EXT3_EEENS1_16TensorSizeStrideIS8_Lj4EEEiS8_.num_vgpr, 52
	.set _ZN2at6native12_GLOBAL__N_135CatArrayBatchedCopy_alignedK_contigINS1_10OpaqueTypeILj1EEEjLi3ELi64ELi64ELi16EEEvPT_NS1_25CatArrInputTensorMetadataIS5_T0_XT2_EXT3_EEENS1_16TensorSizeStrideIS8_Lj4EEEiS8_.num_agpr, 0
	.set _ZN2at6native12_GLOBAL__N_135CatArrayBatchedCopy_alignedK_contigINS1_10OpaqueTypeILj1EEEjLi3ELi64ELi64ELi16EEEvPT_NS1_25CatArrInputTensorMetadataIS5_T0_XT2_EXT3_EEENS1_16TensorSizeStrideIS8_Lj4EEEiS8_.numbered_sgpr, 26
	.set _ZN2at6native12_GLOBAL__N_135CatArrayBatchedCopy_alignedK_contigINS1_10OpaqueTypeILj1EEEjLi3ELi64ELi64ELi16EEEvPT_NS1_25CatArrInputTensorMetadataIS5_T0_XT2_EXT3_EEENS1_16TensorSizeStrideIS8_Lj4EEEiS8_.num_named_barrier, 0
	.set _ZN2at6native12_GLOBAL__N_135CatArrayBatchedCopy_alignedK_contigINS1_10OpaqueTypeILj1EEEjLi3ELi64ELi64ELi16EEEvPT_NS1_25CatArrInputTensorMetadataIS5_T0_XT2_EXT3_EEENS1_16TensorSizeStrideIS8_Lj4EEEiS8_.private_seg_size, 0
	.set _ZN2at6native12_GLOBAL__N_135CatArrayBatchedCopy_alignedK_contigINS1_10OpaqueTypeILj1EEEjLi3ELi64ELi64ELi16EEEvPT_NS1_25CatArrInputTensorMetadataIS5_T0_XT2_EXT3_EEENS1_16TensorSizeStrideIS8_Lj4EEEiS8_.uses_vcc, 1
	.set _ZN2at6native12_GLOBAL__N_135CatArrayBatchedCopy_alignedK_contigINS1_10OpaqueTypeILj1EEEjLi3ELi64ELi64ELi16EEEvPT_NS1_25CatArrInputTensorMetadataIS5_T0_XT2_EXT3_EEENS1_16TensorSizeStrideIS8_Lj4EEEiS8_.uses_flat_scratch, 0
	.set _ZN2at6native12_GLOBAL__N_135CatArrayBatchedCopy_alignedK_contigINS1_10OpaqueTypeILj1EEEjLi3ELi64ELi64ELi16EEEvPT_NS1_25CatArrInputTensorMetadataIS5_T0_XT2_EXT3_EEENS1_16TensorSizeStrideIS8_Lj4EEEiS8_.has_dyn_sized_stack, 0
	.set _ZN2at6native12_GLOBAL__N_135CatArrayBatchedCopy_alignedK_contigINS1_10OpaqueTypeILj1EEEjLi3ELi64ELi64ELi16EEEvPT_NS1_25CatArrInputTensorMetadataIS5_T0_XT2_EXT3_EEENS1_16TensorSizeStrideIS8_Lj4EEEiS8_.has_recursion, 0
	.set _ZN2at6native12_GLOBAL__N_135CatArrayBatchedCopy_alignedK_contigINS1_10OpaqueTypeILj1EEEjLi3ELi64ELi64ELi16EEEvPT_NS1_25CatArrInputTensorMetadataIS5_T0_XT2_EXT3_EEENS1_16TensorSizeStrideIS8_Lj4EEEiS8_.has_indirect_call, 0
	.section	.AMDGPU.csdata,"",@progbits
; Kernel info:
; codeLenInByte = 2012
; TotalNumSgprs: 28
; NumVgprs: 52
; ScratchSize: 0
; MemoryBound: 0
; FloatMode: 240
; IeeeMode: 1
; LDSByteSize: 0 bytes/workgroup (compile time only)
; SGPRBlocks: 0
; VGPRBlocks: 6
; NumSGPRsForWavesPerEU: 28
; NumVGPRsForWavesPerEU: 52
; Occupancy: 16
; WaveLimiterHint : 1
; COMPUTE_PGM_RSRC2:SCRATCH_EN: 0
; COMPUTE_PGM_RSRC2:USER_SGPR: 6
; COMPUTE_PGM_RSRC2:TRAP_HANDLER: 0
; COMPUTE_PGM_RSRC2:TGID_X_EN: 1
; COMPUTE_PGM_RSRC2:TGID_Y_EN: 1
; COMPUTE_PGM_RSRC2:TGID_Z_EN: 0
; COMPUTE_PGM_RSRC2:TIDIG_COMP_CNT: 0
	.section	.text._ZN2at6native12_GLOBAL__N_135CatArrayBatchedCopy_alignedK_contigINS1_10OpaqueTypeILj1EEEjLi3ELi64ELi64ELi8EEEvPT_NS1_25CatArrInputTensorMetadataIS5_T0_XT2_EXT3_EEENS1_16TensorSizeStrideIS8_Lj4EEEiS8_,"axG",@progbits,_ZN2at6native12_GLOBAL__N_135CatArrayBatchedCopy_alignedK_contigINS1_10OpaqueTypeILj1EEEjLi3ELi64ELi64ELi8EEEvPT_NS1_25CatArrInputTensorMetadataIS5_T0_XT2_EXT3_EEENS1_16TensorSizeStrideIS8_Lj4EEEiS8_,comdat
	.globl	_ZN2at6native12_GLOBAL__N_135CatArrayBatchedCopy_alignedK_contigINS1_10OpaqueTypeILj1EEEjLi3ELi64ELi64ELi8EEEvPT_NS1_25CatArrInputTensorMetadataIS5_T0_XT2_EXT3_EEENS1_16TensorSizeStrideIS8_Lj4EEEiS8_ ; -- Begin function _ZN2at6native12_GLOBAL__N_135CatArrayBatchedCopy_alignedK_contigINS1_10OpaqueTypeILj1EEEjLi3ELi64ELi64ELi8EEEvPT_NS1_25CatArrInputTensorMetadataIS5_T0_XT2_EXT3_EEENS1_16TensorSizeStrideIS8_Lj4EEEiS8_
	.p2align	8
	.type	_ZN2at6native12_GLOBAL__N_135CatArrayBatchedCopy_alignedK_contigINS1_10OpaqueTypeILj1EEEjLi3ELi64ELi64ELi8EEEvPT_NS1_25CatArrInputTensorMetadataIS5_T0_XT2_EXT3_EEENS1_16TensorSizeStrideIS8_Lj4EEEiS8_,@function
_ZN2at6native12_GLOBAL__N_135CatArrayBatchedCopy_alignedK_contigINS1_10OpaqueTypeILj1EEEjLi3ELi64ELi64ELi8EEEvPT_NS1_25CatArrInputTensorMetadataIS5_T0_XT2_EXT3_EEENS1_16TensorSizeStrideIS8_Lj4EEEiS8_: ; @_ZN2at6native12_GLOBAL__N_135CatArrayBatchedCopy_alignedK_contigINS1_10OpaqueTypeILj1EEEjLi3ELi64ELi64ELi8EEEvPT_NS1_25CatArrInputTensorMetadataIS5_T0_XT2_EXT3_EEENS1_16TensorSizeStrideIS8_Lj4EEEiS8_
; %bb.0:
	s_mov_b32 s2, s7
	s_load_dword s7, s[4:5], 0xd7c
	s_mov_b32 s3, 0
	s_add_u32 s0, s4, 0xd70
	s_addc_u32 s1, s5, 0
	s_lshl_b64 s[2:3], s[2:3], 2
	s_waitcnt lgkmcnt(0)
	s_and_b32 s21, s7, 0xffff
	s_add_u32 s8, s4, s2
	s_addc_u32 s9, s5, s3
	s_mul_i32 s6, s6, s21
	s_load_dword s7, s[8:9], 0x408
	v_add_lshl_u32 v0, s6, v0, 3
	s_add_u32 s6, s8, 8
	s_addc_u32 s8, s9, 0
	s_mov_b32 s9, exec_lo
	s_waitcnt lgkmcnt(0)
	v_cmpx_gt_u32_e64 s7, v0
	s_cbranch_execz .LBB112_8
; %bb.1:
	s_add_u32 s14, s6, s2
	s_addc_u32 s15, s8, s3
	s_sub_u32 s2, 0, s2
	s_subb_u32 s3, 0, s3
	s_add_u32 s2, s14, s2
	s_addc_u32 s3, s15, s3
	s_clause 0x3
	s_load_dwordx2 s[12:13], s[4:5], 0x0
	s_load_dwordx2 s[16:17], s[4:5], 0xd4c
	s_load_dwordx2 s[18:19], s[4:5], 0xd68
	s_load_dwordx4 s[8:11], s[4:5], 0xd58
	s_waitcnt lgkmcnt(0)
	s_clause 0x2
	s_load_dword s11, s[2:3], 0x200
	s_load_dwordx2 s[14:15], s[14:15], 0x0
	s_load_dword s20, s[2:3], 0x300
	v_add_nc_u32_e32 v1, 8, v0
	s_waitcnt lgkmcnt(0)
	s_mul_i32 s11, s11, s19
	s_mov_b32 s19, exec_lo
	v_cmpx_ge_u32_e64 s7, v1
	s_cbranch_execz .LBB112_5
; %bb.2:
	s_load_dword s0, s[0:1], 0x0
	v_add_nc_u32_e32 v5, 5, v0
	v_add_nc_u32_e32 v6, 4, v0
	;; [unrolled: 1-line block ×5, first 2 shown]
	s_mov_b32 s25, 0
	s_waitcnt lgkmcnt(0)
	s_mul_i32 s0, s0, s21
	s_lshl_b32 s21, s0, 3
	s_cmp_eq_u32 s18, 2
	s_cselect_b32 s22, s20, s17
	s_cmp_eq_u32 s18, 1
	v_cvt_f32_u32_e32 v1, s22
	s_cselect_b32 s23, s20, s16
	s_sub_i32 s24, 0, s22
	v_cvt_f32_u32_e32 v2, s23
	s_sub_i32 s0, 0, s23
	v_rcp_iflag_f32_e32 v1, v1
	v_rcp_iflag_f32_e32 v2, v2
	v_mul_f32_e32 v1, 0x4f7ffffe, v1
	v_mul_f32_e32 v2, 0x4f7ffffe, v2
	v_cvt_u32_f32_e32 v1, v1
	v_cvt_u32_f32_e32 v2, v2
	v_mul_lo_u32 v3, s24, v1
	v_mul_lo_u32 v4, s0, v2
	v_mul_hi_u32 v9, v1, v3
	v_add_nc_u32_e32 v3, 7, v0
	v_mul_hi_u32 v10, v2, v4
	v_add_nc_u32_e32 v4, 6, v0
	v_add_nc_u32_e32 v9, v1, v9
	;; [unrolled: 1-line block ×3, first 2 shown]
.LBB112_3:                              ; =>This Inner Loop Header: Depth=1
	global_load_dwordx2 v[1:2], v0, s[14:15]
	v_mul_hi_u32 v30, v9, v0
	v_mul_hi_u32 v21, v9, v11
	;; [unrolled: 1-line block ×5, first 2 shown]
	v_add_nc_u32_e32 v12, 1, v0
	v_add_nc_u32_e32 v13, 2, v0
	v_mul_hi_u32 v25, v9, v5
	v_add_nc_u32_e32 v14, 3, v0
	v_mul_hi_u32 v26, v9, v4
	;; [unrolled: 2-line block ×3, first 2 shown]
	v_add_nc_u32_e32 v16, 5, v0
	v_add_nc_u32_e32 v17, 6, v0
	;; [unrolled: 1-line block ×3, first 2 shown]
	v_not_b32_e32 v28, v21
	v_not_b32_e32 v43, v22
	;; [unrolled: 1-line block ×8, first 2 shown]
	v_mul_hi_u32 v31, v12, v9
	v_mul_hi_u32 v33, v14, v9
	v_add_nc_u32_e32 v44, 1, v30
	v_mul_hi_u32 v32, v13, v9
	v_mul_hi_u32 v35, v16, v9
	;; [unrolled: 1-line block ×5, first 2 shown]
	v_add_nc_u32_e32 v3, s21, v3
	v_add_nc_u32_e32 v4, s21, v4
	;; [unrolled: 1-line block ×8, first 2 shown]
	s_waitcnt vmcnt(0)
	v_mad_u64_u32 v[19:20], null, s24, v30, v[0:1]
	v_mad_u64_u32 v[20:21], null, s24, v21, v[12:13]
	;; [unrolled: 1-line block ×10, first 2 shown]
	v_cmp_le_u32_e32 vcc_lo, s22, v19
	v_cmp_le_u32_e64 s0, s22, v22
	v_cmp_le_u32_e64 s2, s22, v24
	;; [unrolled: 1-line block ×4, first 2 shown]
	v_cndmask_b32_e32 v12, v30, v44, vcc_lo
	v_cndmask_b32_e32 v44, v19, v28, vcc_lo
	v_cmp_le_u32_e32 vcc_lo, s22, v20
	v_add_nc_u32_e32 v30, 1, v31
	v_mad_u64_u32 v[28:29], null, s22, v43, v[13:14]
	v_add_nc_u32_e32 v43, 1, v33
	v_cndmask_b32_e32 v27, v20, v27, vcc_lo
	v_mad_u64_u32 v[19:20], null, s22, v41, v[15:16]
	v_cndmask_b32_e32 v46, v31, v30, vcc_lo
	v_mad_u64_u32 v[29:30], null, s22, v42, v[14:15]
	v_add_nc_u32_e32 v20, 1, v35
	v_cmp_le_u32_e32 vcc_lo, s22, v21
	v_mad_u64_u32 v[30:31], null, s22, v40, v[16:17]
	v_cndmask_b32_e64 v40, v33, v43, s0
	v_add_nc_u32_e32 v33, 1, v36
	v_cndmask_b32_e32 v41, v32, v45, vcc_lo
	v_mad_u64_u32 v[31:32], null, s22, v39, v[17:18]
	v_cndmask_b32_e64 v20, v35, v20, s2
	v_add_nc_u32_e32 v35, 1, v37
	v_cndmask_b32_e64 v36, v36, v33, s3
	v_mad_u64_u32 v[32:33], null, s22, v38, v[18:19]
	v_add_nc_u32_e32 v42, 1, v34
	v_cmp_le_u32_e64 s1, s22, v23
	v_cndmask_b32_e64 v33, v37, v35, s4
	v_add_nc_u32_e32 v35, 1, v12
	v_cndmask_b32_e32 v21, v21, v28, vcc_lo
	v_cmp_le_u32_e32 vcc_lo, s22, v44
	v_cndmask_b32_e64 v34, v34, v42, s1
	v_cndmask_b32_e64 v22, v22, v29, s0
	;; [unrolled: 1-line block ×6, first 2 shown]
	v_add_nc_u32_e32 v26, 1, v46
	v_cmp_le_u32_e64 s5, s22, v27
	v_cndmask_b32_e32 v35, v12, v35, vcc_lo
	v_add_nc_u32_e32 v28, 1, v41
	v_add_nc_u32_e32 v29, 1, v40
	;; [unrolled: 1-line block ×4, first 2 shown]
	v_cmp_le_u32_e32 vcc_lo, s22, v21
	v_cmp_le_u32_e64 s0, s22, v22
	v_cmp_le_u32_e64 s1, s22, v19
	;; [unrolled: 1-line block ×3, first 2 shown]
	v_cndmask_b32_e64 v26, v46, v26, s5
	v_mul_hi_u32 v22, v35, v10
	v_add_nc_u32_e32 v32, 1, v36
	v_add_nc_u32_e32 v37, 1, v33
	v_cmp_le_u32_e64 s3, s22, v24
	v_cmp_le_u32_e64 s4, s22, v25
	v_cndmask_b32_e32 v27, v41, v28, vcc_lo
	v_cndmask_b32_e64 v28, v40, v29, s0
	v_cndmask_b32_e64 v29, v34, v30, s1
	v_cndmask_b32_e64 v30, v20, v31, s2
	v_mad_u64_u32 v[19:20], null, s24, v35, v[0:1]
	v_mad_u64_u32 v[20:21], null, s24, v26, v[0:1]
	v_mul_hi_u32 v21, v26, v10
	v_add_nc_u32_e32 v0, s21, v0
	v_cndmask_b32_e64 v31, v36, v32, s3
	v_cndmask_b32_e64 v32, v33, v37, s4
	v_mul_lo_u32 v37, v22, s23
	v_mul_hi_u32 v23, v27, v10
	v_add_nc_u32_e32 v36, 8, v0
	v_mul_lo_u32 v39, s10, v20
	v_mul_lo_u32 v20, v21, s23
	v_mul_hi_u32 v24, v28, v10
	v_mul_hi_u32 v25, v29, v10
	v_cmp_lt_u32_e32 vcc_lo, s7, v36
	v_sub_nc_u32_e32 v37, v35, v37
	v_mul_lo_u32 v41, v23, s23
	v_add_nc_u32_e32 v38, 1, v22
	v_mul_hi_u32 v33, v30, v10
	s_or_b32 s25, vcc_lo, s25
	v_sub_nc_u32_e32 v20, v26, v20
	v_cmp_le_u32_e32 vcc_lo, s23, v37
	v_mul_lo_u32 v43, v24, s23
	v_add_nc_u32_e32 v40, 1, v21
	v_sub_nc_u32_e32 v41, v27, v41
	v_cmp_le_u32_e64 s0, s23, v20
	v_cndmask_b32_e32 v22, v22, v38, vcc_lo
	v_subrev_nc_u32_e32 v38, s23, v37
	v_mul_lo_u32 v45, v25, s23
	v_mad_u64_u32 v[12:13], null, s24, v27, v[13:14]
	v_mad_u64_u32 v[13:14], null, s24, v28, v[14:15]
	v_mul_hi_u32 v34, v31, v10
	v_mad_u64_u32 v[14:15], null, s24, v29, v[15:16]
	v_add_nc_u32_e32 v42, 1, v23
	v_sub_nc_u32_e32 v43, v28, v43
	v_cndmask_b32_e64 v21, v21, v40, s0
	v_subrev_nc_u32_e32 v40, s23, v20
	v_cmp_le_u32_e64 s1, s23, v41
	v_cndmask_b32_e32 v37, v37, v38, vcc_lo
	v_mad_u64_u32 v[15:16], null, s24, v30, v[16:17]
	v_mad_u64_u32 v[16:17], null, s24, v31, v[17:18]
	v_mul_lo_u32 v47, v33, s23
	v_mad_u64_u32 v[17:18], null, s24, v32, v[18:19]
	v_mul_hi_u32 v18, v32, v10
	v_add_nc_u32_e32 v44, 1, v24
	v_sub_nc_u32_e32 v45, v29, v45
	v_cndmask_b32_e64 v23, v23, v42, s1
	v_subrev_nc_u32_e32 v42, s23, v41
	v_cmp_le_u32_e64 s2, s23, v43
	v_add_nc_u32_e32 v38, 1, v22
	v_cndmask_b32_e64 v20, v20, v40, s0
	v_cmp_le_u32_e32 vcc_lo, s23, v37
	v_mul_lo_u32 v49, v34, s23
	v_add_nc_u32_e32 v46, 1, v25
	v_sub_nc_u32_e32 v47, v30, v47
	v_cndmask_b32_e64 v24, v24, v44, s2
	v_subrev_nc_u32_e32 v44, s23, v43
	v_cmp_le_u32_e64 s3, s23, v45
	v_add_nc_u32_e32 v40, 1, v21
	v_cndmask_b32_e64 v41, v41, v42, s1
	v_cndmask_b32_e32 v22, v22, v38, vcc_lo
	v_cmp_le_u32_e32 vcc_lo, s23, v20
	v_mul_lo_u32 v51, v18, s23
	v_add_nc_u32_e32 v48, 1, v33
	v_sub_nc_u32_e32 v49, v31, v49
	v_cndmask_b32_e64 v25, v25, v46, s3
	v_subrev_nc_u32_e32 v46, s23, v45
	v_cmp_le_u32_e64 s4, s23, v47
	v_add_nc_u32_e32 v42, 1, v23
	v_cndmask_b32_e64 v43, v43, v44, s2
	v_cndmask_b32_e32 v20, v21, v40, vcc_lo
	v_cmp_le_u32_e32 vcc_lo, s23, v41
	v_add_nc_u32_e32 v50, 1, v34
	v_sub_nc_u32_e32 v51, v32, v51
	v_cndmask_b32_e64 v33, v33, v48, s4
	v_subrev_nc_u32_e32 v48, s23, v47
	v_cmp_le_u32_e64 s5, s23, v49
	v_add_nc_u32_e32 v44, 1, v24
	v_cndmask_b32_e64 v45, v45, v46, s3
	v_cndmask_b32_e32 v21, v23, v42, vcc_lo
	v_cmp_le_u32_e32 vcc_lo, s23, v43
	v_add_nc_u32_e32 v36, 1, v18
	v_cndmask_b32_e64 v34, v34, v50, s5
	v_subrev_nc_u32_e32 v50, s23, v49
	v_cmp_le_u32_e64 s6, s23, v51
	v_add_nc_u32_e32 v46, 1, v25
	v_cndmask_b32_e64 v47, v47, v48, s4
	v_cndmask_b32_e32 v23, v24, v44, vcc_lo
	v_cmp_le_u32_e32 vcc_lo, s23, v45
	v_cndmask_b32_e64 v18, v18, v36, s6
	v_subrev_nc_u32_e32 v36, s23, v51
	v_add_nc_u32_e32 v48, 1, v33
	v_cndmask_b32_e64 v49, v49, v50, s5
	v_cndmask_b32_e32 v24, v25, v46, vcc_lo
	v_cmp_le_u32_e32 vcc_lo, s23, v47
	v_add_nc_u32_e32 v50, 1, v34
	v_cndmask_b32_e64 v36, v51, v36, s6
	v_add_nc_u32_e32 v51, 1, v18
	v_mul_lo_u32 v37, v20, s23
	v_cndmask_b32_e32 v25, v33, v48, vcc_lo
	v_cmp_le_u32_e32 vcc_lo, s23, v49
	v_mul_lo_u32 v38, v20, s8
	v_mul_lo_u32 v40, v21, s23
	;; [unrolled: 1-line block ×4, first 2 shown]
	v_cndmask_b32_e32 v33, v34, v50, vcc_lo
	v_cmp_le_u32_e32 vcc_lo, s23, v36
	v_mul_lo_u32 v36, v22, s23
	v_mul_lo_u32 v41, v23, s23
	v_mul_lo_u32 v23, v25, s8
	v_mul_lo_u32 v42, v24, s23
	v_cndmask_b32_e32 v34, v18, v51, vcc_lo
	v_mul_lo_u32 v18, v22, s8
	v_mul_lo_u32 v22, v24, s8
	;; [unrolled: 1-line block ×7, first 2 shown]
	v_sub_nc_u32_e32 v26, v26, v37
	v_mad_u64_u32 v[18:19], null, v19, s10, v[18:19]
	v_sub_nc_u32_e32 v34, v35, v36
	v_mad_u64_u32 v[19:20], null, v12, s10, v[20:21]
	v_mad_u64_u32 v[12:13], null, v13, s10, v[21:22]
	v_sub_nc_u32_e32 v20, v28, v41
	v_mad_u64_u32 v[13:14], null, v14, s10, v[22:23]
	v_sub_nc_u32_e32 v27, v27, v40
	;; [unrolled: 2-line block ×3, first 2 shown]
	v_mad_u64_u32 v[15:16], null, v16, s10, v[24:25]
	v_mad_u64_u32 v[16:17], null, v17, s10, v[25:26]
	v_sub_nc_u32_e32 v22, v30, v43
	v_sub_nc_u32_e32 v23, v31, v44
	;; [unrolled: 1-line block ×3, first 2 shown]
	v_mul_lo_u32 v17, v34, s9
	v_mul_lo_u32 v25, v26, s9
	v_mul_lo_u32 v20, v20, s9
	v_mul_lo_u32 v26, v27, s9
	v_mul_lo_u32 v21, v21, s9
	v_add3_u32 v35, v39, s10, v38
	v_mul_lo_u32 v22, v22, s9
	v_mul_lo_u32 v23, v23, s9
	;; [unrolled: 1-line block ×3, first 2 shown]
	v_add3_u32 v17, v18, v17, s11
	v_add3_u32 v18, v35, v25, s11
	;; [unrolled: 1-line block ×3, first 2 shown]
	v_lshrrev_b32_e32 v20, 8, v1
	v_add3_u32 v19, v19, v26, s11
	v_add3_u32 v13, v13, v21, s11
	v_lshrrev_b32_e32 v21, 24, v1
	v_add3_u32 v14, v14, v22, s11
	v_add3_u32 v15, v15, v23, s11
	;; [unrolled: 1-line block ×3, first 2 shown]
	v_lshrrev_b32_e32 v22, 8, v2
	v_lshrrev_b32_e32 v23, 24, v2
	global_store_byte v17, v1, s[12:13]
	global_store_byte v18, v20, s[12:13]
	global_store_byte_d16_hi v19, v1, s[12:13]
	global_store_byte v12, v21, s[12:13]
	global_store_byte v13, v2, s[12:13]
	;; [unrolled: 1-line block ×3, first 2 shown]
	global_store_byte_d16_hi v15, v2, s[12:13]
	global_store_byte v16, v23, s[12:13]
	s_andn2_b32 exec_lo, exec_lo, s25
	s_cbranch_execnz .LBB112_3
; %bb.4:
	s_or_b32 exec_lo, exec_lo, s25
.LBB112_5:
	s_or_b32 exec_lo, exec_lo, s19
	v_cmp_gt_u32_e32 vcc_lo, s7, v0
	s_and_b32 exec_lo, exec_lo, vcc_lo
	s_cbranch_execz .LBB112_8
; %bb.6:
	s_cmp_eq_u32 s18, 2
	s_mov_b32 s4, 0
	s_cselect_b32 s1, s20, s17
	s_cmp_eq_u32 s18, 1
	v_cvt_f32_u32_e32 v1, s1
	s_cselect_b32 s2, s20, s16
	s_sub_i32 s3, 0, s1
	v_cvt_f32_u32_e32 v2, s2
	s_sub_i32 s0, 0, s2
	v_rcp_iflag_f32_e32 v1, v1
	v_rcp_iflag_f32_e32 v2, v2
	v_mul_f32_e32 v1, 0x4f7ffffe, v1
	v_mul_f32_e32 v2, 0x4f7ffffe, v2
	v_cvt_u32_f32_e32 v1, v1
	v_cvt_u32_f32_e32 v5, v2
	v_mul_lo_u32 v3, s3, v1
	v_mul_hi_u32 v2, v1, v3
	v_mul_lo_u32 v3, s0, v5
	v_add_nc_u32_e32 v4, v1, v2
	v_mul_hi_u32 v6, v5, v3
	v_mov_b32_e32 v1, 0
	v_mad_u64_u32 v[2:3], null, v0, v4, 0
	v_add_nc_u32_e32 v5, v5, v6
.LBB112_7:                              ; =>This Inner Loop Header: Depth=1
	v_add_co_u32 v6, vcc_lo, s14, v0
	v_add_co_ci_u32_e64 v7, null, s15, v1, vcc_lo
	v_mul_lo_u32 v9, s1, v3
	v_add_nc_u32_e32 v10, 1, v3
	v_add_co_u32 v2, s0, v2, v4
	global_load_ubyte v8, v[6:7], off
	v_not_b32_e32 v6, v3
	v_mad_u64_u32 v[6:7], null, s1, v6, v[0:1]
	v_sub_nc_u32_e32 v7, v0, v9
	v_cmp_le_u32_e32 vcc_lo, s1, v7
	v_cndmask_b32_e32 v9, v3, v10, vcc_lo
	v_cndmask_b32_e32 v6, v7, v6, vcc_lo
	v_add_co_ci_u32_e64 v3, null, 0, v3, s0
	v_add_nc_u32_e32 v7, 1, v9
	v_cmp_le_u32_e32 vcc_lo, s1, v6
	v_cndmask_b32_e32 v9, v9, v7, vcc_lo
	v_mul_hi_u32 v6, v9, v5
	v_mul_lo_u32 v7, v6, s2
	v_add_nc_u32_e32 v10, 1, v6
	v_sub_nc_u32_e32 v7, v9, v7
	v_subrev_nc_u32_e32 v11, s2, v7
	v_cmp_le_u32_e32 vcc_lo, s2, v7
	v_cndmask_b32_e32 v6, v6, v10, vcc_lo
	v_cndmask_b32_e32 v7, v7, v11, vcc_lo
	v_add_nc_u32_e32 v10, 1, v6
	v_cmp_le_u32_e32 vcc_lo, s2, v7
	v_cndmask_b32_e32 v10, v6, v10, vcc_lo
	v_mad_u64_u32 v[6:7], null, s3, v9, v[0:1]
	v_add_co_u32 v0, vcc_lo, v0, 1
	v_mul_lo_u32 v11, v10, s2
	v_mul_lo_u32 v7, v10, s8
	v_add_co_ci_u32_e64 v1, null, 0, v1, vcc_lo
	v_cmp_le_u32_e32 vcc_lo, s7, v0
	v_sub_nc_u32_e32 v9, v9, v11
	s_or_b32 s4, vcc_lo, s4
	s_waitcnt vmcnt(0)
	v_mad_u64_u32 v[6:7], null, v6, s10, v[7:8]
	v_mul_lo_u32 v7, v9, s9
	v_add3_u32 v6, v6, v7, s11
	global_store_byte v6, v8, s[12:13]
	s_andn2_b32 exec_lo, exec_lo, s4
	s_cbranch_execnz .LBB112_7
.LBB112_8:
	s_endpgm
	.section	.rodata,"a",@progbits
	.p2align	6, 0x0
	.amdhsa_kernel _ZN2at6native12_GLOBAL__N_135CatArrayBatchedCopy_alignedK_contigINS1_10OpaqueTypeILj1EEEjLi3ELi64ELi64ELi8EEEvPT_NS1_25CatArrInputTensorMetadataIS5_T0_XT2_EXT3_EEENS1_16TensorSizeStrideIS8_Lj4EEEiS8_
		.amdhsa_group_segment_fixed_size 0
		.amdhsa_private_segment_fixed_size 0
		.amdhsa_kernarg_size 3696
		.amdhsa_user_sgpr_count 6
		.amdhsa_user_sgpr_private_segment_buffer 1
		.amdhsa_user_sgpr_dispatch_ptr 0
		.amdhsa_user_sgpr_queue_ptr 0
		.amdhsa_user_sgpr_kernarg_segment_ptr 1
		.amdhsa_user_sgpr_dispatch_id 0
		.amdhsa_user_sgpr_flat_scratch_init 0
		.amdhsa_user_sgpr_private_segment_size 0
		.amdhsa_wavefront_size32 1
		.amdhsa_uses_dynamic_stack 0
		.amdhsa_system_sgpr_private_segment_wavefront_offset 0
		.amdhsa_system_sgpr_workgroup_id_x 1
		.amdhsa_system_sgpr_workgroup_id_y 1
		.amdhsa_system_sgpr_workgroup_id_z 0
		.amdhsa_system_sgpr_workgroup_info 0
		.amdhsa_system_vgpr_workitem_id 0
		.amdhsa_next_free_vgpr 52
		.amdhsa_next_free_sgpr 26
		.amdhsa_reserve_vcc 1
		.amdhsa_reserve_flat_scratch 0
		.amdhsa_float_round_mode_32 0
		.amdhsa_float_round_mode_16_64 0
		.amdhsa_float_denorm_mode_32 3
		.amdhsa_float_denorm_mode_16_64 3
		.amdhsa_dx10_clamp 1
		.amdhsa_ieee_mode 1
		.amdhsa_fp16_overflow 0
		.amdhsa_workgroup_processor_mode 1
		.amdhsa_memory_ordered 1
		.amdhsa_forward_progress 1
		.amdhsa_shared_vgpr_count 0
		.amdhsa_exception_fp_ieee_invalid_op 0
		.amdhsa_exception_fp_denorm_src 0
		.amdhsa_exception_fp_ieee_div_zero 0
		.amdhsa_exception_fp_ieee_overflow 0
		.amdhsa_exception_fp_ieee_underflow 0
		.amdhsa_exception_fp_ieee_inexact 0
		.amdhsa_exception_int_div_zero 0
	.end_amdhsa_kernel
	.section	.text._ZN2at6native12_GLOBAL__N_135CatArrayBatchedCopy_alignedK_contigINS1_10OpaqueTypeILj1EEEjLi3ELi64ELi64ELi8EEEvPT_NS1_25CatArrInputTensorMetadataIS5_T0_XT2_EXT3_EEENS1_16TensorSizeStrideIS8_Lj4EEEiS8_,"axG",@progbits,_ZN2at6native12_GLOBAL__N_135CatArrayBatchedCopy_alignedK_contigINS1_10OpaqueTypeILj1EEEjLi3ELi64ELi64ELi8EEEvPT_NS1_25CatArrInputTensorMetadataIS5_T0_XT2_EXT3_EEENS1_16TensorSizeStrideIS8_Lj4EEEiS8_,comdat
.Lfunc_end112:
	.size	_ZN2at6native12_GLOBAL__N_135CatArrayBatchedCopy_alignedK_contigINS1_10OpaqueTypeILj1EEEjLi3ELi64ELi64ELi8EEEvPT_NS1_25CatArrInputTensorMetadataIS5_T0_XT2_EXT3_EEENS1_16TensorSizeStrideIS8_Lj4EEEiS8_, .Lfunc_end112-_ZN2at6native12_GLOBAL__N_135CatArrayBatchedCopy_alignedK_contigINS1_10OpaqueTypeILj1EEEjLi3ELi64ELi64ELi8EEEvPT_NS1_25CatArrInputTensorMetadataIS5_T0_XT2_EXT3_EEENS1_16TensorSizeStrideIS8_Lj4EEEiS8_
                                        ; -- End function
	.set _ZN2at6native12_GLOBAL__N_135CatArrayBatchedCopy_alignedK_contigINS1_10OpaqueTypeILj1EEEjLi3ELi64ELi64ELi8EEEvPT_NS1_25CatArrInputTensorMetadataIS5_T0_XT2_EXT3_EEENS1_16TensorSizeStrideIS8_Lj4EEEiS8_.num_vgpr, 52
	.set _ZN2at6native12_GLOBAL__N_135CatArrayBatchedCopy_alignedK_contigINS1_10OpaqueTypeILj1EEEjLi3ELi64ELi64ELi8EEEvPT_NS1_25CatArrInputTensorMetadataIS5_T0_XT2_EXT3_EEENS1_16TensorSizeStrideIS8_Lj4EEEiS8_.num_agpr, 0
	.set _ZN2at6native12_GLOBAL__N_135CatArrayBatchedCopy_alignedK_contigINS1_10OpaqueTypeILj1EEEjLi3ELi64ELi64ELi8EEEvPT_NS1_25CatArrInputTensorMetadataIS5_T0_XT2_EXT3_EEENS1_16TensorSizeStrideIS8_Lj4EEEiS8_.numbered_sgpr, 26
	.set _ZN2at6native12_GLOBAL__N_135CatArrayBatchedCopy_alignedK_contigINS1_10OpaqueTypeILj1EEEjLi3ELi64ELi64ELi8EEEvPT_NS1_25CatArrInputTensorMetadataIS5_T0_XT2_EXT3_EEENS1_16TensorSizeStrideIS8_Lj4EEEiS8_.num_named_barrier, 0
	.set _ZN2at6native12_GLOBAL__N_135CatArrayBatchedCopy_alignedK_contigINS1_10OpaqueTypeILj1EEEjLi3ELi64ELi64ELi8EEEvPT_NS1_25CatArrInputTensorMetadataIS5_T0_XT2_EXT3_EEENS1_16TensorSizeStrideIS8_Lj4EEEiS8_.private_seg_size, 0
	.set _ZN2at6native12_GLOBAL__N_135CatArrayBatchedCopy_alignedK_contigINS1_10OpaqueTypeILj1EEEjLi3ELi64ELi64ELi8EEEvPT_NS1_25CatArrInputTensorMetadataIS5_T0_XT2_EXT3_EEENS1_16TensorSizeStrideIS8_Lj4EEEiS8_.uses_vcc, 1
	.set _ZN2at6native12_GLOBAL__N_135CatArrayBatchedCopy_alignedK_contigINS1_10OpaqueTypeILj1EEEjLi3ELi64ELi64ELi8EEEvPT_NS1_25CatArrInputTensorMetadataIS5_T0_XT2_EXT3_EEENS1_16TensorSizeStrideIS8_Lj4EEEiS8_.uses_flat_scratch, 0
	.set _ZN2at6native12_GLOBAL__N_135CatArrayBatchedCopy_alignedK_contigINS1_10OpaqueTypeILj1EEEjLi3ELi64ELi64ELi8EEEvPT_NS1_25CatArrInputTensorMetadataIS5_T0_XT2_EXT3_EEENS1_16TensorSizeStrideIS8_Lj4EEEiS8_.has_dyn_sized_stack, 0
	.set _ZN2at6native12_GLOBAL__N_135CatArrayBatchedCopy_alignedK_contigINS1_10OpaqueTypeILj1EEEjLi3ELi64ELi64ELi8EEEvPT_NS1_25CatArrInputTensorMetadataIS5_T0_XT2_EXT3_EEENS1_16TensorSizeStrideIS8_Lj4EEEiS8_.has_recursion, 0
	.set _ZN2at6native12_GLOBAL__N_135CatArrayBatchedCopy_alignedK_contigINS1_10OpaqueTypeILj1EEEjLi3ELi64ELi64ELi8EEEvPT_NS1_25CatArrInputTensorMetadataIS5_T0_XT2_EXT3_EEENS1_16TensorSizeStrideIS8_Lj4EEEiS8_.has_indirect_call, 0
	.section	.AMDGPU.csdata,"",@progbits
; Kernel info:
; codeLenInByte = 2468
; TotalNumSgprs: 28
; NumVgprs: 52
; ScratchSize: 0
; MemoryBound: 0
; FloatMode: 240
; IeeeMode: 1
; LDSByteSize: 0 bytes/workgroup (compile time only)
; SGPRBlocks: 0
; VGPRBlocks: 6
; NumSGPRsForWavesPerEU: 28
; NumVGPRsForWavesPerEU: 52
; Occupancy: 16
; WaveLimiterHint : 1
; COMPUTE_PGM_RSRC2:SCRATCH_EN: 0
; COMPUTE_PGM_RSRC2:USER_SGPR: 6
; COMPUTE_PGM_RSRC2:TRAP_HANDLER: 0
; COMPUTE_PGM_RSRC2:TGID_X_EN: 1
; COMPUTE_PGM_RSRC2:TGID_Y_EN: 1
; COMPUTE_PGM_RSRC2:TGID_Z_EN: 0
; COMPUTE_PGM_RSRC2:TIDIG_COMP_CNT: 0
	.section	.text._ZN2at6native12_GLOBAL__N_126CatArrayBatchedCopy_contigINS1_10OpaqueTypeILj1EEEjLi3ELi64ELi64EEEvPT_NS1_25CatArrInputTensorMetadataIS5_T0_XT2_EXT3_EEENS1_16TensorSizeStrideIS8_Lj4EEEiS8_,"axG",@progbits,_ZN2at6native12_GLOBAL__N_126CatArrayBatchedCopy_contigINS1_10OpaqueTypeILj1EEEjLi3ELi64ELi64EEEvPT_NS1_25CatArrInputTensorMetadataIS5_T0_XT2_EXT3_EEENS1_16TensorSizeStrideIS8_Lj4EEEiS8_,comdat
	.globl	_ZN2at6native12_GLOBAL__N_126CatArrayBatchedCopy_contigINS1_10OpaqueTypeILj1EEEjLi3ELi64ELi64EEEvPT_NS1_25CatArrInputTensorMetadataIS5_T0_XT2_EXT3_EEENS1_16TensorSizeStrideIS8_Lj4EEEiS8_ ; -- Begin function _ZN2at6native12_GLOBAL__N_126CatArrayBatchedCopy_contigINS1_10OpaqueTypeILj1EEEjLi3ELi64ELi64EEEvPT_NS1_25CatArrInputTensorMetadataIS5_T0_XT2_EXT3_EEENS1_16TensorSizeStrideIS8_Lj4EEEiS8_
	.p2align	8
	.type	_ZN2at6native12_GLOBAL__N_126CatArrayBatchedCopy_contigINS1_10OpaqueTypeILj1EEEjLi3ELi64ELi64EEEvPT_NS1_25CatArrInputTensorMetadataIS5_T0_XT2_EXT3_EEENS1_16TensorSizeStrideIS8_Lj4EEEiS8_,@function
_ZN2at6native12_GLOBAL__N_126CatArrayBatchedCopy_contigINS1_10OpaqueTypeILj1EEEjLi3ELi64ELi64EEEvPT_NS1_25CatArrInputTensorMetadataIS5_T0_XT2_EXT3_EEENS1_16TensorSizeStrideIS8_Lj4EEEiS8_: ; @_ZN2at6native12_GLOBAL__N_126CatArrayBatchedCopy_contigINS1_10OpaqueTypeILj1EEEjLi3ELi64ELi64EEEvPT_NS1_25CatArrInputTensorMetadataIS5_T0_XT2_EXT3_EEENS1_16TensorSizeStrideIS8_Lj4EEEiS8_
; %bb.0:
	s_load_dword s2, s[4:5], 0xd7c
	s_mov_b32 s8, s7
	s_mov_b32 s9, 0
	s_add_u32 s10, s4, 0xd70
	s_addc_u32 s11, s5, 0
	s_lshl_b64 s[0:1], s[8:9], 2
	s_waitcnt lgkmcnt(0)
	s_and_b32 s14, s2, 0xffff
	s_add_u32 s2, s4, s0
	s_addc_u32 s3, s5, s1
	v_mad_u64_u32 v[0:1], null, s6, s14, v[0:1]
	s_load_dword s12, s[2:3], 0x408
	s_add_u32 s2, s2, 8
	s_addc_u32 s3, s3, 0
	s_mov_b32 s6, exec_lo
	s_waitcnt lgkmcnt(0)
	v_cmpx_gt_u32_e64 s12, v0
	s_cbranch_execz .LBB113_3
; %bb.1:
	s_add_u32 s6, s2, s0
	s_addc_u32 s7, s3, s1
	s_sub_u32 s0, 0, s0
	s_load_dwordx2 s[16:17], s[4:5], 0xd68
	s_subb_u32 s1, 0, s1
	s_add_u32 s18, s6, s0
	s_addc_u32 s19, s7, s1
	s_clause 0x2
	s_load_dwordx2 s[20:21], s[4:5], 0xd4c
	s_load_dword s8, s[18:19], 0x300
	s_load_dwordx4 s[0:3], s[4:5], 0xd58
	s_waitcnt lgkmcnt(0)
	s_cmp_eq_u32 s16, 2
	s_cselect_b32 s3, s8, s21
	s_cmp_eq_u32 s16, 1
	v_cvt_f32_u32_e32 v1, s3
	s_cselect_b32 s13, s8, s20
	s_clause 0x1
	s_load_dwordx2 s[4:5], s[4:5], 0x0
	s_load_dword s8, s[18:19], 0x200
	v_cvt_f32_u32_e32 v2, s13
	s_load_dword s11, s[10:11], 0x0
	v_rcp_iflag_f32_e32 v1, v1
	s_sub_i32 s10, 0, s3
	s_sub_i32 s15, 0, s13
	v_rcp_iflag_f32_e32 v2, v2
	s_load_dwordx2 s[6:7], s[6:7], 0x0
	v_mul_f32_e32 v1, 0x4f7ffffe, v1
	v_mul_f32_e32 v2, 0x4f7ffffe, v2
	v_cvt_u32_f32_e32 v1, v1
	s_waitcnt lgkmcnt(0)
	s_mul_i32 s8, s8, s17
	v_cvt_u32_f32_e32 v2, v2
	s_mul_i32 s11, s11, s14
	v_mul_lo_u32 v3, s10, v1
	v_mul_lo_u32 v4, s15, v2
	v_mul_hi_u32 v3, v1, v3
	v_mul_hi_u32 v4, v2, v4
	v_add_nc_u32_e32 v1, v1, v3
	v_add_nc_u32_e32 v2, v2, v4
.LBB113_2:                              ; =>This Inner Loop Header: Depth=1
	global_load_ubyte v5, v0, s[6:7]
	v_mul_hi_u32 v6, v1, v0
	v_mul_lo_u32 v3, s3, v6
	v_not_b32_e32 v4, v6
	v_add_nc_u32_e32 v7, 1, v6
	v_sub_nc_u32_e32 v8, v0, v3
	v_mad_u64_u32 v[3:4], null, s3, v4, v[0:1]
	v_cmp_le_u32_e32 vcc_lo, s3, v8
	v_cndmask_b32_e32 v4, v6, v7, vcc_lo
	v_cndmask_b32_e32 v3, v8, v3, vcc_lo
	v_add_nc_u32_e32 v6, 1, v4
	v_cmp_le_u32_e32 vcc_lo, s3, v3
	v_cndmask_b32_e32 v6, v4, v6, vcc_lo
	v_mul_hi_u32 v3, v6, v2
	v_mul_lo_u32 v4, v3, s13
	v_add_nc_u32_e32 v7, 1, v3
	v_sub_nc_u32_e32 v4, v6, v4
	v_subrev_nc_u32_e32 v8, s13, v4
	v_cmp_le_u32_e32 vcc_lo, s13, v4
	v_cndmask_b32_e32 v3, v3, v7, vcc_lo
	v_cndmask_b32_e32 v4, v4, v8, vcc_lo
	v_add_nc_u32_e32 v7, 1, v3
	v_cmp_le_u32_e32 vcc_lo, s13, v4
	v_cndmask_b32_e32 v7, v3, v7, vcc_lo
	v_mad_u64_u32 v[3:4], null, s10, v6, v[0:1]
	v_add_nc_u32_e32 v0, s11, v0
	v_mul_lo_u32 v8, v7, s13
	v_cmp_le_u32_e32 vcc_lo, s12, v0
	v_sub_nc_u32_e32 v6, v6, v8
	v_mul_lo_u32 v8, v3, s2
	v_mad_u64_u32 v[3:4], null, v7, s0, s[8:9]
	s_or_b32 s9, vcc_lo, s9
	v_mul_lo_u32 v4, v6, s1
	v_add3_u32 v3, v3, v8, v4
	s_waitcnt vmcnt(0)
	global_store_byte v3, v5, s[4:5]
	s_andn2_b32 exec_lo, exec_lo, s9
	s_cbranch_execnz .LBB113_2
.LBB113_3:
	s_endpgm
	.section	.rodata,"a",@progbits
	.p2align	6, 0x0
	.amdhsa_kernel _ZN2at6native12_GLOBAL__N_126CatArrayBatchedCopy_contigINS1_10OpaqueTypeILj1EEEjLi3ELi64ELi64EEEvPT_NS1_25CatArrInputTensorMetadataIS5_T0_XT2_EXT3_EEENS1_16TensorSizeStrideIS8_Lj4EEEiS8_
		.amdhsa_group_segment_fixed_size 0
		.amdhsa_private_segment_fixed_size 0
		.amdhsa_kernarg_size 3696
		.amdhsa_user_sgpr_count 6
		.amdhsa_user_sgpr_private_segment_buffer 1
		.amdhsa_user_sgpr_dispatch_ptr 0
		.amdhsa_user_sgpr_queue_ptr 0
		.amdhsa_user_sgpr_kernarg_segment_ptr 1
		.amdhsa_user_sgpr_dispatch_id 0
		.amdhsa_user_sgpr_flat_scratch_init 0
		.amdhsa_user_sgpr_private_segment_size 0
		.amdhsa_wavefront_size32 1
		.amdhsa_uses_dynamic_stack 0
		.amdhsa_system_sgpr_private_segment_wavefront_offset 0
		.amdhsa_system_sgpr_workgroup_id_x 1
		.amdhsa_system_sgpr_workgroup_id_y 1
		.amdhsa_system_sgpr_workgroup_id_z 0
		.amdhsa_system_sgpr_workgroup_info 0
		.amdhsa_system_vgpr_workitem_id 0
		.amdhsa_next_free_vgpr 9
		.amdhsa_next_free_sgpr 22
		.amdhsa_reserve_vcc 1
		.amdhsa_reserve_flat_scratch 0
		.amdhsa_float_round_mode_32 0
		.amdhsa_float_round_mode_16_64 0
		.amdhsa_float_denorm_mode_32 3
		.amdhsa_float_denorm_mode_16_64 3
		.amdhsa_dx10_clamp 1
		.amdhsa_ieee_mode 1
		.amdhsa_fp16_overflow 0
		.amdhsa_workgroup_processor_mode 1
		.amdhsa_memory_ordered 1
		.amdhsa_forward_progress 1
		.amdhsa_shared_vgpr_count 0
		.amdhsa_exception_fp_ieee_invalid_op 0
		.amdhsa_exception_fp_denorm_src 0
		.amdhsa_exception_fp_ieee_div_zero 0
		.amdhsa_exception_fp_ieee_overflow 0
		.amdhsa_exception_fp_ieee_underflow 0
		.amdhsa_exception_fp_ieee_inexact 0
		.amdhsa_exception_int_div_zero 0
	.end_amdhsa_kernel
	.section	.text._ZN2at6native12_GLOBAL__N_126CatArrayBatchedCopy_contigINS1_10OpaqueTypeILj1EEEjLi3ELi64ELi64EEEvPT_NS1_25CatArrInputTensorMetadataIS5_T0_XT2_EXT3_EEENS1_16TensorSizeStrideIS8_Lj4EEEiS8_,"axG",@progbits,_ZN2at6native12_GLOBAL__N_126CatArrayBatchedCopy_contigINS1_10OpaqueTypeILj1EEEjLi3ELi64ELi64EEEvPT_NS1_25CatArrInputTensorMetadataIS5_T0_XT2_EXT3_EEENS1_16TensorSizeStrideIS8_Lj4EEEiS8_,comdat
.Lfunc_end113:
	.size	_ZN2at6native12_GLOBAL__N_126CatArrayBatchedCopy_contigINS1_10OpaqueTypeILj1EEEjLi3ELi64ELi64EEEvPT_NS1_25CatArrInputTensorMetadataIS5_T0_XT2_EXT3_EEENS1_16TensorSizeStrideIS8_Lj4EEEiS8_, .Lfunc_end113-_ZN2at6native12_GLOBAL__N_126CatArrayBatchedCopy_contigINS1_10OpaqueTypeILj1EEEjLi3ELi64ELi64EEEvPT_NS1_25CatArrInputTensorMetadataIS5_T0_XT2_EXT3_EEENS1_16TensorSizeStrideIS8_Lj4EEEiS8_
                                        ; -- End function
	.set _ZN2at6native12_GLOBAL__N_126CatArrayBatchedCopy_contigINS1_10OpaqueTypeILj1EEEjLi3ELi64ELi64EEEvPT_NS1_25CatArrInputTensorMetadataIS5_T0_XT2_EXT3_EEENS1_16TensorSizeStrideIS8_Lj4EEEiS8_.num_vgpr, 9
	.set _ZN2at6native12_GLOBAL__N_126CatArrayBatchedCopy_contigINS1_10OpaqueTypeILj1EEEjLi3ELi64ELi64EEEvPT_NS1_25CatArrInputTensorMetadataIS5_T0_XT2_EXT3_EEENS1_16TensorSizeStrideIS8_Lj4EEEiS8_.num_agpr, 0
	.set _ZN2at6native12_GLOBAL__N_126CatArrayBatchedCopy_contigINS1_10OpaqueTypeILj1EEEjLi3ELi64ELi64EEEvPT_NS1_25CatArrInputTensorMetadataIS5_T0_XT2_EXT3_EEENS1_16TensorSizeStrideIS8_Lj4EEEiS8_.numbered_sgpr, 22
	.set _ZN2at6native12_GLOBAL__N_126CatArrayBatchedCopy_contigINS1_10OpaqueTypeILj1EEEjLi3ELi64ELi64EEEvPT_NS1_25CatArrInputTensorMetadataIS5_T0_XT2_EXT3_EEENS1_16TensorSizeStrideIS8_Lj4EEEiS8_.num_named_barrier, 0
	.set _ZN2at6native12_GLOBAL__N_126CatArrayBatchedCopy_contigINS1_10OpaqueTypeILj1EEEjLi3ELi64ELi64EEEvPT_NS1_25CatArrInputTensorMetadataIS5_T0_XT2_EXT3_EEENS1_16TensorSizeStrideIS8_Lj4EEEiS8_.private_seg_size, 0
	.set _ZN2at6native12_GLOBAL__N_126CatArrayBatchedCopy_contigINS1_10OpaqueTypeILj1EEEjLi3ELi64ELi64EEEvPT_NS1_25CatArrInputTensorMetadataIS5_T0_XT2_EXT3_EEENS1_16TensorSizeStrideIS8_Lj4EEEiS8_.uses_vcc, 1
	.set _ZN2at6native12_GLOBAL__N_126CatArrayBatchedCopy_contigINS1_10OpaqueTypeILj1EEEjLi3ELi64ELi64EEEvPT_NS1_25CatArrInputTensorMetadataIS5_T0_XT2_EXT3_EEENS1_16TensorSizeStrideIS8_Lj4EEEiS8_.uses_flat_scratch, 0
	.set _ZN2at6native12_GLOBAL__N_126CatArrayBatchedCopy_contigINS1_10OpaqueTypeILj1EEEjLi3ELi64ELi64EEEvPT_NS1_25CatArrInputTensorMetadataIS5_T0_XT2_EXT3_EEENS1_16TensorSizeStrideIS8_Lj4EEEiS8_.has_dyn_sized_stack, 0
	.set _ZN2at6native12_GLOBAL__N_126CatArrayBatchedCopy_contigINS1_10OpaqueTypeILj1EEEjLi3ELi64ELi64EEEvPT_NS1_25CatArrInputTensorMetadataIS5_T0_XT2_EXT3_EEENS1_16TensorSizeStrideIS8_Lj4EEEiS8_.has_recursion, 0
	.set _ZN2at6native12_GLOBAL__N_126CatArrayBatchedCopy_contigINS1_10OpaqueTypeILj1EEEjLi3ELi64ELi64EEEvPT_NS1_25CatArrInputTensorMetadataIS5_T0_XT2_EXT3_EEENS1_16TensorSizeStrideIS8_Lj4EEEiS8_.has_indirect_call, 0
	.section	.AMDGPU.csdata,"",@progbits
; Kernel info:
; codeLenInByte = 520
; TotalNumSgprs: 24
; NumVgprs: 9
; ScratchSize: 0
; MemoryBound: 0
; FloatMode: 240
; IeeeMode: 1
; LDSByteSize: 0 bytes/workgroup (compile time only)
; SGPRBlocks: 0
; VGPRBlocks: 1
; NumSGPRsForWavesPerEU: 24
; NumVGPRsForWavesPerEU: 9
; Occupancy: 16
; WaveLimiterHint : 1
; COMPUTE_PGM_RSRC2:SCRATCH_EN: 0
; COMPUTE_PGM_RSRC2:USER_SGPR: 6
; COMPUTE_PGM_RSRC2:TRAP_HANDLER: 0
; COMPUTE_PGM_RSRC2:TGID_X_EN: 1
; COMPUTE_PGM_RSRC2:TGID_Y_EN: 1
; COMPUTE_PGM_RSRC2:TGID_Z_EN: 0
; COMPUTE_PGM_RSRC2:TIDIG_COMP_CNT: 0
	.section	.text._ZN2at6native12_GLOBAL__N_119CatArrayBatchedCopyINS1_10OpaqueTypeILj1EEEjLi3ELi64ELi64EEEvPT_NS1_25CatArrInputTensorMetadataIS5_T0_XT2_EXT3_EEENS1_16TensorSizeStrideIS8_Lj4EEEiS8_,"axG",@progbits,_ZN2at6native12_GLOBAL__N_119CatArrayBatchedCopyINS1_10OpaqueTypeILj1EEEjLi3ELi64ELi64EEEvPT_NS1_25CatArrInputTensorMetadataIS5_T0_XT2_EXT3_EEENS1_16TensorSizeStrideIS8_Lj4EEEiS8_,comdat
	.globl	_ZN2at6native12_GLOBAL__N_119CatArrayBatchedCopyINS1_10OpaqueTypeILj1EEEjLi3ELi64ELi64EEEvPT_NS1_25CatArrInputTensorMetadataIS5_T0_XT2_EXT3_EEENS1_16TensorSizeStrideIS8_Lj4EEEiS8_ ; -- Begin function _ZN2at6native12_GLOBAL__N_119CatArrayBatchedCopyINS1_10OpaqueTypeILj1EEEjLi3ELi64ELi64EEEvPT_NS1_25CatArrInputTensorMetadataIS5_T0_XT2_EXT3_EEENS1_16TensorSizeStrideIS8_Lj4EEEiS8_
	.p2align	8
	.type	_ZN2at6native12_GLOBAL__N_119CatArrayBatchedCopyINS1_10OpaqueTypeILj1EEEjLi3ELi64ELi64EEEvPT_NS1_25CatArrInputTensorMetadataIS5_T0_XT2_EXT3_EEENS1_16TensorSizeStrideIS8_Lj4EEEiS8_,@function
_ZN2at6native12_GLOBAL__N_119CatArrayBatchedCopyINS1_10OpaqueTypeILj1EEEjLi3ELi64ELi64EEEvPT_NS1_25CatArrInputTensorMetadataIS5_T0_XT2_EXT3_EEENS1_16TensorSizeStrideIS8_Lj4EEEiS8_: ; @_ZN2at6native12_GLOBAL__N_119CatArrayBatchedCopyINS1_10OpaqueTypeILj1EEEjLi3ELi64ELi64EEEvPT_NS1_25CatArrInputTensorMetadataIS5_T0_XT2_EXT3_EEENS1_16TensorSizeStrideIS8_Lj4EEEiS8_
; %bb.0:
	s_load_dword s2, s[4:5], 0xd7c
	s_mov_b32 s12, s7
	s_or_b32 s7, s4, 8
	s_mov_b32 s13, 0
	s_add_u32 s14, s4, 0xd70
	s_addc_u32 s15, s5, 0
	s_lshl_b64 s[0:1], s[12:13], 2
	s_mov_b32 s8, exec_lo
	s_waitcnt lgkmcnt(0)
	s_and_b32 s20, s2, 0xffff
	s_add_u32 s2, s7, s0
	s_addc_u32 s3, s5, s1
	v_mad_u64_u32 v[0:1], null, s6, s20, v[0:1]
	s_load_dword s16, s[2:3], 0x400
	s_waitcnt lgkmcnt(0)
	v_cmpx_gt_u32_e64 s16, v0
	s_cbranch_execz .LBB114_5
; %bb.1:
	s_mul_i32 s8, s12, 28
	s_mul_hi_u32 s9, s12, 28
	s_add_u32 s8, s2, s8
	v_mov_b32_e32 v1, 0
	s_addc_u32 s9, s3, s9
	s_add_u32 s2, s7, s12
	s_addc_u32 s3, s5, 0
	s_load_dwordx2 s[18:19], s[4:5], 0xd68
	global_load_ubyte v2, v1, s[2:3] offset:1280
	s_mul_i32 s6, s12, 7
	s_mul_hi_u32 s7, s12, 7
	s_waitcnt vmcnt(0)
	v_and_b32_e32 v2, 1, v2
	v_cmp_eq_u32_e32 vcc_lo, 1, v2
	s_xor_b32 s12, vcc_lo, -1
	s_add_u32 s6, s2, s6
	s_addc_u32 s7, s3, s7
	s_sub_u32 s0, 0, s0
	s_subb_u32 s1, 0, s1
	s_add_u32 s22, s6, s0
	s_addc_u32 s23, s7, s1
	s_clause 0x3
	s_load_dwordx2 s[24:25], s[4:5], 0xd4c
	s_load_dword s21, s[22:23], 0x300
	s_load_dwordx2 s[26:27], s[8:9], 0x544
	s_load_dwordx4 s[0:3], s[4:5], 0xd58
	s_waitcnt lgkmcnt(0)
	s_cmp_eq_u32 s18, 2
	s_load_dwordx4 s[8:11], s[8:9], 0x550
	s_cselect_b32 s3, s21, s25
	s_waitcnt lgkmcnt(0)
	s_cselect_b32 s11, s21, s27
	s_cmp_eq_u32 s18, 1
	v_cvt_f32_u32_e32 v2, s3
	s_cselect_b32 s17, s21, s24
	s_cselect_b32 s18, s21, s26
	v_cvt_f32_u32_e32 v3, s11
	v_cvt_f32_u32_e32 v4, s17
	;; [unrolled: 1-line block ×3, first 2 shown]
	v_rcp_iflag_f32_e32 v2, v2
	s_load_dword s21, s[22:23], 0x200
	s_load_dword s22, s[14:15], 0x0
	v_rcp_iflag_f32_e32 v3, v3
	v_rcp_iflag_f32_e32 v4, v4
	v_rcp_iflag_f32_e32 v5, v5
	s_sub_i32 s14, 0, s3
	s_sub_i32 s15, 0, s11
	;; [unrolled: 1-line block ×4, first 2 shown]
	s_clause 0x1
	s_load_dwordx2 s[4:5], s[4:5], 0x0
	s_load_dwordx2 s[6:7], s[6:7], 0x0
	v_mul_f32_e32 v2, 0x4f7ffffe, v2
	v_mul_f32_e32 v3, 0x4f7ffffe, v3
	;; [unrolled: 1-line block ×4, first 2 shown]
	v_cvt_u32_f32_e32 v2, v2
	v_cvt_u32_f32_e32 v3, v3
	;; [unrolled: 1-line block ×4, first 2 shown]
	v_mul_lo_u32 v4, s14, v2
	s_waitcnt lgkmcnt(0)
	s_mul_i32 s19, s21, s19
	v_mul_lo_u32 v5, s15, v3
	v_mul_lo_u32 v8, s23, v6
	;; [unrolled: 1-line block ×3, first 2 shown]
	s_mul_i32 s20, s22, s20
	v_mul_hi_u32 v4, v2, v4
	v_mul_hi_u32 v5, v3, v5
	;; [unrolled: 1-line block ×4, first 2 shown]
	v_add_nc_u32_e32 v4, v2, v4
	v_add_nc_u32_e32 v5, v3, v5
	;; [unrolled: 1-line block ×4, first 2 shown]
	s_branch .LBB114_3
.LBB114_2:                              ;   in Loop: Header=BB114_3 Depth=1
	v_add_co_u32 v2, vcc_lo, s6, v2
	v_add_co_ci_u32_e64 v3, null, s7, v3, vcc_lo
	v_mul_hi_u32 v11, v4, v0
	global_load_ubyte v10, v[2:3], off
	v_not_b32_e32 v8, v11
	v_mad_u64_u32 v[2:3], null, s14, v11, v[0:1]
	v_add_nc_u32_e32 v3, 1, v11
	v_mad_u64_u32 v[8:9], null, s3, v8, v[0:1]
	v_cmp_le_u32_e32 vcc_lo, s3, v2
	v_cndmask_b32_e32 v3, v11, v3, vcc_lo
	v_cndmask_b32_e32 v2, v2, v8, vcc_lo
	v_add_nc_u32_e32 v8, 1, v3
	v_cmp_le_u32_e32 vcc_lo, s3, v2
	v_cndmask_b32_e32 v8, v3, v8, vcc_lo
	v_mul_hi_u32 v2, v8, v6
	v_mul_lo_u32 v3, v2, s17
	v_add_nc_u32_e32 v9, 1, v2
	v_sub_nc_u32_e32 v3, v8, v3
	v_subrev_nc_u32_e32 v11, s17, v3
	v_cmp_le_u32_e32 vcc_lo, s17, v3
	v_cndmask_b32_e32 v2, v2, v9, vcc_lo
	v_cndmask_b32_e32 v3, v3, v11, vcc_lo
	v_add_nc_u32_e32 v9, 1, v2
	v_cmp_le_u32_e32 vcc_lo, s17, v3
	v_cndmask_b32_e32 v9, v2, v9, vcc_lo
	v_mad_u64_u32 v[2:3], null, s14, v8, v[0:1]
	v_add_nc_u32_e32 v0, s20, v0
	v_mul_lo_u32 v11, v9, s17
	v_mul_lo_u32 v3, v9, s0
	v_cmp_le_u32_e32 vcc_lo, s16, v0
	v_sub_nc_u32_e32 v8, v8, v11
	v_mad_u64_u32 v[2:3], null, v2, s2, v[3:4]
	s_or_b32 s13, vcc_lo, s13
	v_mul_lo_u32 v8, v8, s1
	v_add3_u32 v2, v2, v8, s19
	s_waitcnt vmcnt(0)
	global_store_byte v2, v10, s[4:5]
	s_andn2_b32 exec_lo, exec_lo, s13
	s_cbranch_execz .LBB114_5
.LBB114_3:                              ; =>This Inner Loop Header: Depth=1
	v_mov_b32_e32 v3, v1
	v_mov_b32_e32 v2, v0
	s_andn2_b32 vcc_lo, exec_lo, s12
	s_cbranch_vccnz .LBB114_2
; %bb.4:                                ;   in Loop: Header=BB114_3 Depth=1
	v_mul_hi_u32 v10, v5, v0
	v_not_b32_e32 v8, v10
	v_mad_u64_u32 v[2:3], null, s15, v10, v[0:1]
	v_add_nc_u32_e32 v3, 1, v10
	v_mad_u64_u32 v[8:9], null, s11, v8, v[0:1]
	v_cmp_le_u32_e32 vcc_lo, s11, v2
	v_cndmask_b32_e32 v3, v10, v3, vcc_lo
	v_cndmask_b32_e32 v2, v2, v8, vcc_lo
	v_add_nc_u32_e32 v8, 1, v3
	v_cmp_le_u32_e32 vcc_lo, s11, v2
	v_cndmask_b32_e32 v8, v3, v8, vcc_lo
	v_mul_hi_u32 v2, v8, v7
	v_mul_lo_u32 v3, v2, s18
	v_add_nc_u32_e32 v9, 1, v2
	v_sub_nc_u32_e32 v3, v8, v3
	v_subrev_nc_u32_e32 v10, s18, v3
	v_cmp_le_u32_e32 vcc_lo, s18, v3
	v_cndmask_b32_e32 v2, v2, v9, vcc_lo
	v_cndmask_b32_e32 v3, v3, v10, vcc_lo
	v_add_nc_u32_e32 v9, 1, v2
	v_cmp_le_u32_e32 vcc_lo, s18, v3
	v_cndmask_b32_e32 v9, v2, v9, vcc_lo
	v_mad_u64_u32 v[2:3], null, s15, v8, v[0:1]
	v_mul_lo_u32 v10, v9, s18
	v_mul_lo_u32 v2, v2, s10
	v_sub_nc_u32_e32 v3, v8, v10
	v_mul_lo_u32 v8, v9, s8
	v_mul_lo_u32 v3, v3, s9
	v_add3_u32 v2, v2, v8, v3
	v_mov_b32_e32 v3, v1
	s_branch .LBB114_2
.LBB114_5:
	s_endpgm
	.section	.rodata,"a",@progbits
	.p2align	6, 0x0
	.amdhsa_kernel _ZN2at6native12_GLOBAL__N_119CatArrayBatchedCopyINS1_10OpaqueTypeILj1EEEjLi3ELi64ELi64EEEvPT_NS1_25CatArrInputTensorMetadataIS5_T0_XT2_EXT3_EEENS1_16TensorSizeStrideIS8_Lj4EEEiS8_
		.amdhsa_group_segment_fixed_size 0
		.amdhsa_private_segment_fixed_size 0
		.amdhsa_kernarg_size 3696
		.amdhsa_user_sgpr_count 6
		.amdhsa_user_sgpr_private_segment_buffer 1
		.amdhsa_user_sgpr_dispatch_ptr 0
		.amdhsa_user_sgpr_queue_ptr 0
		.amdhsa_user_sgpr_kernarg_segment_ptr 1
		.amdhsa_user_sgpr_dispatch_id 0
		.amdhsa_user_sgpr_flat_scratch_init 0
		.amdhsa_user_sgpr_private_segment_size 0
		.amdhsa_wavefront_size32 1
		.amdhsa_uses_dynamic_stack 0
		.amdhsa_system_sgpr_private_segment_wavefront_offset 0
		.amdhsa_system_sgpr_workgroup_id_x 1
		.amdhsa_system_sgpr_workgroup_id_y 1
		.amdhsa_system_sgpr_workgroup_id_z 0
		.amdhsa_system_sgpr_workgroup_info 0
		.amdhsa_system_vgpr_workitem_id 0
		.amdhsa_next_free_vgpr 12
		.amdhsa_next_free_sgpr 28
		.amdhsa_reserve_vcc 1
		.amdhsa_reserve_flat_scratch 0
		.amdhsa_float_round_mode_32 0
		.amdhsa_float_round_mode_16_64 0
		.amdhsa_float_denorm_mode_32 3
		.amdhsa_float_denorm_mode_16_64 3
		.amdhsa_dx10_clamp 1
		.amdhsa_ieee_mode 1
		.amdhsa_fp16_overflow 0
		.amdhsa_workgroup_processor_mode 1
		.amdhsa_memory_ordered 1
		.amdhsa_forward_progress 1
		.amdhsa_shared_vgpr_count 0
		.amdhsa_exception_fp_ieee_invalid_op 0
		.amdhsa_exception_fp_denorm_src 0
		.amdhsa_exception_fp_ieee_div_zero 0
		.amdhsa_exception_fp_ieee_overflow 0
		.amdhsa_exception_fp_ieee_underflow 0
		.amdhsa_exception_fp_ieee_inexact 0
		.amdhsa_exception_int_div_zero 0
	.end_amdhsa_kernel
	.section	.text._ZN2at6native12_GLOBAL__N_119CatArrayBatchedCopyINS1_10OpaqueTypeILj1EEEjLi3ELi64ELi64EEEvPT_NS1_25CatArrInputTensorMetadataIS5_T0_XT2_EXT3_EEENS1_16TensorSizeStrideIS8_Lj4EEEiS8_,"axG",@progbits,_ZN2at6native12_GLOBAL__N_119CatArrayBatchedCopyINS1_10OpaqueTypeILj1EEEjLi3ELi64ELi64EEEvPT_NS1_25CatArrInputTensorMetadataIS5_T0_XT2_EXT3_EEENS1_16TensorSizeStrideIS8_Lj4EEEiS8_,comdat
.Lfunc_end114:
	.size	_ZN2at6native12_GLOBAL__N_119CatArrayBatchedCopyINS1_10OpaqueTypeILj1EEEjLi3ELi64ELi64EEEvPT_NS1_25CatArrInputTensorMetadataIS5_T0_XT2_EXT3_EEENS1_16TensorSizeStrideIS8_Lj4EEEiS8_, .Lfunc_end114-_ZN2at6native12_GLOBAL__N_119CatArrayBatchedCopyINS1_10OpaqueTypeILj1EEEjLi3ELi64ELi64EEEvPT_NS1_25CatArrInputTensorMetadataIS5_T0_XT2_EXT3_EEENS1_16TensorSizeStrideIS8_Lj4EEEiS8_
                                        ; -- End function
	.set _ZN2at6native12_GLOBAL__N_119CatArrayBatchedCopyINS1_10OpaqueTypeILj1EEEjLi3ELi64ELi64EEEvPT_NS1_25CatArrInputTensorMetadataIS5_T0_XT2_EXT3_EEENS1_16TensorSizeStrideIS8_Lj4EEEiS8_.num_vgpr, 12
	.set _ZN2at6native12_GLOBAL__N_119CatArrayBatchedCopyINS1_10OpaqueTypeILj1EEEjLi3ELi64ELi64EEEvPT_NS1_25CatArrInputTensorMetadataIS5_T0_XT2_EXT3_EEENS1_16TensorSizeStrideIS8_Lj4EEEiS8_.num_agpr, 0
	.set _ZN2at6native12_GLOBAL__N_119CatArrayBatchedCopyINS1_10OpaqueTypeILj1EEEjLi3ELi64ELi64EEEvPT_NS1_25CatArrInputTensorMetadataIS5_T0_XT2_EXT3_EEENS1_16TensorSizeStrideIS8_Lj4EEEiS8_.numbered_sgpr, 28
	.set _ZN2at6native12_GLOBAL__N_119CatArrayBatchedCopyINS1_10OpaqueTypeILj1EEEjLi3ELi64ELi64EEEvPT_NS1_25CatArrInputTensorMetadataIS5_T0_XT2_EXT3_EEENS1_16TensorSizeStrideIS8_Lj4EEEiS8_.num_named_barrier, 0
	.set _ZN2at6native12_GLOBAL__N_119CatArrayBatchedCopyINS1_10OpaqueTypeILj1EEEjLi3ELi64ELi64EEEvPT_NS1_25CatArrInputTensorMetadataIS5_T0_XT2_EXT3_EEENS1_16TensorSizeStrideIS8_Lj4EEEiS8_.private_seg_size, 0
	.set _ZN2at6native12_GLOBAL__N_119CatArrayBatchedCopyINS1_10OpaqueTypeILj1EEEjLi3ELi64ELi64EEEvPT_NS1_25CatArrInputTensorMetadataIS5_T0_XT2_EXT3_EEENS1_16TensorSizeStrideIS8_Lj4EEEiS8_.uses_vcc, 1
	.set _ZN2at6native12_GLOBAL__N_119CatArrayBatchedCopyINS1_10OpaqueTypeILj1EEEjLi3ELi64ELi64EEEvPT_NS1_25CatArrInputTensorMetadataIS5_T0_XT2_EXT3_EEENS1_16TensorSizeStrideIS8_Lj4EEEiS8_.uses_flat_scratch, 0
	.set _ZN2at6native12_GLOBAL__N_119CatArrayBatchedCopyINS1_10OpaqueTypeILj1EEEjLi3ELi64ELi64EEEvPT_NS1_25CatArrInputTensorMetadataIS5_T0_XT2_EXT3_EEENS1_16TensorSizeStrideIS8_Lj4EEEiS8_.has_dyn_sized_stack, 0
	.set _ZN2at6native12_GLOBAL__N_119CatArrayBatchedCopyINS1_10OpaqueTypeILj1EEEjLi3ELi64ELi64EEEvPT_NS1_25CatArrInputTensorMetadataIS5_T0_XT2_EXT3_EEENS1_16TensorSizeStrideIS8_Lj4EEEiS8_.has_recursion, 0
	.set _ZN2at6native12_GLOBAL__N_119CatArrayBatchedCopyINS1_10OpaqueTypeILj1EEEjLi3ELi64ELi64EEEvPT_NS1_25CatArrInputTensorMetadataIS5_T0_XT2_EXT3_EEENS1_16TensorSizeStrideIS8_Lj4EEEiS8_.has_indirect_call, 0
	.section	.AMDGPU.csdata,"",@progbits
; Kernel info:
; codeLenInByte = 892
; TotalNumSgprs: 30
; NumVgprs: 12
; ScratchSize: 0
; MemoryBound: 0
; FloatMode: 240
; IeeeMode: 1
; LDSByteSize: 0 bytes/workgroup (compile time only)
; SGPRBlocks: 0
; VGPRBlocks: 1
; NumSGPRsForWavesPerEU: 30
; NumVGPRsForWavesPerEU: 12
; Occupancy: 16
; WaveLimiterHint : 1
; COMPUTE_PGM_RSRC2:SCRATCH_EN: 0
; COMPUTE_PGM_RSRC2:USER_SGPR: 6
; COMPUTE_PGM_RSRC2:TRAP_HANDLER: 0
; COMPUTE_PGM_RSRC2:TGID_X_EN: 1
; COMPUTE_PGM_RSRC2:TGID_Y_EN: 1
; COMPUTE_PGM_RSRC2:TGID_Z_EN: 0
; COMPUTE_PGM_RSRC2:TIDIG_COMP_CNT: 0
	.section	.text._ZN2at6native12_GLOBAL__N_130CatArrayBatchedCopy_vectorizedINS1_10OpaqueTypeILj1EEEjLi4ELi64ELi64ELi16ELi16EEEvPcNS1_25CatArrInputTensorMetadataIT_T0_XT2_EXT3_EEENS1_16TensorSizeStrideIS8_Lj4EEEiS8_,"axG",@progbits,_ZN2at6native12_GLOBAL__N_130CatArrayBatchedCopy_vectorizedINS1_10OpaqueTypeILj1EEEjLi4ELi64ELi64ELi16ELi16EEEvPcNS1_25CatArrInputTensorMetadataIT_T0_XT2_EXT3_EEENS1_16TensorSizeStrideIS8_Lj4EEEiS8_,comdat
	.globl	_ZN2at6native12_GLOBAL__N_130CatArrayBatchedCopy_vectorizedINS1_10OpaqueTypeILj1EEEjLi4ELi64ELi64ELi16ELi16EEEvPcNS1_25CatArrInputTensorMetadataIT_T0_XT2_EXT3_EEENS1_16TensorSizeStrideIS8_Lj4EEEiS8_ ; -- Begin function _ZN2at6native12_GLOBAL__N_130CatArrayBatchedCopy_vectorizedINS1_10OpaqueTypeILj1EEEjLi4ELi64ELi64ELi16ELi16EEEvPcNS1_25CatArrInputTensorMetadataIT_T0_XT2_EXT3_EEENS1_16TensorSizeStrideIS8_Lj4EEEiS8_
	.p2align	8
	.type	_ZN2at6native12_GLOBAL__N_130CatArrayBatchedCopy_vectorizedINS1_10OpaqueTypeILj1EEEjLi4ELi64ELi64ELi16ELi16EEEvPcNS1_25CatArrInputTensorMetadataIT_T0_XT2_EXT3_EEENS1_16TensorSizeStrideIS8_Lj4EEEiS8_,@function
_ZN2at6native12_GLOBAL__N_130CatArrayBatchedCopy_vectorizedINS1_10OpaqueTypeILj1EEEjLi4ELi64ELi64ELi16ELi16EEEvPcNS1_25CatArrInputTensorMetadataIT_T0_XT2_EXT3_EEENS1_16TensorSizeStrideIS8_Lj4EEEiS8_: ; @_ZN2at6native12_GLOBAL__N_130CatArrayBatchedCopy_vectorizedINS1_10OpaqueTypeILj1EEEjLi4ELi64ELi64ELi16ELi16EEEvPcNS1_25CatArrInputTensorMetadataIT_T0_XT2_EXT3_EEENS1_16TensorSizeStrideIS8_Lj4EEEiS8_
; %bb.0:
	s_mov_b32 s0, s7
	s_load_dword s7, s[4:5], 0xd7c
	s_mov_b32 s1, 0
	s_add_u32 s2, s4, 0xd70
	s_addc_u32 s3, s5, 0
	s_lshl_b64 s[8:9], s[0:1], 2
	s_waitcnt lgkmcnt(0)
	s_and_b32 s0, s7, 0xffff
	s_add_u32 s10, s4, s8
	s_addc_u32 s11, s5, s9
	v_mad_u64_u32 v[0:1], null, s6, s0, v[0:1]
	s_load_dword s12, s[10:11], 0x408
	s_add_u32 s6, s10, 8
	s_addc_u32 s7, s11, 0
	s_mov_b32 s11, exec_lo
	s_waitcnt lgkmcnt(0)
	s_lshr_b32 s10, s12, 4
	v_cmpx_gt_u32_e64 s10, v0
	s_cbranch_execz .LBB115_3
; %bb.1:
	s_add_u32 s16, s6, s8
	s_addc_u32 s17, s7, s9
	s_sub_u32 s6, 0, s8
	s_subb_u32 s7, 0, s9
	s_add_u32 s6, s16, s6
	s_addc_u32 s7, s17, s7
	s_clause 0x3
	s_load_dwordx2 s[18:19], s[4:5], 0xd68
	s_load_dword s8, s[6:7], 0x200
	s_load_dword s6, s[6:7], 0x300
	s_load_dwordx4 s[12:15], s[4:5], 0xd4c
	s_waitcnt lgkmcnt(0)
	s_mul_i32 s8, s8, s19
	s_mul_i32 s6, s6, s19
	s_and_b32 s19, s8, -16
	s_lshr_b32 s6, s6, 4
	s_cmp_eq_u32 s18, 3
	s_cselect_b32 s8, s6, s14
	s_cmp_eq_u32 s18, 2
	v_cvt_f32_u32_e32 v1, s8
	s_cselect_b32 s9, s6, s13
	s_cmp_eq_u32 s18, 1
	v_cvt_f32_u32_e32 v2, s9
	s_cselect_b32 s11, s6, s12
	s_load_dwordx2 s[14:15], s[4:5], 0x0
	v_cvt_f32_u32_e32 v3, s11
	v_rcp_iflag_f32_e32 v1, v1
	v_rcp_iflag_f32_e32 v2, v2
	s_load_dword s18, s[2:3], 0x0
	s_load_dwordx4 s[4:7], s[4:5], 0xd58
	v_rcp_iflag_f32_e32 v3, v3
	v_mul_f32_e32 v1, 0x4f7ffffe, v1
	v_mul_f32_e32 v2, 0x4f7ffffe, v2
	v_mul_f32_e32 v3, 0x4f7ffffe, v3
	v_cvt_u32_f32_e32 v1, v1
	v_cvt_u32_f32_e32 v4, v2
	s_waitcnt lgkmcnt(0)
	s_add_u32 s12, s14, s19
	v_cvt_u32_f32_e32 v5, v3
	s_addc_u32 s13, s15, 0
	s_sub_i32 s14, 0, s8
	s_sub_i32 s2, 0, s9
	s_sub_i32 s3, 0, s11
	v_mul_lo_u32 v2, s14, v1
	v_mul_lo_u32 v3, s2, v4
	;; [unrolled: 1-line block ×3, first 2 shown]
	s_load_dwordx2 s[2:3], s[16:17], 0x0
	s_mul_i32 s15, s18, s0
	v_mul_hi_u32 v2, v1, v2
	v_mul_hi_u32 v3, v4, v3
	;; [unrolled: 1-line block ×3, first 2 shown]
	v_add_nc_u32_e32 v2, v1, v2
	v_mov_b32_e32 v1, 0
	v_add_nc_u32_e32 v3, v4, v3
	v_add_nc_u32_e32 v4, v5, v6
.LBB115_2:                              ; =>This Inner Loop Header: Depth=1
	v_lshlrev_b64 v[5:6], 4, v[0:1]
	v_mul_hi_u32 v11, v2, v0
	s_waitcnt lgkmcnt(0)
	v_add_co_u32 v5, vcc_lo, s2, v5
	v_add_co_ci_u32_e64 v6, null, s3, v6, vcc_lo
	v_mul_lo_u32 v12, s8, v11
	v_not_b32_e32 v9, v11
	v_add_nc_u32_e32 v13, 1, v11
	global_load_dwordx4 v[5:8], v[5:6], off
	v_mad_u64_u32 v[9:10], null, s8, v9, v[0:1]
	v_sub_nc_u32_e32 v10, v0, v12
	v_cmp_le_u32_e32 vcc_lo, s8, v10
	v_cndmask_b32_e32 v11, v11, v13, vcc_lo
	v_cndmask_b32_e32 v9, v10, v9, vcc_lo
	v_add_nc_u32_e32 v10, 1, v11
	v_cmp_le_u32_e32 vcc_lo, s8, v9
	v_cndmask_b32_e32 v11, v11, v10, vcc_lo
	v_mul_hi_u32 v12, v11, v3
	v_mad_u64_u32 v[9:10], null, s14, v11, v[0:1]
	v_add_nc_u32_e32 v0, s15, v0
	v_mul_lo_u32 v10, v12, s9
	v_add_nc_u32_e32 v13, 1, v12
	v_mul_lo_u32 v9, v9, s7
	v_sub_nc_u32_e32 v10, v11, v10
	v_subrev_nc_u32_e32 v14, s9, v10
	v_cmp_le_u32_e32 vcc_lo, s9, v10
	v_cndmask_b32_e32 v12, v12, v13, vcc_lo
	v_cndmask_b32_e32 v10, v10, v14, vcc_lo
	v_add_nc_u32_e32 v13, 1, v12
	v_cmp_le_u32_e32 vcc_lo, s9, v10
	v_cndmask_b32_e32 v10, v12, v13, vcc_lo
	v_mul_hi_u32 v12, v10, v4
	v_mul_lo_u32 v13, v12, s11
	v_add_nc_u32_e32 v14, 1, v12
	v_sub_nc_u32_e32 v13, v10, v13
	v_subrev_nc_u32_e32 v15, s11, v13
	v_cmp_le_u32_e32 vcc_lo, s11, v13
	v_cndmask_b32_e32 v12, v12, v14, vcc_lo
	v_cndmask_b32_e32 v13, v13, v15, vcc_lo
	v_add_nc_u32_e32 v14, 1, v12
	v_cmp_le_u32_e32 vcc_lo, s11, v13
	v_mul_lo_u32 v13, v10, s9
	v_cndmask_b32_e32 v12, v12, v14, vcc_lo
	v_cmp_le_u32_e32 vcc_lo, s10, v0
	v_sub_nc_u32_e32 v11, v11, v13
	v_mul_lo_u32 v14, v12, s11
	s_or_b32 s1, vcc_lo, s1
	v_mul_lo_u32 v11, v11, s6
	v_sub_nc_u32_e32 v13, v10, v14
	v_mad_u64_u32 v[9:10], null, v12, s4, v[9:10]
	v_mov_b32_e32 v10, v1
	v_mul_lo_u32 v12, v13, s5
	v_add3_u32 v9, v9, v11, v12
	v_lshlrev_b64 v[9:10], 4, v[9:10]
	v_add_co_u32 v9, s0, s12, v9
	v_add_co_ci_u32_e64 v10, null, s13, v10, s0
	s_waitcnt vmcnt(0)
	global_store_dwordx4 v[9:10], v[5:8], off
	s_andn2_b32 exec_lo, exec_lo, s1
	s_cbranch_execnz .LBB115_2
.LBB115_3:
	s_endpgm
	.section	.rodata,"a",@progbits
	.p2align	6, 0x0
	.amdhsa_kernel _ZN2at6native12_GLOBAL__N_130CatArrayBatchedCopy_vectorizedINS1_10OpaqueTypeILj1EEEjLi4ELi64ELi64ELi16ELi16EEEvPcNS1_25CatArrInputTensorMetadataIT_T0_XT2_EXT3_EEENS1_16TensorSizeStrideIS8_Lj4EEEiS8_
		.amdhsa_group_segment_fixed_size 0
		.amdhsa_private_segment_fixed_size 0
		.amdhsa_kernarg_size 3696
		.amdhsa_user_sgpr_count 6
		.amdhsa_user_sgpr_private_segment_buffer 1
		.amdhsa_user_sgpr_dispatch_ptr 0
		.amdhsa_user_sgpr_queue_ptr 0
		.amdhsa_user_sgpr_kernarg_segment_ptr 1
		.amdhsa_user_sgpr_dispatch_id 0
		.amdhsa_user_sgpr_flat_scratch_init 0
		.amdhsa_user_sgpr_private_segment_size 0
		.amdhsa_wavefront_size32 1
		.amdhsa_uses_dynamic_stack 0
		.amdhsa_system_sgpr_private_segment_wavefront_offset 0
		.amdhsa_system_sgpr_workgroup_id_x 1
		.amdhsa_system_sgpr_workgroup_id_y 1
		.amdhsa_system_sgpr_workgroup_id_z 0
		.amdhsa_system_sgpr_workgroup_info 0
		.amdhsa_system_vgpr_workitem_id 0
		.amdhsa_next_free_vgpr 16
		.amdhsa_next_free_sgpr 20
		.amdhsa_reserve_vcc 1
		.amdhsa_reserve_flat_scratch 0
		.amdhsa_float_round_mode_32 0
		.amdhsa_float_round_mode_16_64 0
		.amdhsa_float_denorm_mode_32 3
		.amdhsa_float_denorm_mode_16_64 3
		.amdhsa_dx10_clamp 1
		.amdhsa_ieee_mode 1
		.amdhsa_fp16_overflow 0
		.amdhsa_workgroup_processor_mode 1
		.amdhsa_memory_ordered 1
		.amdhsa_forward_progress 1
		.amdhsa_shared_vgpr_count 0
		.amdhsa_exception_fp_ieee_invalid_op 0
		.amdhsa_exception_fp_denorm_src 0
		.amdhsa_exception_fp_ieee_div_zero 0
		.amdhsa_exception_fp_ieee_overflow 0
		.amdhsa_exception_fp_ieee_underflow 0
		.amdhsa_exception_fp_ieee_inexact 0
		.amdhsa_exception_int_div_zero 0
	.end_amdhsa_kernel
	.section	.text._ZN2at6native12_GLOBAL__N_130CatArrayBatchedCopy_vectorizedINS1_10OpaqueTypeILj1EEEjLi4ELi64ELi64ELi16ELi16EEEvPcNS1_25CatArrInputTensorMetadataIT_T0_XT2_EXT3_EEENS1_16TensorSizeStrideIS8_Lj4EEEiS8_,"axG",@progbits,_ZN2at6native12_GLOBAL__N_130CatArrayBatchedCopy_vectorizedINS1_10OpaqueTypeILj1EEEjLi4ELi64ELi64ELi16ELi16EEEvPcNS1_25CatArrInputTensorMetadataIT_T0_XT2_EXT3_EEENS1_16TensorSizeStrideIS8_Lj4EEEiS8_,comdat
.Lfunc_end115:
	.size	_ZN2at6native12_GLOBAL__N_130CatArrayBatchedCopy_vectorizedINS1_10OpaqueTypeILj1EEEjLi4ELi64ELi64ELi16ELi16EEEvPcNS1_25CatArrInputTensorMetadataIT_T0_XT2_EXT3_EEENS1_16TensorSizeStrideIS8_Lj4EEEiS8_, .Lfunc_end115-_ZN2at6native12_GLOBAL__N_130CatArrayBatchedCopy_vectorizedINS1_10OpaqueTypeILj1EEEjLi4ELi64ELi64ELi16ELi16EEEvPcNS1_25CatArrInputTensorMetadataIT_T0_XT2_EXT3_EEENS1_16TensorSizeStrideIS8_Lj4EEEiS8_
                                        ; -- End function
	.set _ZN2at6native12_GLOBAL__N_130CatArrayBatchedCopy_vectorizedINS1_10OpaqueTypeILj1EEEjLi4ELi64ELi64ELi16ELi16EEEvPcNS1_25CatArrInputTensorMetadataIT_T0_XT2_EXT3_EEENS1_16TensorSizeStrideIS8_Lj4EEEiS8_.num_vgpr, 16
	.set _ZN2at6native12_GLOBAL__N_130CatArrayBatchedCopy_vectorizedINS1_10OpaqueTypeILj1EEEjLi4ELi64ELi64ELi16ELi16EEEvPcNS1_25CatArrInputTensorMetadataIT_T0_XT2_EXT3_EEENS1_16TensorSizeStrideIS8_Lj4EEEiS8_.num_agpr, 0
	.set _ZN2at6native12_GLOBAL__N_130CatArrayBatchedCopy_vectorizedINS1_10OpaqueTypeILj1EEEjLi4ELi64ELi64ELi16ELi16EEEvPcNS1_25CatArrInputTensorMetadataIT_T0_XT2_EXT3_EEENS1_16TensorSizeStrideIS8_Lj4EEEiS8_.numbered_sgpr, 20
	.set _ZN2at6native12_GLOBAL__N_130CatArrayBatchedCopy_vectorizedINS1_10OpaqueTypeILj1EEEjLi4ELi64ELi64ELi16ELi16EEEvPcNS1_25CatArrInputTensorMetadataIT_T0_XT2_EXT3_EEENS1_16TensorSizeStrideIS8_Lj4EEEiS8_.num_named_barrier, 0
	.set _ZN2at6native12_GLOBAL__N_130CatArrayBatchedCopy_vectorizedINS1_10OpaqueTypeILj1EEEjLi4ELi64ELi64ELi16ELi16EEEvPcNS1_25CatArrInputTensorMetadataIT_T0_XT2_EXT3_EEENS1_16TensorSizeStrideIS8_Lj4EEEiS8_.private_seg_size, 0
	.set _ZN2at6native12_GLOBAL__N_130CatArrayBatchedCopy_vectorizedINS1_10OpaqueTypeILj1EEEjLi4ELi64ELi64ELi16ELi16EEEvPcNS1_25CatArrInputTensorMetadataIT_T0_XT2_EXT3_EEENS1_16TensorSizeStrideIS8_Lj4EEEiS8_.uses_vcc, 1
	.set _ZN2at6native12_GLOBAL__N_130CatArrayBatchedCopy_vectorizedINS1_10OpaqueTypeILj1EEEjLi4ELi64ELi64ELi16ELi16EEEvPcNS1_25CatArrInputTensorMetadataIT_T0_XT2_EXT3_EEENS1_16TensorSizeStrideIS8_Lj4EEEiS8_.uses_flat_scratch, 0
	.set _ZN2at6native12_GLOBAL__N_130CatArrayBatchedCopy_vectorizedINS1_10OpaqueTypeILj1EEEjLi4ELi64ELi64ELi16ELi16EEEvPcNS1_25CatArrInputTensorMetadataIT_T0_XT2_EXT3_EEENS1_16TensorSizeStrideIS8_Lj4EEEiS8_.has_dyn_sized_stack, 0
	.set _ZN2at6native12_GLOBAL__N_130CatArrayBatchedCopy_vectorizedINS1_10OpaqueTypeILj1EEEjLi4ELi64ELi64ELi16ELi16EEEvPcNS1_25CatArrInputTensorMetadataIT_T0_XT2_EXT3_EEENS1_16TensorSizeStrideIS8_Lj4EEEiS8_.has_recursion, 0
	.set _ZN2at6native12_GLOBAL__N_130CatArrayBatchedCopy_vectorizedINS1_10OpaqueTypeILj1EEEjLi4ELi64ELi64ELi16ELi16EEEvPcNS1_25CatArrInputTensorMetadataIT_T0_XT2_EXT3_EEENS1_16TensorSizeStrideIS8_Lj4EEEiS8_.has_indirect_call, 0
	.section	.AMDGPU.csdata,"",@progbits
; Kernel info:
; codeLenInByte = 724
; TotalNumSgprs: 22
; NumVgprs: 16
; ScratchSize: 0
; MemoryBound: 0
; FloatMode: 240
; IeeeMode: 1
; LDSByteSize: 0 bytes/workgroup (compile time only)
; SGPRBlocks: 0
; VGPRBlocks: 1
; NumSGPRsForWavesPerEU: 22
; NumVGPRsForWavesPerEU: 16
; Occupancy: 16
; WaveLimiterHint : 1
; COMPUTE_PGM_RSRC2:SCRATCH_EN: 0
; COMPUTE_PGM_RSRC2:USER_SGPR: 6
; COMPUTE_PGM_RSRC2:TRAP_HANDLER: 0
; COMPUTE_PGM_RSRC2:TGID_X_EN: 1
; COMPUTE_PGM_RSRC2:TGID_Y_EN: 1
; COMPUTE_PGM_RSRC2:TGID_Z_EN: 0
; COMPUTE_PGM_RSRC2:TIDIG_COMP_CNT: 0
	.section	.text._ZN2at6native12_GLOBAL__N_135CatArrayBatchedCopy_alignedK_contigINS1_10OpaqueTypeILj1EEEjLi4ELi64ELi64ELi16EEEvPT_NS1_25CatArrInputTensorMetadataIS5_T0_XT2_EXT3_EEENS1_16TensorSizeStrideIS8_Lj4EEEiS8_,"axG",@progbits,_ZN2at6native12_GLOBAL__N_135CatArrayBatchedCopy_alignedK_contigINS1_10OpaqueTypeILj1EEEjLi4ELi64ELi64ELi16EEEvPT_NS1_25CatArrInputTensorMetadataIS5_T0_XT2_EXT3_EEENS1_16TensorSizeStrideIS8_Lj4EEEiS8_,comdat
	.globl	_ZN2at6native12_GLOBAL__N_135CatArrayBatchedCopy_alignedK_contigINS1_10OpaqueTypeILj1EEEjLi4ELi64ELi64ELi16EEEvPT_NS1_25CatArrInputTensorMetadataIS5_T0_XT2_EXT3_EEENS1_16TensorSizeStrideIS8_Lj4EEEiS8_ ; -- Begin function _ZN2at6native12_GLOBAL__N_135CatArrayBatchedCopy_alignedK_contigINS1_10OpaqueTypeILj1EEEjLi4ELi64ELi64ELi16EEEvPT_NS1_25CatArrInputTensorMetadataIS5_T0_XT2_EXT3_EEENS1_16TensorSizeStrideIS8_Lj4EEEiS8_
	.p2align	8
	.type	_ZN2at6native12_GLOBAL__N_135CatArrayBatchedCopy_alignedK_contigINS1_10OpaqueTypeILj1EEEjLi4ELi64ELi64ELi16EEEvPT_NS1_25CatArrInputTensorMetadataIS5_T0_XT2_EXT3_EEENS1_16TensorSizeStrideIS8_Lj4EEEiS8_,@function
_ZN2at6native12_GLOBAL__N_135CatArrayBatchedCopy_alignedK_contigINS1_10OpaqueTypeILj1EEEjLi4ELi64ELi64ELi16EEEvPT_NS1_25CatArrInputTensorMetadataIS5_T0_XT2_EXT3_EEENS1_16TensorSizeStrideIS8_Lj4EEEiS8_: ; @_ZN2at6native12_GLOBAL__N_135CatArrayBatchedCopy_alignedK_contigINS1_10OpaqueTypeILj1EEEjLi4ELi64ELi64ELi16EEEvPT_NS1_25CatArrInputTensorMetadataIS5_T0_XT2_EXT3_EEENS1_16TensorSizeStrideIS8_Lj4EEEiS8_
; %bb.0:
	s_mov_b32 s2, s7
	s_load_dword s7, s[4:5], 0xd7c
	s_mov_b32 s3, 0
	s_add_u32 s0, s4, 0xd70
	s_addc_u32 s1, s5, 0
	s_lshl_b64 s[16:17], s[2:3], 2
	s_waitcnt lgkmcnt(0)
	s_and_b32 s7, s7, 0xffff
	s_add_u32 s2, s4, s16
	s_addc_u32 s3, s5, s17
	s_mul_i32 s6, s6, s7
	s_load_dword s18, s[2:3], 0x408
	v_add_lshl_u32 v16, s6, v0, 4
	s_add_u32 s6, s2, 8
	s_addc_u32 s19, s3, 0
	s_mov_b32 s2, exec_lo
	s_waitcnt lgkmcnt(0)
	v_cmpx_gt_u32_e64 s18, v16
	s_cbranch_execz .LBB116_10
; %bb.1:
	s_add_u32 s20, s6, s16
	s_addc_u32 s21, s19, s17
	s_sub_u32 s6, 0, s16
	s_subb_u32 s17, 0, s17
	s_add_u32 s16, s20, s6
	s_addc_u32 s17, s21, s17
	s_clause 0x5
	s_load_dwordx2 s[2:3], s[4:5], 0x0
	s_load_dwordx8 s[8:15], s[4:5], 0xd4c
	s_load_dword s6, s[4:5], 0xd6c
	s_load_dword s19, s[16:17], 0x200
	s_load_dwordx2 s[4:5], s[20:21], 0x0
	s_load_dword s17, s[16:17], 0x300
	v_add_nc_u32_e32 v0, 16, v16
	s_waitcnt lgkmcnt(0)
	s_mul_i32 s16, s19, s6
	s_mov_b32 s19, exec_lo
	v_cmpx_ge_u32_e64 s18, v0
	s_cbranch_execz .LBB116_7
; %bb.2:
	s_load_dword s0, s[0:1], 0x0
	v_mov_b32_e32 v17, 0
	v_add_nc_u32_e32 v18, 1, v16
	s_mov_b32 s24, 0
	v_mov_b32_e32 v3, v17
	v_mov_b32_e32 v8, v17
	;; [unrolled: 1-line block ×5, first 2 shown]
	s_waitcnt lgkmcnt(0)
	s_mul_i32 s0, s0, s7
	s_lshl_b32 s1, s0, 4
	s_cmp_eq_u32 s15, 3
	s_cselect_b32 s20, s17, s10
	s_cmp_eq_u32 s15, 2
	v_cvt_f32_u32_e32 v0, s20
	s_cselect_b32 s21, s17, s9
	s_cmp_eq_u32 s15, 1
	v_cvt_f32_u32_e32 v1, s21
	s_cselect_b32 s22, s17, s8
	v_rcp_iflag_f32_e32 v4, v0
	v_cvt_f32_u32_e32 v2, s22
	s_sub_i32 s23, 0, s20
	v_rcp_iflag_f32_e32 v5, v1
	s_sub_i32 s0, 0, s21
	s_sub_i32 s6, 0, s22
	v_rcp_iflag_f32_e32 v6, v2
	v_mov_b32_e32 v0, v17
	v_mov_b32_e32 v1, v17
	;; [unrolled: 1-line block ×3, first 2 shown]
	v_mul_f32_e32 v7, 0x4f7ffffe, v4
	v_mov_b32_e32 v4, v17
	v_mul_f32_e32 v5, 0x4f7ffffe, v5
	v_cvt_u32_f32_e32 v15, v7
	v_mul_f32_e32 v6, 0x4f7ffffe, v6
	v_mov_b32_e32 v7, v17
	v_cvt_u32_f32_e32 v20, v5
	v_mov_b32_e32 v5, v17
	v_mul_lo_u32 v10, s23, v15
	v_cvt_u32_f32_e32 v21, v6
	v_mov_b32_e32 v6, v17
	v_mul_lo_u32 v11, s0, v20
	v_mul_lo_u32 v12, s6, v21
	v_mul_hi_u32 v19, v15, v10
	v_mov_b32_e32 v10, v17
	v_mul_hi_u32 v22, v20, v11
	v_mov_b32_e32 v11, v17
	;; [unrolled: 2-line block ×3, first 2 shown]
	v_add_nc_u32_e32 v19, v15, v19
	v_mov_b32_e32 v15, v17
	v_add_nc_u32_e32 v20, v20, v22
	v_add_nc_u32_e32 v21, v21, v23
.LBB116_3:                              ; =>This Loop Header: Depth=1
                                        ;     Child Loop BB116_4 Depth 2
	v_mov_b32_e32 v22, v16
	v_mov_b32_e32 v23, v18
	s_mov_b64 s[6:7], 0
.LBB116_4:                              ;   Parent Loop BB116_3 Depth=1
                                        ; =>  This Inner Loop Header: Depth=2
	v_mul_hi_u32 v25, v19, v22
	v_mul_hi_u32 v27, v19, v23
	v_add_nc_u32_e32 v24, s6, v16
	s_mov_b32 m0, s6
	v_add_nc_u32_e32 v23, 2, v23
	v_add_nc_u32_e32 v22, 2, v22
	v_mul_hi_u32 v28, v24, v19
	v_not_b32_e32 v31, v25
	v_mad_u64_u32 v[25:26], null, s23, v25, v[24:25]
	v_mul_lo_u32 v30, s20, v27
	v_add_nc_u32_e32 v29, 1, v24
	v_not_b32_e32 v32, v27
	v_add_nc_u32_e32 v33, 1, v28
	v_mad_u64_u32 v[26:27], null, s20, v31, v[24:25]
	v_sub_nc_u32_e32 v30, v18, v30
	v_cmp_le_u32_e32 vcc_lo, s20, v25
	v_mul_hi_u32 v29, v29, v19
	v_mul_lo_u32 v27, s20, v32
	v_add_nc_u32_e32 v30, s6, v30
	v_cndmask_b32_e32 v28, v28, v33, vcc_lo
	v_cndmask_b32_e32 v25, v25, v26, vcc_lo
	v_add_nc_u32_e32 v31, 1, v29
	v_add3_u32 v26, v18, v27, s6
	v_add_nc_u32_e32 v27, 1, v28
	v_cmp_le_u32_e32 vcc_lo, s20, v30
	v_cmp_le_u32_e64 s0, s20, v25
	v_cndmask_b32_e32 v29, v29, v31, vcc_lo
	v_cndmask_b32_e64 v28, v28, v27, s0
	v_cndmask_b32_e32 v27, v30, v26, vcc_lo
	v_add_nc_u32_e32 v30, 1, v29
	v_mul_hi_u32 v31, v28, v20
	v_cmp_le_u32_e32 vcc_lo, s20, v27
	v_mad_u64_u32 v[25:26], null, s23, v28, v[24:25]
	v_cndmask_b32_e32 v29, v29, v30, vcc_lo
	v_mul_lo_u32 v30, v31, s21
	v_mul_hi_u32 v32, v29, v20
	v_mad_u64_u32 v[26:27], null, s23, v29, v[24:25]
	v_mul_lo_u32 v24, v25, s14
	v_add_nc_u32_e32 v27, 1, v31
	v_sub_nc_u32_e32 v25, v28, v30
	v_mul_lo_u32 v30, v32, s21
	v_add_nc_u32_e32 v33, 1, v32
	v_subrev_nc_u32_e32 v34, s21, v25
	v_cmp_le_u32_e32 vcc_lo, s21, v25
	v_mul_lo_u32 v26, s14, v26
	v_sub_nc_u32_e32 v30, v29, v30
	v_cndmask_b32_e32 v27, v31, v27, vcc_lo
	v_cndmask_b32_e32 v25, v25, v34, vcc_lo
	v_cmp_le_u32_e32 vcc_lo, s21, v30
	v_add_nc_u32_e32 v31, 1, v27
	v_cmp_le_u32_e64 s0, s21, v25
	v_cndmask_b32_e32 v32, v32, v33, vcc_lo
	v_subrev_nc_u32_e32 v33, s21, v30
	v_cndmask_b32_e64 v25, v27, v31, s0
	v_cndmask_b32_e32 v27, v30, v33, vcc_lo
	v_add_nc_u32_e32 v30, 1, v32
	v_mul_hi_u32 v31, v25, v21
	v_mul_lo_u32 v33, v25, s21
	v_cmp_le_u32_e32 vcc_lo, s21, v27
	v_cndmask_b32_e32 v27, v32, v30, vcc_lo
	v_mul_lo_u32 v30, v31, s22
	v_add_nc_u32_e32 v34, 1, v31
	v_sub_nc_u32_e32 v28, v28, v33
	v_mul_hi_u32 v32, v27, v21
	v_mul_lo_u32 v35, v27, s21
	v_mul_lo_u32 v28, v28, s13
	v_sub_nc_u32_e32 v30, v25, v30
	v_mul_lo_u32 v36, v32, s22
	v_subrev_nc_u32_e32 v38, s22, v30
	v_cmp_le_u32_e32 vcc_lo, s22, v30
	v_add_nc_u32_e32 v37, 1, v32
	v_sub_nc_u32_e32 v29, v29, v35
	v_cndmask_b32_e32 v31, v31, v34, vcc_lo
	v_sub_nc_u32_e32 v34, v27, v36
	v_cndmask_b32_e32 v30, v30, v38, vcc_lo
	v_mul_lo_u32 v29, v29, s13
	v_add_nc_u32_e32 v36, 1, v31
	v_subrev_nc_u32_e32 v38, s22, v34
	v_cmp_le_u32_e32 vcc_lo, s22, v34
	v_cmp_le_u32_e64 s0, s22, v30
	v_cndmask_b32_e32 v32, v32, v37, vcc_lo
	v_cndmask_b32_e64 v30, v31, v36, s0
	v_cndmask_b32_e32 v31, v34, v38, vcc_lo
	v_add_nc_u32_e32 v34, 1, v32
	v_mul_lo_u32 v36, v30, s22
	v_cmp_le_u32_e32 vcc_lo, s22, v31
	v_cndmask_b32_e32 v31, v32, v34, vcc_lo
	v_sub_nc_u32_e32 v33, v25, v36
	v_mad_u64_u32 v[24:25], null, v30, s11, v[24:25]
	v_mul_lo_u32 v32, v31, s22
	v_mul_lo_u32 v25, v31, s11
	;; [unrolled: 1-line block ×3, first 2 shown]
	v_sub_nc_u32_e32 v27, v27, v32
	v_add3_u32 v25, v26, s14, v25
	v_add3_u32 v24, v24, v28, v30
	v_mul_lo_u32 v27, v27, s12
	v_movreld_b32_e32 v0, v24
	s_add_i32 m0, s6, 1
	s_add_u32 s6, s6, 2
	s_addc_u32 s7, s7, 0
	s_cmp_eq_u32 s6, 16
	v_add3_u32 v24, v25, v29, v27
	v_movreld_b32_e32 v0, v24
	s_cbranch_scc0 .LBB116_4
; %bb.5:                                ;   in Loop: Header=BB116_3 Depth=1
	global_load_dwordx4 v[22:25], v16, s[4:5]
	v_add_co_u32 v16, vcc_lo, v16, s1
	v_add_co_ci_u32_e64 v17, null, 0, v17, vcc_lo
	v_add_nc_u32_e32 v26, s16, v0
	v_add_nc_u32_e32 v35, 16, v16
	;; [unrolled: 1-line block ×6, first 2 shown]
	v_cmp_lt_u32_e32 vcc_lo, s18, v35
	v_add_nc_u32_e32 v30, s16, v4
	v_add_nc_u32_e32 v31, s16, v5
	;; [unrolled: 1-line block ×4, first 2 shown]
	s_or_b32 s24, vcc_lo, s24
	v_add_nc_u32_e32 v34, s16, v8
	v_add_nc_u32_e32 v36, s16, v9
	;; [unrolled: 1-line block ×8, first 2 shown]
	s_waitcnt vmcnt(0)
	v_lshrrev_b32_e32 v42, 8, v22
	v_lshrrev_b32_e32 v43, 24, v22
	;; [unrolled: 1-line block ×8, first 2 shown]
	global_store_byte v26, v22, s[2:3]
	global_store_byte v27, v42, s[2:3]
	global_store_byte_d16_hi v28, v22, s[2:3]
	global_store_byte v29, v43, s[2:3]
	global_store_byte v30, v23, s[2:3]
	global_store_byte v31, v44, s[2:3]
	global_store_byte_d16_hi v32, v23, s[2:3]
	global_store_byte v33, v45, s[2:3]
	;; [unrolled: 4-line block ×4, first 2 shown]
	s_andn2_b32 exec_lo, exec_lo, s24
	s_cbranch_execnz .LBB116_3
; %bb.6:
	s_or_b32 exec_lo, exec_lo, s24
.LBB116_7:
	s_or_b32 exec_lo, exec_lo, s19
	v_cmp_gt_u32_e32 vcc_lo, s18, v16
	s_and_b32 exec_lo, exec_lo, vcc_lo
	s_cbranch_execz .LBB116_10
; %bb.8:
	s_cmp_eq_u32 s15, 3
	v_mov_b32_e32 v17, 0
	s_cselect_b32 s1, s17, s10
	s_cmp_eq_u32 s15, 2
	v_cvt_f32_u32_e32 v0, s1
	s_cselect_b32 s6, s17, s9
	s_cmp_eq_u32 s15, 1
	v_cvt_f32_u32_e32 v1, s6
	s_cselect_b32 s7, s17, s8
	v_rcp_iflag_f32_e32 v0, v0
	v_cvt_f32_u32_e32 v2, s7
	s_sub_i32 s8, 0, s1
	v_rcp_iflag_f32_e32 v1, v1
	s_sub_i32 s0, 0, s6
	s_sub_i32 s9, 0, s7
	v_rcp_iflag_f32_e32 v2, v2
	v_mul_f32_e32 v0, 0x4f7ffffe, v0
	v_mul_f32_e32 v1, 0x4f7ffffe, v1
	v_cvt_u32_f32_e32 v0, v0
	v_mul_f32_e32 v2, 0x4f7ffffe, v2
	v_cvt_u32_f32_e32 v4, v1
	v_mul_lo_u32 v3, s8, v0
	v_cvt_u32_f32_e32 v5, v2
	v_mul_lo_u32 v1, s0, v4
	v_mul_hi_u32 v2, v0, v3
	v_mul_lo_u32 v3, s9, v5
	s_mov_b32 s9, 0
	v_mul_hi_u32 v6, v4, v1
	v_add_nc_u32_e32 v2, v0, v2
	v_mul_hi_u32 v7, v5, v3
	v_add_nc_u32_e32 v3, v4, v6
	v_mad_u64_u32 v[0:1], null, v16, v2, 0
	v_add_nc_u32_e32 v4, v5, v7
.LBB116_9:                              ; =>This Inner Loop Header: Depth=1
	v_add_co_u32 v5, vcc_lo, s4, v16
	v_add_co_ci_u32_e64 v6, null, s5, v17, vcc_lo
	v_mul_lo_u32 v8, s1, v1
	v_add_nc_u32_e32 v9, 1, v1
	global_load_ubyte v7, v[5:6], off
	v_not_b32_e32 v5, v1
	v_mad_u64_u32 v[5:6], null, s1, v5, v[16:17]
	v_sub_nc_u32_e32 v6, v16, v8
	v_cmp_le_u32_e32 vcc_lo, s1, v6
	v_cndmask_b32_e32 v8, v1, v9, vcc_lo
	v_cndmask_b32_e32 v5, v6, v5, vcc_lo
	v_add_nc_u32_e32 v6, 1, v8
	v_cmp_le_u32_e32 vcc_lo, s1, v5
	v_cndmask_b32_e32 v8, v8, v6, vcc_lo
	v_mul_hi_u32 v5, v8, v3
	v_mul_lo_u32 v6, v5, s6
	v_add_nc_u32_e32 v9, 1, v5
	v_sub_nc_u32_e32 v6, v8, v6
	v_subrev_nc_u32_e32 v10, s6, v6
	v_cmp_le_u32_e32 vcc_lo, s6, v6
	v_cndmask_b32_e32 v5, v5, v9, vcc_lo
	v_cndmask_b32_e32 v6, v6, v10, vcc_lo
	v_add_nc_u32_e32 v9, 1, v5
	v_cmp_le_u32_e32 vcc_lo, s6, v6
	v_cndmask_b32_e32 v9, v5, v9, vcc_lo
	v_mul_hi_u32 v5, v9, v4
	v_mul_lo_u32 v6, v5, s7
	v_add_nc_u32_e32 v10, 1, v5
	v_sub_nc_u32_e32 v6, v9, v6
	v_subrev_nc_u32_e32 v11, s7, v6
	v_cmp_le_u32_e32 vcc_lo, s7, v6
	v_cndmask_b32_e32 v5, v5, v10, vcc_lo
	v_cndmask_b32_e32 v6, v6, v11, vcc_lo
	v_mul_lo_u32 v11, v9, s6
	v_add_nc_u32_e32 v10, 1, v5
	v_cmp_le_u32_e32 vcc_lo, s7, v6
	v_cndmask_b32_e32 v10, v5, v10, vcc_lo
	v_mad_u64_u32 v[5:6], null, s8, v8, v[16:17]
	v_sub_nc_u32_e32 v8, v8, v11
	v_add_co_u32 v16, s0, v16, 1
	v_mul_lo_u32 v6, v10, s7
	v_mul_lo_u32 v10, v10, s11
	;; [unrolled: 1-line block ×4, first 2 shown]
	v_add_co_u32 v0, vcc_lo, v0, v2
	v_add_co_ci_u32_e64 v17, null, 0, v17, s0
	v_sub_nc_u32_e32 v6, v9, v6
	v_cmp_le_u32_e64 s0, s18, v16
	v_add_co_ci_u32_e64 v1, null, 0, v1, vcc_lo
	v_add3_u32 v5, v10, v5, v8
	v_mul_lo_u32 v6, v6, s12
	s_or_b32 s9, s0, s9
	v_add3_u32 v5, v5, v6, s16
	s_waitcnt vmcnt(0)
	global_store_byte v5, v7, s[2:3]
	s_andn2_b32 exec_lo, exec_lo, s9
	s_cbranch_execnz .LBB116_9
.LBB116_10:
	s_endpgm
	.section	.rodata,"a",@progbits
	.p2align	6, 0x0
	.amdhsa_kernel _ZN2at6native12_GLOBAL__N_135CatArrayBatchedCopy_alignedK_contigINS1_10OpaqueTypeILj1EEEjLi4ELi64ELi64ELi16EEEvPT_NS1_25CatArrInputTensorMetadataIS5_T0_XT2_EXT3_EEENS1_16TensorSizeStrideIS8_Lj4EEEiS8_
		.amdhsa_group_segment_fixed_size 0
		.amdhsa_private_segment_fixed_size 0
		.amdhsa_kernarg_size 3696
		.amdhsa_user_sgpr_count 6
		.amdhsa_user_sgpr_private_segment_buffer 1
		.amdhsa_user_sgpr_dispatch_ptr 0
		.amdhsa_user_sgpr_queue_ptr 0
		.amdhsa_user_sgpr_kernarg_segment_ptr 1
		.amdhsa_user_sgpr_dispatch_id 0
		.amdhsa_user_sgpr_flat_scratch_init 0
		.amdhsa_user_sgpr_private_segment_size 0
		.amdhsa_wavefront_size32 1
		.amdhsa_uses_dynamic_stack 0
		.amdhsa_system_sgpr_private_segment_wavefront_offset 0
		.amdhsa_system_sgpr_workgroup_id_x 1
		.amdhsa_system_sgpr_workgroup_id_y 1
		.amdhsa_system_sgpr_workgroup_id_z 0
		.amdhsa_system_sgpr_workgroup_info 0
		.amdhsa_system_vgpr_workitem_id 0
		.amdhsa_next_free_vgpr 50
		.amdhsa_next_free_sgpr 25
		.amdhsa_reserve_vcc 1
		.amdhsa_reserve_flat_scratch 0
		.amdhsa_float_round_mode_32 0
		.amdhsa_float_round_mode_16_64 0
		.amdhsa_float_denorm_mode_32 3
		.amdhsa_float_denorm_mode_16_64 3
		.amdhsa_dx10_clamp 1
		.amdhsa_ieee_mode 1
		.amdhsa_fp16_overflow 0
		.amdhsa_workgroup_processor_mode 1
		.amdhsa_memory_ordered 1
		.amdhsa_forward_progress 1
		.amdhsa_shared_vgpr_count 0
		.amdhsa_exception_fp_ieee_invalid_op 0
		.amdhsa_exception_fp_denorm_src 0
		.amdhsa_exception_fp_ieee_div_zero 0
		.amdhsa_exception_fp_ieee_overflow 0
		.amdhsa_exception_fp_ieee_underflow 0
		.amdhsa_exception_fp_ieee_inexact 0
		.amdhsa_exception_int_div_zero 0
	.end_amdhsa_kernel
	.section	.text._ZN2at6native12_GLOBAL__N_135CatArrayBatchedCopy_alignedK_contigINS1_10OpaqueTypeILj1EEEjLi4ELi64ELi64ELi16EEEvPT_NS1_25CatArrInputTensorMetadataIS5_T0_XT2_EXT3_EEENS1_16TensorSizeStrideIS8_Lj4EEEiS8_,"axG",@progbits,_ZN2at6native12_GLOBAL__N_135CatArrayBatchedCopy_alignedK_contigINS1_10OpaqueTypeILj1EEEjLi4ELi64ELi64ELi16EEEvPT_NS1_25CatArrInputTensorMetadataIS5_T0_XT2_EXT3_EEENS1_16TensorSizeStrideIS8_Lj4EEEiS8_,comdat
.Lfunc_end116:
	.size	_ZN2at6native12_GLOBAL__N_135CatArrayBatchedCopy_alignedK_contigINS1_10OpaqueTypeILj1EEEjLi4ELi64ELi64ELi16EEEvPT_NS1_25CatArrInputTensorMetadataIS5_T0_XT2_EXT3_EEENS1_16TensorSizeStrideIS8_Lj4EEEiS8_, .Lfunc_end116-_ZN2at6native12_GLOBAL__N_135CatArrayBatchedCopy_alignedK_contigINS1_10OpaqueTypeILj1EEEjLi4ELi64ELi64ELi16EEEvPT_NS1_25CatArrInputTensorMetadataIS5_T0_XT2_EXT3_EEENS1_16TensorSizeStrideIS8_Lj4EEEiS8_
                                        ; -- End function
	.set _ZN2at6native12_GLOBAL__N_135CatArrayBatchedCopy_alignedK_contigINS1_10OpaqueTypeILj1EEEjLi4ELi64ELi64ELi16EEEvPT_NS1_25CatArrInputTensorMetadataIS5_T0_XT2_EXT3_EEENS1_16TensorSizeStrideIS8_Lj4EEEiS8_.num_vgpr, 50
	.set _ZN2at6native12_GLOBAL__N_135CatArrayBatchedCopy_alignedK_contigINS1_10OpaqueTypeILj1EEEjLi4ELi64ELi64ELi16EEEvPT_NS1_25CatArrInputTensorMetadataIS5_T0_XT2_EXT3_EEENS1_16TensorSizeStrideIS8_Lj4EEEiS8_.num_agpr, 0
	.set _ZN2at6native12_GLOBAL__N_135CatArrayBatchedCopy_alignedK_contigINS1_10OpaqueTypeILj1EEEjLi4ELi64ELi64ELi16EEEvPT_NS1_25CatArrInputTensorMetadataIS5_T0_XT2_EXT3_EEENS1_16TensorSizeStrideIS8_Lj4EEEiS8_.numbered_sgpr, 25
	.set _ZN2at6native12_GLOBAL__N_135CatArrayBatchedCopy_alignedK_contigINS1_10OpaqueTypeILj1EEEjLi4ELi64ELi64ELi16EEEvPT_NS1_25CatArrInputTensorMetadataIS5_T0_XT2_EXT3_EEENS1_16TensorSizeStrideIS8_Lj4EEEiS8_.num_named_barrier, 0
	.set _ZN2at6native12_GLOBAL__N_135CatArrayBatchedCopy_alignedK_contigINS1_10OpaqueTypeILj1EEEjLi4ELi64ELi64ELi16EEEvPT_NS1_25CatArrInputTensorMetadataIS5_T0_XT2_EXT3_EEENS1_16TensorSizeStrideIS8_Lj4EEEiS8_.private_seg_size, 0
	.set _ZN2at6native12_GLOBAL__N_135CatArrayBatchedCopy_alignedK_contigINS1_10OpaqueTypeILj1EEEjLi4ELi64ELi64ELi16EEEvPT_NS1_25CatArrInputTensorMetadataIS5_T0_XT2_EXT3_EEENS1_16TensorSizeStrideIS8_Lj4EEEiS8_.uses_vcc, 1
	.set _ZN2at6native12_GLOBAL__N_135CatArrayBatchedCopy_alignedK_contigINS1_10OpaqueTypeILj1EEEjLi4ELi64ELi64ELi16EEEvPT_NS1_25CatArrInputTensorMetadataIS5_T0_XT2_EXT3_EEENS1_16TensorSizeStrideIS8_Lj4EEEiS8_.uses_flat_scratch, 0
	.set _ZN2at6native12_GLOBAL__N_135CatArrayBatchedCopy_alignedK_contigINS1_10OpaqueTypeILj1EEEjLi4ELi64ELi64ELi16EEEvPT_NS1_25CatArrInputTensorMetadataIS5_T0_XT2_EXT3_EEENS1_16TensorSizeStrideIS8_Lj4EEEiS8_.has_dyn_sized_stack, 0
	.set _ZN2at6native12_GLOBAL__N_135CatArrayBatchedCopy_alignedK_contigINS1_10OpaqueTypeILj1EEEjLi4ELi64ELi64ELi16EEEvPT_NS1_25CatArrInputTensorMetadataIS5_T0_XT2_EXT3_EEENS1_16TensorSizeStrideIS8_Lj4EEEiS8_.has_recursion, 0
	.set _ZN2at6native12_GLOBAL__N_135CatArrayBatchedCopy_alignedK_contigINS1_10OpaqueTypeILj1EEEjLi4ELi64ELi64ELi16EEEvPT_NS1_25CatArrInputTensorMetadataIS5_T0_XT2_EXT3_EEENS1_16TensorSizeStrideIS8_Lj4EEEiS8_.has_indirect_call, 0
	.section	.AMDGPU.csdata,"",@progbits
; Kernel info:
; codeLenInByte = 1840
; TotalNumSgprs: 27
; NumVgprs: 50
; ScratchSize: 0
; MemoryBound: 0
; FloatMode: 240
; IeeeMode: 1
; LDSByteSize: 0 bytes/workgroup (compile time only)
; SGPRBlocks: 0
; VGPRBlocks: 6
; NumSGPRsForWavesPerEU: 27
; NumVGPRsForWavesPerEU: 50
; Occupancy: 16
; WaveLimiterHint : 1
; COMPUTE_PGM_RSRC2:SCRATCH_EN: 0
; COMPUTE_PGM_RSRC2:USER_SGPR: 6
; COMPUTE_PGM_RSRC2:TRAP_HANDLER: 0
; COMPUTE_PGM_RSRC2:TGID_X_EN: 1
; COMPUTE_PGM_RSRC2:TGID_Y_EN: 1
; COMPUTE_PGM_RSRC2:TGID_Z_EN: 0
; COMPUTE_PGM_RSRC2:TIDIG_COMP_CNT: 0
	.section	.text._ZN2at6native12_GLOBAL__N_135CatArrayBatchedCopy_alignedK_contigINS1_10OpaqueTypeILj1EEEjLi4ELi64ELi64ELi8EEEvPT_NS1_25CatArrInputTensorMetadataIS5_T0_XT2_EXT3_EEENS1_16TensorSizeStrideIS8_Lj4EEEiS8_,"axG",@progbits,_ZN2at6native12_GLOBAL__N_135CatArrayBatchedCopy_alignedK_contigINS1_10OpaqueTypeILj1EEEjLi4ELi64ELi64ELi8EEEvPT_NS1_25CatArrInputTensorMetadataIS5_T0_XT2_EXT3_EEENS1_16TensorSizeStrideIS8_Lj4EEEiS8_,comdat
	.globl	_ZN2at6native12_GLOBAL__N_135CatArrayBatchedCopy_alignedK_contigINS1_10OpaqueTypeILj1EEEjLi4ELi64ELi64ELi8EEEvPT_NS1_25CatArrInputTensorMetadataIS5_T0_XT2_EXT3_EEENS1_16TensorSizeStrideIS8_Lj4EEEiS8_ ; -- Begin function _ZN2at6native12_GLOBAL__N_135CatArrayBatchedCopy_alignedK_contigINS1_10OpaqueTypeILj1EEEjLi4ELi64ELi64ELi8EEEvPT_NS1_25CatArrInputTensorMetadataIS5_T0_XT2_EXT3_EEENS1_16TensorSizeStrideIS8_Lj4EEEiS8_
	.p2align	8
	.type	_ZN2at6native12_GLOBAL__N_135CatArrayBatchedCopy_alignedK_contigINS1_10OpaqueTypeILj1EEEjLi4ELi64ELi64ELi8EEEvPT_NS1_25CatArrInputTensorMetadataIS5_T0_XT2_EXT3_EEENS1_16TensorSizeStrideIS8_Lj4EEEiS8_,@function
_ZN2at6native12_GLOBAL__N_135CatArrayBatchedCopy_alignedK_contigINS1_10OpaqueTypeILj1EEEjLi4ELi64ELi64ELi8EEEvPT_NS1_25CatArrInputTensorMetadataIS5_T0_XT2_EXT3_EEENS1_16TensorSizeStrideIS8_Lj4EEEiS8_: ; @_ZN2at6native12_GLOBAL__N_135CatArrayBatchedCopy_alignedK_contigINS1_10OpaqueTypeILj1EEEjLi4ELi64ELi64ELi8EEEvPT_NS1_25CatArrInputTensorMetadataIS5_T0_XT2_EXT3_EEENS1_16TensorSizeStrideIS8_Lj4EEEiS8_
; %bb.0:
	s_mov_b32 s2, s7
	s_load_dword s7, s[4:5], 0xd7c
	s_mov_b32 s3, 0
	s_add_u32 s0, s4, 0xd70
	s_addc_u32 s1, s5, 0
	s_lshl_b64 s[16:17], s[2:3], 2
	s_waitcnt lgkmcnt(0)
	s_and_b32 s7, s7, 0xffff
	s_add_u32 s2, s4, s16
	s_addc_u32 s3, s5, s17
	s_mul_i32 s6, s6, s7
	s_load_dword s18, s[2:3], 0x408
	v_add_lshl_u32 v8, s6, v0, 3
	s_add_u32 s6, s2, 8
	s_addc_u32 s19, s3, 0
	s_mov_b32 s2, exec_lo
	s_waitcnt lgkmcnt(0)
	v_cmpx_gt_u32_e64 s18, v8
	s_cbranch_execz .LBB117_10
; %bb.1:
	s_add_u32 s20, s6, s16
	s_addc_u32 s21, s19, s17
	s_sub_u32 s6, 0, s16
	s_subb_u32 s17, 0, s17
	s_add_u32 s16, s20, s6
	s_addc_u32 s17, s21, s17
	s_clause 0x5
	s_load_dwordx2 s[2:3], s[4:5], 0x0
	s_load_dwordx8 s[8:15], s[4:5], 0xd4c
	s_load_dword s6, s[4:5], 0xd6c
	s_load_dword s19, s[16:17], 0x200
	s_load_dwordx2 s[4:5], s[20:21], 0x0
	s_load_dword s17, s[16:17], 0x300
	v_add_nc_u32_e32 v0, 8, v8
	s_waitcnt lgkmcnt(0)
	s_mul_i32 s16, s19, s6
	s_mov_b32 s19, exec_lo
	v_cmpx_ge_u32_e64 s18, v0
	s_cbranch_execz .LBB117_7
; %bb.2:
	s_load_dword s0, s[0:1], 0x0
	v_mov_b32_e32 v9, 0
	v_add_nc_u32_e32 v10, 1, v8
	s_mov_b32 s24, 0
	v_mov_b32_e32 v5, v9
	v_mov_b32_e32 v6, v9
	s_waitcnt lgkmcnt(0)
	s_mul_i32 s0, s0, s7
	s_lshl_b32 s1, s0, 3
	s_cmp_eq_u32 s15, 3
	s_cselect_b32 s20, s17, s10
	s_cmp_eq_u32 s15, 2
	v_cvt_f32_u32_e32 v0, s20
	s_cselect_b32 s21, s17, s9
	s_cmp_eq_u32 s15, 1
	v_cvt_f32_u32_e32 v1, s21
	s_cselect_b32 s22, s17, s8
	v_rcp_iflag_f32_e32 v0, v0
	v_cvt_f32_u32_e32 v2, s22
	s_sub_i32 s23, 0, s20
	v_rcp_iflag_f32_e32 v1, v1
	s_sub_i32 s0, 0, s21
	s_sub_i32 s6, 0, s22
	v_rcp_iflag_f32_e32 v2, v2
	v_mul_f32_e32 v0, 0x4f7ffffe, v0
	v_mul_f32_e32 v1, 0x4f7ffffe, v1
	v_cvt_u32_f32_e32 v7, v0
	v_mul_f32_e32 v2, 0x4f7ffffe, v2
	v_mov_b32_e32 v0, v9
	v_cvt_u32_f32_e32 v12, v1
	v_mov_b32_e32 v1, v9
	v_cvt_u32_f32_e32 v13, v2
	v_mul_lo_u32 v2, s23, v7
	v_mul_lo_u32 v3, s0, v12
	;; [unrolled: 1-line block ×3, first 2 shown]
	v_mul_hi_u32 v11, v7, v2
	v_mul_hi_u32 v14, v12, v3
	v_mov_b32_e32 v2, v9
	v_mov_b32_e32 v3, v9
	v_mul_hi_u32 v15, v13, v4
	v_mov_b32_e32 v4, v9
	v_add_nc_u32_e32 v11, v7, v11
	v_add_nc_u32_e32 v12, v12, v14
	v_mov_b32_e32 v7, v9
	v_add_nc_u32_e32 v13, v13, v15
.LBB117_3:                              ; =>This Loop Header: Depth=1
                                        ;     Child Loop BB117_4 Depth 2
	v_mov_b32_e32 v14, v8
	v_mov_b32_e32 v15, v10
	s_mov_b64 s[6:7], 0
.LBB117_4:                              ;   Parent Loop BB117_3 Depth=1
                                        ; =>  This Inner Loop Header: Depth=2
	v_mul_hi_u32 v17, v11, v14
	v_mul_hi_u32 v19, v11, v15
	v_add_nc_u32_e32 v16, s6, v8
	s_mov_b32 m0, s6
	v_add_nc_u32_e32 v15, 2, v15
	v_add_nc_u32_e32 v14, 2, v14
	v_mul_hi_u32 v20, v16, v11
	v_not_b32_e32 v23, v17
	v_mad_u64_u32 v[17:18], null, s23, v17, v[16:17]
	v_mul_lo_u32 v22, s20, v19
	v_add_nc_u32_e32 v21, 1, v16
	v_not_b32_e32 v24, v19
	v_add_nc_u32_e32 v25, 1, v20
	v_mad_u64_u32 v[18:19], null, s20, v23, v[16:17]
	v_sub_nc_u32_e32 v22, v10, v22
	v_cmp_le_u32_e32 vcc_lo, s20, v17
	v_mul_hi_u32 v21, v21, v11
	v_mul_lo_u32 v19, s20, v24
	v_add_nc_u32_e32 v22, s6, v22
	v_cndmask_b32_e32 v20, v20, v25, vcc_lo
	v_cndmask_b32_e32 v17, v17, v18, vcc_lo
	v_add_nc_u32_e32 v23, 1, v21
	v_add3_u32 v18, v10, v19, s6
	v_add_nc_u32_e32 v19, 1, v20
	v_cmp_le_u32_e32 vcc_lo, s20, v22
	v_cmp_le_u32_e64 s0, s20, v17
	v_cndmask_b32_e32 v21, v21, v23, vcc_lo
	v_cndmask_b32_e64 v20, v20, v19, s0
	v_cndmask_b32_e32 v19, v22, v18, vcc_lo
	v_add_nc_u32_e32 v22, 1, v21
	v_mul_hi_u32 v23, v20, v12
	v_cmp_le_u32_e32 vcc_lo, s20, v19
	v_mad_u64_u32 v[17:18], null, s23, v20, v[16:17]
	v_cndmask_b32_e32 v21, v21, v22, vcc_lo
	v_mul_lo_u32 v22, v23, s21
	v_mul_hi_u32 v24, v21, v12
	v_mad_u64_u32 v[18:19], null, s23, v21, v[16:17]
	v_mul_lo_u32 v16, v17, s14
	v_add_nc_u32_e32 v19, 1, v23
	v_sub_nc_u32_e32 v17, v20, v22
	v_mul_lo_u32 v22, v24, s21
	v_add_nc_u32_e32 v25, 1, v24
	v_subrev_nc_u32_e32 v26, s21, v17
	v_cmp_le_u32_e32 vcc_lo, s21, v17
	v_mul_lo_u32 v18, s14, v18
	v_sub_nc_u32_e32 v22, v21, v22
	v_cndmask_b32_e32 v19, v23, v19, vcc_lo
	v_cndmask_b32_e32 v17, v17, v26, vcc_lo
	v_cmp_le_u32_e32 vcc_lo, s21, v22
	v_add_nc_u32_e32 v23, 1, v19
	v_cmp_le_u32_e64 s0, s21, v17
	v_cndmask_b32_e32 v24, v24, v25, vcc_lo
	v_subrev_nc_u32_e32 v25, s21, v22
	v_cndmask_b32_e64 v17, v19, v23, s0
	v_cndmask_b32_e32 v19, v22, v25, vcc_lo
	v_add_nc_u32_e32 v22, 1, v24
	v_mul_hi_u32 v23, v17, v13
	v_mul_lo_u32 v25, v17, s21
	v_cmp_le_u32_e32 vcc_lo, s21, v19
	v_cndmask_b32_e32 v19, v24, v22, vcc_lo
	v_mul_lo_u32 v22, v23, s22
	v_add_nc_u32_e32 v26, 1, v23
	v_sub_nc_u32_e32 v20, v20, v25
	v_mul_hi_u32 v24, v19, v13
	v_mul_lo_u32 v27, v19, s21
	v_mul_lo_u32 v20, v20, s13
	v_sub_nc_u32_e32 v22, v17, v22
	v_mul_lo_u32 v28, v24, s22
	v_subrev_nc_u32_e32 v30, s22, v22
	v_cmp_le_u32_e32 vcc_lo, s22, v22
	v_add_nc_u32_e32 v29, 1, v24
	v_sub_nc_u32_e32 v21, v21, v27
	v_cndmask_b32_e32 v23, v23, v26, vcc_lo
	v_sub_nc_u32_e32 v26, v19, v28
	v_cndmask_b32_e32 v22, v22, v30, vcc_lo
	v_mul_lo_u32 v21, v21, s13
	v_add_nc_u32_e32 v28, 1, v23
	v_subrev_nc_u32_e32 v30, s22, v26
	v_cmp_le_u32_e32 vcc_lo, s22, v26
	v_cmp_le_u32_e64 s0, s22, v22
	v_cndmask_b32_e32 v24, v24, v29, vcc_lo
	v_cndmask_b32_e64 v22, v23, v28, s0
	v_cndmask_b32_e32 v23, v26, v30, vcc_lo
	v_add_nc_u32_e32 v26, 1, v24
	v_mul_lo_u32 v28, v22, s22
	v_cmp_le_u32_e32 vcc_lo, s22, v23
	v_cndmask_b32_e32 v23, v24, v26, vcc_lo
	v_sub_nc_u32_e32 v25, v17, v28
	v_mad_u64_u32 v[16:17], null, v22, s11, v[16:17]
	v_mul_lo_u32 v24, v23, s22
	v_mul_lo_u32 v17, v23, s11
	;; [unrolled: 1-line block ×3, first 2 shown]
	v_sub_nc_u32_e32 v19, v19, v24
	v_add3_u32 v17, v18, s14, v17
	v_add3_u32 v16, v16, v20, v22
	v_mul_lo_u32 v19, v19, s12
	v_movreld_b32_e32 v0, v16
	s_add_i32 m0, s6, 1
	s_add_u32 s6, s6, 2
	s_addc_u32 s7, s7, 0
	s_cmp_eq_u32 s6, 8
	v_add3_u32 v16, v17, v21, v19
	v_movreld_b32_e32 v0, v16
	s_cbranch_scc0 .LBB117_4
; %bb.5:                                ;   in Loop: Header=BB117_3 Depth=1
	global_load_dwordx2 v[14:15], v8, s[4:5]
	v_add_co_u32 v8, vcc_lo, v8, s1
	v_add_co_ci_u32_e64 v9, null, 0, v9, vcc_lo
	v_add_nc_u32_e32 v16, s16, v0
	v_add_nc_u32_e32 v17, 8, v8
	v_add_nc_u32_e32 v10, s1, v10
	v_add_nc_u32_e32 v18, s16, v1
	v_add_nc_u32_e32 v19, s16, v2
	v_add_nc_u32_e32 v20, s16, v3
	v_cmp_lt_u32_e32 vcc_lo, s18, v17
	v_add_nc_u32_e32 v21, s16, v4
	v_add_nc_u32_e32 v17, s16, v5
	;; [unrolled: 1-line block ×4, first 2 shown]
	s_or_b32 s24, vcc_lo, s24
	s_waitcnt vmcnt(0)
	v_lshrrev_b32_e32 v24, 8, v14
	v_lshrrev_b32_e32 v25, 24, v14
	;; [unrolled: 1-line block ×4, first 2 shown]
	global_store_byte v16, v14, s[2:3]
	global_store_byte v18, v24, s[2:3]
	global_store_byte_d16_hi v19, v14, s[2:3]
	global_store_byte v20, v25, s[2:3]
	global_store_byte v21, v15, s[2:3]
	global_store_byte v17, v26, s[2:3]
	global_store_byte_d16_hi v22, v15, s[2:3]
	global_store_byte v23, v27, s[2:3]
	s_andn2_b32 exec_lo, exec_lo, s24
	s_cbranch_execnz .LBB117_3
; %bb.6:
	s_or_b32 exec_lo, exec_lo, s24
.LBB117_7:
	s_or_b32 exec_lo, exec_lo, s19
	v_cmp_gt_u32_e32 vcc_lo, s18, v8
	s_and_b32 exec_lo, exec_lo, vcc_lo
	s_cbranch_execz .LBB117_10
; %bb.8:
	s_cmp_eq_u32 s15, 3
	v_mov_b32_e32 v9, 0
	s_cselect_b32 s1, s17, s10
	s_cmp_eq_u32 s15, 2
	v_cvt_f32_u32_e32 v0, s1
	s_cselect_b32 s6, s17, s9
	s_cmp_eq_u32 s15, 1
	v_cvt_f32_u32_e32 v1, s6
	s_cselect_b32 s7, s17, s8
	v_rcp_iflag_f32_e32 v0, v0
	v_cvt_f32_u32_e32 v2, s7
	s_sub_i32 s8, 0, s1
	v_rcp_iflag_f32_e32 v1, v1
	s_sub_i32 s0, 0, s6
	s_sub_i32 s9, 0, s7
	v_rcp_iflag_f32_e32 v2, v2
	v_mul_f32_e32 v0, 0x4f7ffffe, v0
	v_mul_f32_e32 v1, 0x4f7ffffe, v1
	v_cvt_u32_f32_e32 v0, v0
	v_mul_f32_e32 v2, 0x4f7ffffe, v2
	v_cvt_u32_f32_e32 v4, v1
	v_mul_lo_u32 v3, s8, v0
	v_cvt_u32_f32_e32 v5, v2
	v_mul_lo_u32 v1, s0, v4
	v_mul_hi_u32 v2, v0, v3
	v_mul_lo_u32 v3, s9, v5
	s_mov_b32 s9, 0
	v_mul_hi_u32 v6, v4, v1
	v_add_nc_u32_e32 v2, v0, v2
	v_mul_hi_u32 v7, v5, v3
	v_add_nc_u32_e32 v3, v4, v6
	v_mad_u64_u32 v[0:1], null, v8, v2, 0
	v_add_nc_u32_e32 v4, v5, v7
.LBB117_9:                              ; =>This Inner Loop Header: Depth=1
	v_add_co_u32 v5, vcc_lo, s4, v8
	v_add_co_ci_u32_e64 v6, null, s5, v9, vcc_lo
	v_mul_lo_u32 v10, s1, v1
	v_add_nc_u32_e32 v11, 1, v1
	global_load_ubyte v7, v[5:6], off
	v_not_b32_e32 v5, v1
	v_mad_u64_u32 v[5:6], null, s1, v5, v[8:9]
	v_sub_nc_u32_e32 v6, v8, v10
	v_cmp_le_u32_e32 vcc_lo, s1, v6
	v_cndmask_b32_e32 v10, v1, v11, vcc_lo
	v_cndmask_b32_e32 v5, v6, v5, vcc_lo
	v_add_nc_u32_e32 v6, 1, v10
	v_cmp_le_u32_e32 vcc_lo, s1, v5
	v_cndmask_b32_e32 v10, v10, v6, vcc_lo
	v_mul_hi_u32 v5, v10, v3
	v_mul_lo_u32 v6, v5, s6
	v_add_nc_u32_e32 v11, 1, v5
	v_sub_nc_u32_e32 v6, v10, v6
	v_subrev_nc_u32_e32 v12, s6, v6
	v_cmp_le_u32_e32 vcc_lo, s6, v6
	v_cndmask_b32_e32 v5, v5, v11, vcc_lo
	v_cndmask_b32_e32 v6, v6, v12, vcc_lo
	v_add_nc_u32_e32 v11, 1, v5
	v_cmp_le_u32_e32 vcc_lo, s6, v6
	v_cndmask_b32_e32 v11, v5, v11, vcc_lo
	v_mul_hi_u32 v5, v11, v4
	v_mul_lo_u32 v6, v5, s7
	v_add_nc_u32_e32 v12, 1, v5
	v_sub_nc_u32_e32 v6, v11, v6
	v_subrev_nc_u32_e32 v13, s7, v6
	v_cmp_le_u32_e32 vcc_lo, s7, v6
	v_cndmask_b32_e32 v5, v5, v12, vcc_lo
	v_cndmask_b32_e32 v6, v6, v13, vcc_lo
	v_mul_lo_u32 v13, v11, s6
	v_add_nc_u32_e32 v12, 1, v5
	v_cmp_le_u32_e32 vcc_lo, s7, v6
	v_cndmask_b32_e32 v12, v5, v12, vcc_lo
	v_mad_u64_u32 v[5:6], null, s8, v10, v[8:9]
	v_sub_nc_u32_e32 v10, v10, v13
	v_add_co_u32 v8, s0, v8, 1
	v_mul_lo_u32 v6, v12, s7
	v_mul_lo_u32 v12, v12, s11
	;; [unrolled: 1-line block ×4, first 2 shown]
	v_add_co_u32 v0, vcc_lo, v0, v2
	v_add_co_ci_u32_e64 v9, null, 0, v9, s0
	v_sub_nc_u32_e32 v6, v11, v6
	v_cmp_le_u32_e64 s0, s18, v8
	v_add_co_ci_u32_e64 v1, null, 0, v1, vcc_lo
	v_add3_u32 v5, v12, v5, v10
	v_mul_lo_u32 v6, v6, s12
	s_or_b32 s9, s0, s9
	v_add3_u32 v5, v5, v6, s16
	s_waitcnt vmcnt(0)
	global_store_byte v5, v7, s[2:3]
	s_andn2_b32 exec_lo, exec_lo, s9
	s_cbranch_execnz .LBB117_9
.LBB117_10:
	s_endpgm
	.section	.rodata,"a",@progbits
	.p2align	6, 0x0
	.amdhsa_kernel _ZN2at6native12_GLOBAL__N_135CatArrayBatchedCopy_alignedK_contigINS1_10OpaqueTypeILj1EEEjLi4ELi64ELi64ELi8EEEvPT_NS1_25CatArrInputTensorMetadataIS5_T0_XT2_EXT3_EEENS1_16TensorSizeStrideIS8_Lj4EEEiS8_
		.amdhsa_group_segment_fixed_size 0
		.amdhsa_private_segment_fixed_size 0
		.amdhsa_kernarg_size 3696
		.amdhsa_user_sgpr_count 6
		.amdhsa_user_sgpr_private_segment_buffer 1
		.amdhsa_user_sgpr_dispatch_ptr 0
		.amdhsa_user_sgpr_queue_ptr 0
		.amdhsa_user_sgpr_kernarg_segment_ptr 1
		.amdhsa_user_sgpr_dispatch_id 0
		.amdhsa_user_sgpr_flat_scratch_init 0
		.amdhsa_user_sgpr_private_segment_size 0
		.amdhsa_wavefront_size32 1
		.amdhsa_uses_dynamic_stack 0
		.amdhsa_system_sgpr_private_segment_wavefront_offset 0
		.amdhsa_system_sgpr_workgroup_id_x 1
		.amdhsa_system_sgpr_workgroup_id_y 1
		.amdhsa_system_sgpr_workgroup_id_z 0
		.amdhsa_system_sgpr_workgroup_info 0
		.amdhsa_system_vgpr_workitem_id 0
		.amdhsa_next_free_vgpr 31
		.amdhsa_next_free_sgpr 25
		.amdhsa_reserve_vcc 1
		.amdhsa_reserve_flat_scratch 0
		.amdhsa_float_round_mode_32 0
		.amdhsa_float_round_mode_16_64 0
		.amdhsa_float_denorm_mode_32 3
		.amdhsa_float_denorm_mode_16_64 3
		.amdhsa_dx10_clamp 1
		.amdhsa_ieee_mode 1
		.amdhsa_fp16_overflow 0
		.amdhsa_workgroup_processor_mode 1
		.amdhsa_memory_ordered 1
		.amdhsa_forward_progress 1
		.amdhsa_shared_vgpr_count 0
		.amdhsa_exception_fp_ieee_invalid_op 0
		.amdhsa_exception_fp_denorm_src 0
		.amdhsa_exception_fp_ieee_div_zero 0
		.amdhsa_exception_fp_ieee_overflow 0
		.amdhsa_exception_fp_ieee_underflow 0
		.amdhsa_exception_fp_ieee_inexact 0
		.amdhsa_exception_int_div_zero 0
	.end_amdhsa_kernel
	.section	.text._ZN2at6native12_GLOBAL__N_135CatArrayBatchedCopy_alignedK_contigINS1_10OpaqueTypeILj1EEEjLi4ELi64ELi64ELi8EEEvPT_NS1_25CatArrInputTensorMetadataIS5_T0_XT2_EXT3_EEENS1_16TensorSizeStrideIS8_Lj4EEEiS8_,"axG",@progbits,_ZN2at6native12_GLOBAL__N_135CatArrayBatchedCopy_alignedK_contigINS1_10OpaqueTypeILj1EEEjLi4ELi64ELi64ELi8EEEvPT_NS1_25CatArrInputTensorMetadataIS5_T0_XT2_EXT3_EEENS1_16TensorSizeStrideIS8_Lj4EEEiS8_,comdat
.Lfunc_end117:
	.size	_ZN2at6native12_GLOBAL__N_135CatArrayBatchedCopy_alignedK_contigINS1_10OpaqueTypeILj1EEEjLi4ELi64ELi64ELi8EEEvPT_NS1_25CatArrInputTensorMetadataIS5_T0_XT2_EXT3_EEENS1_16TensorSizeStrideIS8_Lj4EEEiS8_, .Lfunc_end117-_ZN2at6native12_GLOBAL__N_135CatArrayBatchedCopy_alignedK_contigINS1_10OpaqueTypeILj1EEEjLi4ELi64ELi64ELi8EEEvPT_NS1_25CatArrInputTensorMetadataIS5_T0_XT2_EXT3_EEENS1_16TensorSizeStrideIS8_Lj4EEEiS8_
                                        ; -- End function
	.set _ZN2at6native12_GLOBAL__N_135CatArrayBatchedCopy_alignedK_contigINS1_10OpaqueTypeILj1EEEjLi4ELi64ELi64ELi8EEEvPT_NS1_25CatArrInputTensorMetadataIS5_T0_XT2_EXT3_EEENS1_16TensorSizeStrideIS8_Lj4EEEiS8_.num_vgpr, 31
	.set _ZN2at6native12_GLOBAL__N_135CatArrayBatchedCopy_alignedK_contigINS1_10OpaqueTypeILj1EEEjLi4ELi64ELi64ELi8EEEvPT_NS1_25CatArrInputTensorMetadataIS5_T0_XT2_EXT3_EEENS1_16TensorSizeStrideIS8_Lj4EEEiS8_.num_agpr, 0
	.set _ZN2at6native12_GLOBAL__N_135CatArrayBatchedCopy_alignedK_contigINS1_10OpaqueTypeILj1EEEjLi4ELi64ELi64ELi8EEEvPT_NS1_25CatArrInputTensorMetadataIS5_T0_XT2_EXT3_EEENS1_16TensorSizeStrideIS8_Lj4EEEiS8_.numbered_sgpr, 25
	.set _ZN2at6native12_GLOBAL__N_135CatArrayBatchedCopy_alignedK_contigINS1_10OpaqueTypeILj1EEEjLi4ELi64ELi64ELi8EEEvPT_NS1_25CatArrInputTensorMetadataIS5_T0_XT2_EXT3_EEENS1_16TensorSizeStrideIS8_Lj4EEEiS8_.num_named_barrier, 0
	.set _ZN2at6native12_GLOBAL__N_135CatArrayBatchedCopy_alignedK_contigINS1_10OpaqueTypeILj1EEEjLi4ELi64ELi64ELi8EEEvPT_NS1_25CatArrInputTensorMetadataIS5_T0_XT2_EXT3_EEENS1_16TensorSizeStrideIS8_Lj4EEEiS8_.private_seg_size, 0
	.set _ZN2at6native12_GLOBAL__N_135CatArrayBatchedCopy_alignedK_contigINS1_10OpaqueTypeILj1EEEjLi4ELi64ELi64ELi8EEEvPT_NS1_25CatArrInputTensorMetadataIS5_T0_XT2_EXT3_EEENS1_16TensorSizeStrideIS8_Lj4EEEiS8_.uses_vcc, 1
	.set _ZN2at6native12_GLOBAL__N_135CatArrayBatchedCopy_alignedK_contigINS1_10OpaqueTypeILj1EEEjLi4ELi64ELi64ELi8EEEvPT_NS1_25CatArrInputTensorMetadataIS5_T0_XT2_EXT3_EEENS1_16TensorSizeStrideIS8_Lj4EEEiS8_.uses_flat_scratch, 0
	.set _ZN2at6native12_GLOBAL__N_135CatArrayBatchedCopy_alignedK_contigINS1_10OpaqueTypeILj1EEEjLi4ELi64ELi64ELi8EEEvPT_NS1_25CatArrInputTensorMetadataIS5_T0_XT2_EXT3_EEENS1_16TensorSizeStrideIS8_Lj4EEEiS8_.has_dyn_sized_stack, 0
	.set _ZN2at6native12_GLOBAL__N_135CatArrayBatchedCopy_alignedK_contigINS1_10OpaqueTypeILj1EEEjLi4ELi64ELi64ELi8EEEvPT_NS1_25CatArrInputTensorMetadataIS5_T0_XT2_EXT3_EEENS1_16TensorSizeStrideIS8_Lj4EEEiS8_.has_recursion, 0
	.set _ZN2at6native12_GLOBAL__N_135CatArrayBatchedCopy_alignedK_contigINS1_10OpaqueTypeILj1EEEjLi4ELi64ELi64ELi8EEEvPT_NS1_25CatArrInputTensorMetadataIS5_T0_XT2_EXT3_EEENS1_16TensorSizeStrideIS8_Lj4EEEiS8_.has_indirect_call, 0
	.section	.AMDGPU.csdata,"",@progbits
; Kernel info:
; codeLenInByte = 1696
; TotalNumSgprs: 27
; NumVgprs: 31
; ScratchSize: 0
; MemoryBound: 0
; FloatMode: 240
; IeeeMode: 1
; LDSByteSize: 0 bytes/workgroup (compile time only)
; SGPRBlocks: 0
; VGPRBlocks: 3
; NumSGPRsForWavesPerEU: 27
; NumVGPRsForWavesPerEU: 31
; Occupancy: 16
; WaveLimiterHint : 1
; COMPUTE_PGM_RSRC2:SCRATCH_EN: 0
; COMPUTE_PGM_RSRC2:USER_SGPR: 6
; COMPUTE_PGM_RSRC2:TRAP_HANDLER: 0
; COMPUTE_PGM_RSRC2:TGID_X_EN: 1
; COMPUTE_PGM_RSRC2:TGID_Y_EN: 1
; COMPUTE_PGM_RSRC2:TGID_Z_EN: 0
; COMPUTE_PGM_RSRC2:TIDIG_COMP_CNT: 0
	.section	.text._ZN2at6native12_GLOBAL__N_126CatArrayBatchedCopy_contigINS1_10OpaqueTypeILj1EEEjLi4ELi64ELi64EEEvPT_NS1_25CatArrInputTensorMetadataIS5_T0_XT2_EXT3_EEENS1_16TensorSizeStrideIS8_Lj4EEEiS8_,"axG",@progbits,_ZN2at6native12_GLOBAL__N_126CatArrayBatchedCopy_contigINS1_10OpaqueTypeILj1EEEjLi4ELi64ELi64EEEvPT_NS1_25CatArrInputTensorMetadataIS5_T0_XT2_EXT3_EEENS1_16TensorSizeStrideIS8_Lj4EEEiS8_,comdat
	.globl	_ZN2at6native12_GLOBAL__N_126CatArrayBatchedCopy_contigINS1_10OpaqueTypeILj1EEEjLi4ELi64ELi64EEEvPT_NS1_25CatArrInputTensorMetadataIS5_T0_XT2_EXT3_EEENS1_16TensorSizeStrideIS8_Lj4EEEiS8_ ; -- Begin function _ZN2at6native12_GLOBAL__N_126CatArrayBatchedCopy_contigINS1_10OpaqueTypeILj1EEEjLi4ELi64ELi64EEEvPT_NS1_25CatArrInputTensorMetadataIS5_T0_XT2_EXT3_EEENS1_16TensorSizeStrideIS8_Lj4EEEiS8_
	.p2align	8
	.type	_ZN2at6native12_GLOBAL__N_126CatArrayBatchedCopy_contigINS1_10OpaqueTypeILj1EEEjLi4ELi64ELi64EEEvPT_NS1_25CatArrInputTensorMetadataIS5_T0_XT2_EXT3_EEENS1_16TensorSizeStrideIS8_Lj4EEEiS8_,@function
_ZN2at6native12_GLOBAL__N_126CatArrayBatchedCopy_contigINS1_10OpaqueTypeILj1EEEjLi4ELi64ELi64EEEvPT_NS1_25CatArrInputTensorMetadataIS5_T0_XT2_EXT3_EEENS1_16TensorSizeStrideIS8_Lj4EEEiS8_: ; @_ZN2at6native12_GLOBAL__N_126CatArrayBatchedCopy_contigINS1_10OpaqueTypeILj1EEEjLi4ELi64ELi64EEEvPT_NS1_25CatArrInputTensorMetadataIS5_T0_XT2_EXT3_EEENS1_16TensorSizeStrideIS8_Lj4EEEiS8_
; %bb.0:
	s_load_dword s2, s[4:5], 0xd7c
	s_mov_b32 s8, s7
	s_mov_b32 s9, 0
	s_add_u32 s10, s4, 0xd70
	s_addc_u32 s11, s5, 0
	s_lshl_b64 s[0:1], s[8:9], 2
	s_waitcnt lgkmcnt(0)
	s_and_b32 s15, s2, 0xffff
	s_add_u32 s2, s4, s0
	s_addc_u32 s3, s5, s1
	v_mad_u64_u32 v[0:1], null, s6, s15, v[0:1]
	s_load_dword s8, s[2:3], 0x408
	s_add_u32 s2, s2, 8
	s_addc_u32 s3, s3, 0
	s_mov_b32 s6, exec_lo
	s_waitcnt lgkmcnt(0)
	v_cmpx_gt_u32_e64 s8, v0
	s_cbranch_execz .LBB118_3
; %bb.1:
	s_add_u32 s18, s2, s0
	s_addc_u32 s19, s3, s1
	s_sub_u32 s0, 0, s0
	s_subb_u32 s1, 0, s1
	s_add_u32 s20, s18, s0
	s_load_dwordx2 s[16:17], s[4:5], 0xd68
	s_addc_u32 s21, s19, s1
	s_clause 0x1
	s_load_dwordx4 s[0:3], s[4:5], 0xd4c
	s_load_dwordx2 s[6:7], s[4:5], 0x0
	s_waitcnt lgkmcnt(0)
	s_load_dword s3, s[20:21], 0x300
	s_cmp_eq_u32 s16, 3
	s_waitcnt lgkmcnt(0)
	s_cselect_b32 s12, s3, s2
	s_cmp_eq_u32 s16, 2
	v_cvt_f32_u32_e32 v1, s12
	s_cselect_b32 s13, s3, s1
	s_cmp_eq_u32 s16, 1
	v_cvt_f32_u32_e32 v2, s13
	s_cselect_b32 s14, s3, s0
	v_rcp_iflag_f32_e32 v1, v1
	v_cvt_f32_u32_e32 v3, s14
	s_clause 0x1
	s_load_dwordx4 s[0:3], s[4:5], 0xd58
	s_load_dword s16, s[20:21], 0x200
	v_rcp_iflag_f32_e32 v2, v2
	s_load_dword s20, s[10:11], 0x0
	s_sub_i32 s10, 0, s12
	v_rcp_iflag_f32_e32 v3, v3
	s_sub_i32 s4, 0, s13
	s_sub_i32 s5, 0, s14
	v_mul_f32_e32 v1, 0x4f7ffffe, v1
	v_mul_f32_e32 v2, 0x4f7ffffe, v2
	v_cvt_u32_f32_e32 v1, v1
	v_mul_f32_e32 v3, 0x4f7ffffe, v3
	v_cvt_u32_f32_e32 v2, v2
	v_mul_lo_u32 v4, s10, v1
	v_cvt_u32_f32_e32 v3, v3
	s_waitcnt lgkmcnt(0)
	s_mul_i32 s11, s16, s17
	v_mul_lo_u32 v5, s4, v2
	s_mul_i32 s15, s20, s15
	v_mul_lo_u32 v6, s5, v3
	s_load_dwordx2 s[4:5], s[18:19], 0x0
	v_mul_hi_u32 v4, v1, v4
	v_mul_hi_u32 v5, v2, v5
	;; [unrolled: 1-line block ×3, first 2 shown]
	v_add_nc_u32_e32 v1, v1, v4
	v_add_nc_u32_e32 v2, v2, v5
	;; [unrolled: 1-line block ×3, first 2 shown]
.LBB118_2:                              ; =>This Inner Loop Header: Depth=1
	s_waitcnt lgkmcnt(0)
	global_load_ubyte v6, v0, s[4:5]
	v_mul_hi_u32 v7, v1, v0
	v_mul_lo_u32 v8, s12, v7
	v_not_b32_e32 v4, v7
	v_add_nc_u32_e32 v9, 1, v7
	v_mad_u64_u32 v[4:5], null, s12, v4, v[0:1]
	v_sub_nc_u32_e32 v5, v0, v8
	v_cmp_le_u32_e32 vcc_lo, s12, v5
	v_cndmask_b32_e32 v7, v7, v9, vcc_lo
	v_cndmask_b32_e32 v4, v5, v4, vcc_lo
	v_add_nc_u32_e32 v5, 1, v7
	v_cmp_le_u32_e32 vcc_lo, s12, v4
	v_cndmask_b32_e32 v7, v7, v5, vcc_lo
	v_mul_hi_u32 v4, v7, v2
	v_mul_lo_u32 v5, v4, s13
	v_add_nc_u32_e32 v8, 1, v4
	v_sub_nc_u32_e32 v5, v7, v5
	v_subrev_nc_u32_e32 v9, s13, v5
	v_cmp_le_u32_e32 vcc_lo, s13, v5
	v_cndmask_b32_e32 v4, v4, v8, vcc_lo
	v_cndmask_b32_e32 v5, v5, v9, vcc_lo
	v_add_nc_u32_e32 v8, 1, v4
	v_cmp_le_u32_e32 vcc_lo, s13, v5
	v_cndmask_b32_e32 v8, v4, v8, vcc_lo
	v_mul_hi_u32 v4, v8, v3
	v_mul_lo_u32 v5, v4, s14
	v_add_nc_u32_e32 v9, 1, v4
	v_sub_nc_u32_e32 v5, v8, v5
	v_subrev_nc_u32_e32 v10, s14, v5
	v_cmp_le_u32_e32 vcc_lo, s14, v5
	v_cndmask_b32_e32 v4, v4, v9, vcc_lo
	v_cndmask_b32_e32 v5, v5, v10, vcc_lo
	v_add_nc_u32_e32 v9, 1, v4
	v_cmp_le_u32_e32 vcc_lo, s14, v5
	v_cndmask_b32_e32 v9, v4, v9, vcc_lo
	v_mad_u64_u32 v[4:5], null, s10, v7, v[0:1]
	v_mul_lo_u32 v5, v8, s13
	v_add_nc_u32_e32 v0, s15, v0
	v_mul_lo_u32 v10, v9, s14
	v_mul_lo_u32 v4, v4, s3
	v_cmp_le_u32_e32 vcc_lo, s8, v0
	v_sub_nc_u32_e32 v5, v7, v5
	v_mul_lo_u32 v7, v9, s0
	v_sub_nc_u32_e32 v8, v8, v10
	s_or_b32 s9, vcc_lo, s9
	v_mul_lo_u32 v5, v5, s2
	v_mul_lo_u32 v8, v8, s1
	v_add3_u32 v4, v4, s11, v7
	v_add3_u32 v4, v4, v5, v8
	s_waitcnt vmcnt(0)
	global_store_byte v4, v6, s[6:7]
	s_andn2_b32 exec_lo, exec_lo, s9
	s_cbranch_execnz .LBB118_2
.LBB118_3:
	s_endpgm
	.section	.rodata,"a",@progbits
	.p2align	6, 0x0
	.amdhsa_kernel _ZN2at6native12_GLOBAL__N_126CatArrayBatchedCopy_contigINS1_10OpaqueTypeILj1EEEjLi4ELi64ELi64EEEvPT_NS1_25CatArrInputTensorMetadataIS5_T0_XT2_EXT3_EEENS1_16TensorSizeStrideIS8_Lj4EEEiS8_
		.amdhsa_group_segment_fixed_size 0
		.amdhsa_private_segment_fixed_size 0
		.amdhsa_kernarg_size 3696
		.amdhsa_user_sgpr_count 6
		.amdhsa_user_sgpr_private_segment_buffer 1
		.amdhsa_user_sgpr_dispatch_ptr 0
		.amdhsa_user_sgpr_queue_ptr 0
		.amdhsa_user_sgpr_kernarg_segment_ptr 1
		.amdhsa_user_sgpr_dispatch_id 0
		.amdhsa_user_sgpr_flat_scratch_init 0
		.amdhsa_user_sgpr_private_segment_size 0
		.amdhsa_wavefront_size32 1
		.amdhsa_uses_dynamic_stack 0
		.amdhsa_system_sgpr_private_segment_wavefront_offset 0
		.amdhsa_system_sgpr_workgroup_id_x 1
		.amdhsa_system_sgpr_workgroup_id_y 1
		.amdhsa_system_sgpr_workgroup_id_z 0
		.amdhsa_system_sgpr_workgroup_info 0
		.amdhsa_system_vgpr_workitem_id 0
		.amdhsa_next_free_vgpr 11
		.amdhsa_next_free_sgpr 22
		.amdhsa_reserve_vcc 1
		.amdhsa_reserve_flat_scratch 0
		.amdhsa_float_round_mode_32 0
		.amdhsa_float_round_mode_16_64 0
		.amdhsa_float_denorm_mode_32 3
		.amdhsa_float_denorm_mode_16_64 3
		.amdhsa_dx10_clamp 1
		.amdhsa_ieee_mode 1
		.amdhsa_fp16_overflow 0
		.amdhsa_workgroup_processor_mode 1
		.amdhsa_memory_ordered 1
		.amdhsa_forward_progress 1
		.amdhsa_shared_vgpr_count 0
		.amdhsa_exception_fp_ieee_invalid_op 0
		.amdhsa_exception_fp_denorm_src 0
		.amdhsa_exception_fp_ieee_div_zero 0
		.amdhsa_exception_fp_ieee_overflow 0
		.amdhsa_exception_fp_ieee_underflow 0
		.amdhsa_exception_fp_ieee_inexact 0
		.amdhsa_exception_int_div_zero 0
	.end_amdhsa_kernel
	.section	.text._ZN2at6native12_GLOBAL__N_126CatArrayBatchedCopy_contigINS1_10OpaqueTypeILj1EEEjLi4ELi64ELi64EEEvPT_NS1_25CatArrInputTensorMetadataIS5_T0_XT2_EXT3_EEENS1_16TensorSizeStrideIS8_Lj4EEEiS8_,"axG",@progbits,_ZN2at6native12_GLOBAL__N_126CatArrayBatchedCopy_contigINS1_10OpaqueTypeILj1EEEjLi4ELi64ELi64EEEvPT_NS1_25CatArrInputTensorMetadataIS5_T0_XT2_EXT3_EEENS1_16TensorSizeStrideIS8_Lj4EEEiS8_,comdat
.Lfunc_end118:
	.size	_ZN2at6native12_GLOBAL__N_126CatArrayBatchedCopy_contigINS1_10OpaqueTypeILj1EEEjLi4ELi64ELi64EEEvPT_NS1_25CatArrInputTensorMetadataIS5_T0_XT2_EXT3_EEENS1_16TensorSizeStrideIS8_Lj4EEEiS8_, .Lfunc_end118-_ZN2at6native12_GLOBAL__N_126CatArrayBatchedCopy_contigINS1_10OpaqueTypeILj1EEEjLi4ELi64ELi64EEEvPT_NS1_25CatArrInputTensorMetadataIS5_T0_XT2_EXT3_EEENS1_16TensorSizeStrideIS8_Lj4EEEiS8_
                                        ; -- End function
	.set _ZN2at6native12_GLOBAL__N_126CatArrayBatchedCopy_contigINS1_10OpaqueTypeILj1EEEjLi4ELi64ELi64EEEvPT_NS1_25CatArrInputTensorMetadataIS5_T0_XT2_EXT3_EEENS1_16TensorSizeStrideIS8_Lj4EEEiS8_.num_vgpr, 11
	.set _ZN2at6native12_GLOBAL__N_126CatArrayBatchedCopy_contigINS1_10OpaqueTypeILj1EEEjLi4ELi64ELi64EEEvPT_NS1_25CatArrInputTensorMetadataIS5_T0_XT2_EXT3_EEENS1_16TensorSizeStrideIS8_Lj4EEEiS8_.num_agpr, 0
	.set _ZN2at6native12_GLOBAL__N_126CatArrayBatchedCopy_contigINS1_10OpaqueTypeILj1EEEjLi4ELi64ELi64EEEvPT_NS1_25CatArrInputTensorMetadataIS5_T0_XT2_EXT3_EEENS1_16TensorSizeStrideIS8_Lj4EEEiS8_.numbered_sgpr, 22
	.set _ZN2at6native12_GLOBAL__N_126CatArrayBatchedCopy_contigINS1_10OpaqueTypeILj1EEEjLi4ELi64ELi64EEEvPT_NS1_25CatArrInputTensorMetadataIS5_T0_XT2_EXT3_EEENS1_16TensorSizeStrideIS8_Lj4EEEiS8_.num_named_barrier, 0
	.set _ZN2at6native12_GLOBAL__N_126CatArrayBatchedCopy_contigINS1_10OpaqueTypeILj1EEEjLi4ELi64ELi64EEEvPT_NS1_25CatArrInputTensorMetadataIS5_T0_XT2_EXT3_EEENS1_16TensorSizeStrideIS8_Lj4EEEiS8_.private_seg_size, 0
	.set _ZN2at6native12_GLOBAL__N_126CatArrayBatchedCopy_contigINS1_10OpaqueTypeILj1EEEjLi4ELi64ELi64EEEvPT_NS1_25CatArrInputTensorMetadataIS5_T0_XT2_EXT3_EEENS1_16TensorSizeStrideIS8_Lj4EEEiS8_.uses_vcc, 1
	.set _ZN2at6native12_GLOBAL__N_126CatArrayBatchedCopy_contigINS1_10OpaqueTypeILj1EEEjLi4ELi64ELi64EEEvPT_NS1_25CatArrInputTensorMetadataIS5_T0_XT2_EXT3_EEENS1_16TensorSizeStrideIS8_Lj4EEEiS8_.uses_flat_scratch, 0
	.set _ZN2at6native12_GLOBAL__N_126CatArrayBatchedCopy_contigINS1_10OpaqueTypeILj1EEEjLi4ELi64ELi64EEEvPT_NS1_25CatArrInputTensorMetadataIS5_T0_XT2_EXT3_EEENS1_16TensorSizeStrideIS8_Lj4EEEiS8_.has_dyn_sized_stack, 0
	.set _ZN2at6native12_GLOBAL__N_126CatArrayBatchedCopy_contigINS1_10OpaqueTypeILj1EEEjLi4ELi64ELi64EEEvPT_NS1_25CatArrInputTensorMetadataIS5_T0_XT2_EXT3_EEENS1_16TensorSizeStrideIS8_Lj4EEEiS8_.has_recursion, 0
	.set _ZN2at6native12_GLOBAL__N_126CatArrayBatchedCopy_contigINS1_10OpaqueTypeILj1EEEjLi4ELi64ELi64EEEvPT_NS1_25CatArrInputTensorMetadataIS5_T0_XT2_EXT3_EEENS1_16TensorSizeStrideIS8_Lj4EEEiS8_.has_indirect_call, 0
	.section	.AMDGPU.csdata,"",@progbits
; Kernel info:
; codeLenInByte = 660
; TotalNumSgprs: 24
; NumVgprs: 11
; ScratchSize: 0
; MemoryBound: 0
; FloatMode: 240
; IeeeMode: 1
; LDSByteSize: 0 bytes/workgroup (compile time only)
; SGPRBlocks: 0
; VGPRBlocks: 1
; NumSGPRsForWavesPerEU: 24
; NumVGPRsForWavesPerEU: 11
; Occupancy: 16
; WaveLimiterHint : 1
; COMPUTE_PGM_RSRC2:SCRATCH_EN: 0
; COMPUTE_PGM_RSRC2:USER_SGPR: 6
; COMPUTE_PGM_RSRC2:TRAP_HANDLER: 0
; COMPUTE_PGM_RSRC2:TGID_X_EN: 1
; COMPUTE_PGM_RSRC2:TGID_Y_EN: 1
; COMPUTE_PGM_RSRC2:TGID_Z_EN: 0
; COMPUTE_PGM_RSRC2:TIDIG_COMP_CNT: 0
	.section	.text._ZN2at6native12_GLOBAL__N_119CatArrayBatchedCopyINS1_10OpaqueTypeILj1EEEjLi4ELi64ELi64EEEvPT_NS1_25CatArrInputTensorMetadataIS5_T0_XT2_EXT3_EEENS1_16TensorSizeStrideIS8_Lj4EEEiS8_,"axG",@progbits,_ZN2at6native12_GLOBAL__N_119CatArrayBatchedCopyINS1_10OpaqueTypeILj1EEEjLi4ELi64ELi64EEEvPT_NS1_25CatArrInputTensorMetadataIS5_T0_XT2_EXT3_EEENS1_16TensorSizeStrideIS8_Lj4EEEiS8_,comdat
	.globl	_ZN2at6native12_GLOBAL__N_119CatArrayBatchedCopyINS1_10OpaqueTypeILj1EEEjLi4ELi64ELi64EEEvPT_NS1_25CatArrInputTensorMetadataIS5_T0_XT2_EXT3_EEENS1_16TensorSizeStrideIS8_Lj4EEEiS8_ ; -- Begin function _ZN2at6native12_GLOBAL__N_119CatArrayBatchedCopyINS1_10OpaqueTypeILj1EEEjLi4ELi64ELi64EEEvPT_NS1_25CatArrInputTensorMetadataIS5_T0_XT2_EXT3_EEENS1_16TensorSizeStrideIS8_Lj4EEEiS8_
	.p2align	8
	.type	_ZN2at6native12_GLOBAL__N_119CatArrayBatchedCopyINS1_10OpaqueTypeILj1EEEjLi4ELi64ELi64EEEvPT_NS1_25CatArrInputTensorMetadataIS5_T0_XT2_EXT3_EEENS1_16TensorSizeStrideIS8_Lj4EEEiS8_,@function
_ZN2at6native12_GLOBAL__N_119CatArrayBatchedCopyINS1_10OpaqueTypeILj1EEEjLi4ELi64ELi64EEEvPT_NS1_25CatArrInputTensorMetadataIS5_T0_XT2_EXT3_EEENS1_16TensorSizeStrideIS8_Lj4EEEiS8_: ; @_ZN2at6native12_GLOBAL__N_119CatArrayBatchedCopyINS1_10OpaqueTypeILj1EEEjLi4ELi64ELi64EEEvPT_NS1_25CatArrInputTensorMetadataIS5_T0_XT2_EXT3_EEENS1_16TensorSizeStrideIS8_Lj4EEEiS8_
; %bb.0:
	s_load_dword s2, s[4:5], 0xd7c
	s_mov_b32 s8, s7
	s_or_b32 s10, s4, 8
	s_mov_b32 s9, 0
	s_add_u32 s16, s4, 0xd70
	s_addc_u32 s17, s5, 0
	s_lshl_b64 s[0:1], s[8:9], 2
	s_waitcnt lgkmcnt(0)
	s_and_b32 s24, s2, 0xffff
	s_add_u32 s2, s10, s0
	s_addc_u32 s3, s5, s1
	v_mad_u64_u32 v[0:1], null, s6, s24, v[0:1]
	s_load_dword s18, s[2:3], 0x400
	s_mov_b32 s6, exec_lo
	s_waitcnt lgkmcnt(0)
	v_cmpx_gt_u32_e64 s18, v0
	s_cbranch_execz .LBB119_5
; %bb.1:
	s_mul_i32 s6, s8, 28
	s_mul_hi_u32 s7, s8, 28
	s_add_u32 s6, s2, s6
	v_mov_b32_e32 v1, 0
	s_addc_u32 s7, s3, s7
	s_add_u32 s2, s10, s8
	s_addc_u32 s3, s5, 0
	s_load_dwordx2 s[14:15], s[4:5], 0xd68
	global_load_ubyte v2, v1, s[2:3] offset:1280
	s_mul_i32 s11, s8, 7
	s_mul_hi_u32 s10, s8, 7
	s_waitcnt vmcnt(0)
	v_and_b32_e32 v2, 1, v2
	v_cmp_eq_u32_e32 vcc_lo, 1, v2
	s_xor_b32 s8, vcc_lo, -1
	s_add_u32 s12, s2, s11
	s_addc_u32 s13, s3, s10
	s_sub_u32 s0, 0, s0
	s_subb_u32 s1, 0, s1
	s_add_u32 s20, s12, s0
	s_addc_u32 s21, s13, s1
	s_clause 0x5
	s_load_dwordx4 s[28:31], s[4:5], 0xd4c
	s_load_dword s25, s[20:21], 0x300
	s_load_dword s26, s[6:7], 0x54c
	s_load_dwordx2 s[22:23], s[6:7], 0x544
	s_load_dwordx4 s[0:3], s[4:5], 0xd58
	s_load_dwordx2 s[10:11], s[4:5], 0x0
	s_waitcnt lgkmcnt(0)
	s_cmp_eq_u32 s14, 3
	s_load_dword s27, s[20:21], 0x200
	s_cselect_b32 s19, s25, s30
	s_cselect_b32 s20, s25, s26
	s_cmp_eq_u32 s14, 2
	s_load_dword s26, s[16:17], 0x0
	s_cselect_b32 s16, s25, s29
	s_cselect_b32 s17, s25, s23
	s_cmp_eq_u32 s14, 1
	v_cvt_f32_u32_e32 v2, s19
	s_cselect_b32 s14, s25, s28
	s_cselect_b32 s21, s25, s22
	v_cvt_f32_u32_e32 v3, s20
	v_cvt_f32_u32_e32 v4, s16
	;; [unrolled: 1-line block ×5, first 2 shown]
	v_rcp_iflag_f32_e32 v2, v2
	v_rcp_iflag_f32_e32 v3, v3
	;; [unrolled: 1-line block ×6, first 2 shown]
	s_sub_i32 s22, 0, s19
	s_sub_i32 s4, 0, s16
	;; [unrolled: 1-line block ×4, first 2 shown]
	v_mul_f32_e32 v2, 0x4f7ffffe, v2
	v_mul_f32_e32 v3, 0x4f7ffffe, v3
	;; [unrolled: 1-line block ×6, first 2 shown]
	v_cvt_u32_f32_e32 v2, v2
	v_cvt_u32_f32_e32 v3, v3
	;; [unrolled: 1-line block ×6, first 2 shown]
	s_sub_i32 s25, 0, s14
	s_sub_i32 s28, 0, s21
	v_mul_lo_u32 v4, s22, v2
	v_mul_lo_u32 v5, s23, v3
	;; [unrolled: 1-line block ×6, first 2 shown]
	s_clause 0x1
	s_load_dwordx4 s[4:7], s[6:7], 0x550
	s_load_dwordx2 s[12:13], s[12:13], 0x0
	s_waitcnt lgkmcnt(0)
	s_mul_i32 s15, s27, s15
	v_mul_hi_u32 v4, v2, v4
	v_mul_hi_u32 v5, v3, v5
	;; [unrolled: 1-line block ×6, first 2 shown]
	s_mul_i32 s24, s26, s24
	v_add_nc_u32_e32 v4, v2, v4
	v_add_nc_u32_e32 v5, v3, v5
	;; [unrolled: 1-line block ×6, first 2 shown]
	s_branch .LBB119_3
.LBB119_2:                              ;   in Loop: Header=BB119_3 Depth=1
	v_add_co_u32 v2, vcc_lo, s12, v2
	v_add_co_ci_u32_e64 v3, null, s13, v3, vcc_lo
	v_mul_hi_u32 v13, v4, v0
	global_load_ubyte v12, v[2:3], off
	v_not_b32_e32 v10, v13
	v_mad_u64_u32 v[2:3], null, s22, v13, v[0:1]
	v_add_nc_u32_e32 v3, 1, v13
	v_mad_u64_u32 v[10:11], null, s19, v10, v[0:1]
	v_cmp_le_u32_e32 vcc_lo, s19, v2
	v_cndmask_b32_e32 v3, v13, v3, vcc_lo
	v_cndmask_b32_e32 v2, v2, v10, vcc_lo
	v_add_nc_u32_e32 v10, 1, v3
	v_cmp_le_u32_e32 vcc_lo, s19, v2
	v_cndmask_b32_e32 v10, v3, v10, vcc_lo
	v_mul_hi_u32 v2, v10, v6
	v_mul_lo_u32 v3, v2, s16
	v_add_nc_u32_e32 v11, 1, v2
	v_sub_nc_u32_e32 v3, v10, v3
	v_subrev_nc_u32_e32 v13, s16, v3
	v_cmp_le_u32_e32 vcc_lo, s16, v3
	v_cndmask_b32_e32 v2, v2, v11, vcc_lo
	v_cndmask_b32_e32 v3, v3, v13, vcc_lo
	v_add_nc_u32_e32 v11, 1, v2
	v_cmp_le_u32_e32 vcc_lo, s16, v3
	v_cndmask_b32_e32 v11, v2, v11, vcc_lo
	v_mul_hi_u32 v2, v11, v8
	v_mul_lo_u32 v3, v2, s14
	v_add_nc_u32_e32 v13, 1, v2
	v_sub_nc_u32_e32 v3, v11, v3
	v_subrev_nc_u32_e32 v14, s14, v3
	v_cmp_le_u32_e32 vcc_lo, s14, v3
	v_cndmask_b32_e32 v2, v2, v13, vcc_lo
	v_cndmask_b32_e32 v3, v3, v14, vcc_lo
	v_mul_lo_u32 v14, v11, s16
	v_add_nc_u32_e32 v13, 1, v2
	v_cmp_le_u32_e32 vcc_lo, s14, v3
	v_cndmask_b32_e32 v13, v2, v13, vcc_lo
	v_mad_u64_u32 v[2:3], null, s22, v10, v[0:1]
	v_sub_nc_u32_e32 v10, v10, v14
	v_add_nc_u32_e32 v0, s24, v0
	v_mul_lo_u32 v3, v13, s14
	v_mul_lo_u32 v10, v10, s2
	;; [unrolled: 1-line block ×3, first 2 shown]
	v_cmp_le_u32_e32 vcc_lo, s18, v0
	v_sub_nc_u32_e32 v3, v11, v3
	v_mul_lo_u32 v11, v13, s0
	s_or_b32 s9, vcc_lo, s9
	v_mul_lo_u32 v3, v3, s1
	v_add3_u32 v2, v11, v2, v10
	v_add3_u32 v2, v2, v3, s15
	s_waitcnt vmcnt(0)
	global_store_byte v2, v12, s[10:11]
	s_andn2_b32 exec_lo, exec_lo, s9
	s_cbranch_execz .LBB119_5
.LBB119_3:                              ; =>This Inner Loop Header: Depth=1
	v_mov_b32_e32 v3, v1
	v_mov_b32_e32 v2, v0
	s_andn2_b32 vcc_lo, exec_lo, s8
	s_cbranch_vccnz .LBB119_2
; %bb.4:                                ;   in Loop: Header=BB119_3 Depth=1
	v_mul_hi_u32 v12, v5, v0
	v_not_b32_e32 v10, v12
	v_mad_u64_u32 v[2:3], null, s23, v12, v[0:1]
	v_add_nc_u32_e32 v3, 1, v12
	v_mad_u64_u32 v[10:11], null, s20, v10, v[0:1]
	v_cmp_le_u32_e32 vcc_lo, s20, v2
	v_cndmask_b32_e32 v3, v12, v3, vcc_lo
	v_cndmask_b32_e32 v2, v2, v10, vcc_lo
	v_add_nc_u32_e32 v10, 1, v3
	v_cmp_le_u32_e32 vcc_lo, s20, v2
	v_cndmask_b32_e32 v10, v3, v10, vcc_lo
	v_mul_hi_u32 v2, v10, v7
	v_mul_lo_u32 v3, v2, s17
	v_add_nc_u32_e32 v11, 1, v2
	v_sub_nc_u32_e32 v3, v10, v3
	v_subrev_nc_u32_e32 v12, s17, v3
	v_cmp_le_u32_e32 vcc_lo, s17, v3
	v_cndmask_b32_e32 v2, v2, v11, vcc_lo
	v_cndmask_b32_e32 v3, v3, v12, vcc_lo
	v_add_nc_u32_e32 v11, 1, v2
	v_cmp_le_u32_e32 vcc_lo, s17, v3
	v_cndmask_b32_e32 v11, v2, v11, vcc_lo
	v_mul_hi_u32 v2, v11, v9
	v_mul_lo_u32 v3, v2, s21
	v_add_nc_u32_e32 v12, 1, v2
	v_sub_nc_u32_e32 v3, v11, v3
	v_subrev_nc_u32_e32 v13, s21, v3
	v_cmp_le_u32_e32 vcc_lo, s21, v3
	v_cndmask_b32_e32 v2, v2, v12, vcc_lo
	v_cndmask_b32_e32 v3, v3, v13, vcc_lo
	v_add_nc_u32_e32 v12, 1, v2
	v_cmp_le_u32_e32 vcc_lo, s21, v3
	v_cndmask_b32_e32 v12, v2, v12, vcc_lo
	v_mad_u64_u32 v[2:3], null, s23, v10, v[0:1]
	v_mul_lo_u32 v3, v11, s17
	v_mul_lo_u32 v13, v12, s21
	;; [unrolled: 1-line block ×3, first 2 shown]
	v_sub_nc_u32_e32 v3, v10, v3
	v_sub_nc_u32_e32 v10, v11, v13
	v_mul_lo_u32 v11, v3, s6
	v_mad_u64_u32 v[2:3], null, v12, s4, v[2:3]
	v_mul_lo_u32 v3, v10, s5
	v_add3_u32 v2, v2, v11, v3
	v_mov_b32_e32 v3, v1
	s_branch .LBB119_2
.LBB119_5:
	s_endpgm
	.section	.rodata,"a",@progbits
	.p2align	6, 0x0
	.amdhsa_kernel _ZN2at6native12_GLOBAL__N_119CatArrayBatchedCopyINS1_10OpaqueTypeILj1EEEjLi4ELi64ELi64EEEvPT_NS1_25CatArrInputTensorMetadataIS5_T0_XT2_EXT3_EEENS1_16TensorSizeStrideIS8_Lj4EEEiS8_
		.amdhsa_group_segment_fixed_size 0
		.amdhsa_private_segment_fixed_size 0
		.amdhsa_kernarg_size 3696
		.amdhsa_user_sgpr_count 6
		.amdhsa_user_sgpr_private_segment_buffer 1
		.amdhsa_user_sgpr_dispatch_ptr 0
		.amdhsa_user_sgpr_queue_ptr 0
		.amdhsa_user_sgpr_kernarg_segment_ptr 1
		.amdhsa_user_sgpr_dispatch_id 0
		.amdhsa_user_sgpr_flat_scratch_init 0
		.amdhsa_user_sgpr_private_segment_size 0
		.amdhsa_wavefront_size32 1
		.amdhsa_uses_dynamic_stack 0
		.amdhsa_system_sgpr_private_segment_wavefront_offset 0
		.amdhsa_system_sgpr_workgroup_id_x 1
		.amdhsa_system_sgpr_workgroup_id_y 1
		.amdhsa_system_sgpr_workgroup_id_z 0
		.amdhsa_system_sgpr_workgroup_info 0
		.amdhsa_system_vgpr_workitem_id 0
		.amdhsa_next_free_vgpr 15
		.amdhsa_next_free_sgpr 32
		.amdhsa_reserve_vcc 1
		.amdhsa_reserve_flat_scratch 0
		.amdhsa_float_round_mode_32 0
		.amdhsa_float_round_mode_16_64 0
		.amdhsa_float_denorm_mode_32 3
		.amdhsa_float_denorm_mode_16_64 3
		.amdhsa_dx10_clamp 1
		.amdhsa_ieee_mode 1
		.amdhsa_fp16_overflow 0
		.amdhsa_workgroup_processor_mode 1
		.amdhsa_memory_ordered 1
		.amdhsa_forward_progress 1
		.amdhsa_shared_vgpr_count 0
		.amdhsa_exception_fp_ieee_invalid_op 0
		.amdhsa_exception_fp_denorm_src 0
		.amdhsa_exception_fp_ieee_div_zero 0
		.amdhsa_exception_fp_ieee_overflow 0
		.amdhsa_exception_fp_ieee_underflow 0
		.amdhsa_exception_fp_ieee_inexact 0
		.amdhsa_exception_int_div_zero 0
	.end_amdhsa_kernel
	.section	.text._ZN2at6native12_GLOBAL__N_119CatArrayBatchedCopyINS1_10OpaqueTypeILj1EEEjLi4ELi64ELi64EEEvPT_NS1_25CatArrInputTensorMetadataIS5_T0_XT2_EXT3_EEENS1_16TensorSizeStrideIS8_Lj4EEEiS8_,"axG",@progbits,_ZN2at6native12_GLOBAL__N_119CatArrayBatchedCopyINS1_10OpaqueTypeILj1EEEjLi4ELi64ELi64EEEvPT_NS1_25CatArrInputTensorMetadataIS5_T0_XT2_EXT3_EEENS1_16TensorSizeStrideIS8_Lj4EEEiS8_,comdat
.Lfunc_end119:
	.size	_ZN2at6native12_GLOBAL__N_119CatArrayBatchedCopyINS1_10OpaqueTypeILj1EEEjLi4ELi64ELi64EEEvPT_NS1_25CatArrInputTensorMetadataIS5_T0_XT2_EXT3_EEENS1_16TensorSizeStrideIS8_Lj4EEEiS8_, .Lfunc_end119-_ZN2at6native12_GLOBAL__N_119CatArrayBatchedCopyINS1_10OpaqueTypeILj1EEEjLi4ELi64ELi64EEEvPT_NS1_25CatArrInputTensorMetadataIS5_T0_XT2_EXT3_EEENS1_16TensorSizeStrideIS8_Lj4EEEiS8_
                                        ; -- End function
	.set _ZN2at6native12_GLOBAL__N_119CatArrayBatchedCopyINS1_10OpaqueTypeILj1EEEjLi4ELi64ELi64EEEvPT_NS1_25CatArrInputTensorMetadataIS5_T0_XT2_EXT3_EEENS1_16TensorSizeStrideIS8_Lj4EEEiS8_.num_vgpr, 15
	.set _ZN2at6native12_GLOBAL__N_119CatArrayBatchedCopyINS1_10OpaqueTypeILj1EEEjLi4ELi64ELi64EEEvPT_NS1_25CatArrInputTensorMetadataIS5_T0_XT2_EXT3_EEENS1_16TensorSizeStrideIS8_Lj4EEEiS8_.num_agpr, 0
	.set _ZN2at6native12_GLOBAL__N_119CatArrayBatchedCopyINS1_10OpaqueTypeILj1EEEjLi4ELi64ELi64EEEvPT_NS1_25CatArrInputTensorMetadataIS5_T0_XT2_EXT3_EEENS1_16TensorSizeStrideIS8_Lj4EEEiS8_.numbered_sgpr, 32
	.set _ZN2at6native12_GLOBAL__N_119CatArrayBatchedCopyINS1_10OpaqueTypeILj1EEEjLi4ELi64ELi64EEEvPT_NS1_25CatArrInputTensorMetadataIS5_T0_XT2_EXT3_EEENS1_16TensorSizeStrideIS8_Lj4EEEiS8_.num_named_barrier, 0
	.set _ZN2at6native12_GLOBAL__N_119CatArrayBatchedCopyINS1_10OpaqueTypeILj1EEEjLi4ELi64ELi64EEEvPT_NS1_25CatArrInputTensorMetadataIS5_T0_XT2_EXT3_EEENS1_16TensorSizeStrideIS8_Lj4EEEiS8_.private_seg_size, 0
	.set _ZN2at6native12_GLOBAL__N_119CatArrayBatchedCopyINS1_10OpaqueTypeILj1EEEjLi4ELi64ELi64EEEvPT_NS1_25CatArrInputTensorMetadataIS5_T0_XT2_EXT3_EEENS1_16TensorSizeStrideIS8_Lj4EEEiS8_.uses_vcc, 1
	.set _ZN2at6native12_GLOBAL__N_119CatArrayBatchedCopyINS1_10OpaqueTypeILj1EEEjLi4ELi64ELi64EEEvPT_NS1_25CatArrInputTensorMetadataIS5_T0_XT2_EXT3_EEENS1_16TensorSizeStrideIS8_Lj4EEEiS8_.uses_flat_scratch, 0
	.set _ZN2at6native12_GLOBAL__N_119CatArrayBatchedCopyINS1_10OpaqueTypeILj1EEEjLi4ELi64ELi64EEEvPT_NS1_25CatArrInputTensorMetadataIS5_T0_XT2_EXT3_EEENS1_16TensorSizeStrideIS8_Lj4EEEiS8_.has_dyn_sized_stack, 0
	.set _ZN2at6native12_GLOBAL__N_119CatArrayBatchedCopyINS1_10OpaqueTypeILj1EEEjLi4ELi64ELi64EEEvPT_NS1_25CatArrInputTensorMetadataIS5_T0_XT2_EXT3_EEENS1_16TensorSizeStrideIS8_Lj4EEEiS8_.has_recursion, 0
	.set _ZN2at6native12_GLOBAL__N_119CatArrayBatchedCopyINS1_10OpaqueTypeILj1EEEjLi4ELi64ELi64EEEvPT_NS1_25CatArrInputTensorMetadataIS5_T0_XT2_EXT3_EEENS1_16TensorSizeStrideIS8_Lj4EEEiS8_.has_indirect_call, 0
	.section	.AMDGPU.csdata,"",@progbits
; Kernel info:
; codeLenInByte = 1148
; TotalNumSgprs: 34
; NumVgprs: 15
; ScratchSize: 0
; MemoryBound: 0
; FloatMode: 240
; IeeeMode: 1
; LDSByteSize: 0 bytes/workgroup (compile time only)
; SGPRBlocks: 0
; VGPRBlocks: 1
; NumSGPRsForWavesPerEU: 34
; NumVGPRsForWavesPerEU: 15
; Occupancy: 16
; WaveLimiterHint : 1
; COMPUTE_PGM_RSRC2:SCRATCH_EN: 0
; COMPUTE_PGM_RSRC2:USER_SGPR: 6
; COMPUTE_PGM_RSRC2:TRAP_HANDLER: 0
; COMPUTE_PGM_RSRC2:TGID_X_EN: 1
; COMPUTE_PGM_RSRC2:TGID_Y_EN: 1
; COMPUTE_PGM_RSRC2:TGID_Z_EN: 0
; COMPUTE_PGM_RSRC2:TIDIG_COMP_CNT: 0
	.section	.text._ZN2at6native12_GLOBAL__N_130CatArrayBatchedCopy_vectorizedINS1_10OpaqueTypeILj2EEEjLi1ELi64ELi64ELi16ELi8EEEvPcNS1_25CatArrInputTensorMetadataIT_T0_XT2_EXT3_EEENS1_16TensorSizeStrideIS8_Lj4EEEiS8_,"axG",@progbits,_ZN2at6native12_GLOBAL__N_130CatArrayBatchedCopy_vectorizedINS1_10OpaqueTypeILj2EEEjLi1ELi64ELi64ELi16ELi8EEEvPcNS1_25CatArrInputTensorMetadataIT_T0_XT2_EXT3_EEENS1_16TensorSizeStrideIS8_Lj4EEEiS8_,comdat
	.globl	_ZN2at6native12_GLOBAL__N_130CatArrayBatchedCopy_vectorizedINS1_10OpaqueTypeILj2EEEjLi1ELi64ELi64ELi16ELi8EEEvPcNS1_25CatArrInputTensorMetadataIT_T0_XT2_EXT3_EEENS1_16TensorSizeStrideIS8_Lj4EEEiS8_ ; -- Begin function _ZN2at6native12_GLOBAL__N_130CatArrayBatchedCopy_vectorizedINS1_10OpaqueTypeILj2EEEjLi1ELi64ELi64ELi16ELi8EEEvPcNS1_25CatArrInputTensorMetadataIT_T0_XT2_EXT3_EEENS1_16TensorSizeStrideIS8_Lj4EEEiS8_
	.p2align	8
	.type	_ZN2at6native12_GLOBAL__N_130CatArrayBatchedCopy_vectorizedINS1_10OpaqueTypeILj2EEEjLi1ELi64ELi64ELi16ELi8EEEvPcNS1_25CatArrInputTensorMetadataIT_T0_XT2_EXT3_EEENS1_16TensorSizeStrideIS8_Lj4EEEiS8_,@function
_ZN2at6native12_GLOBAL__N_130CatArrayBatchedCopy_vectorizedINS1_10OpaqueTypeILj2EEEjLi1ELi64ELi64ELi16ELi8EEEvPcNS1_25CatArrInputTensorMetadataIT_T0_XT2_EXT3_EEENS1_16TensorSizeStrideIS8_Lj4EEEiS8_: ; @_ZN2at6native12_GLOBAL__N_130CatArrayBatchedCopy_vectorizedINS1_10OpaqueTypeILj2EEEjLi1ELi64ELi64ELi16ELi8EEEvPcNS1_25CatArrInputTensorMetadataIT_T0_XT2_EXT3_EEENS1_16TensorSizeStrideIS8_Lj4EEEiS8_
; %bb.0:
	s_mov_b32 s0, s7
	s_load_dword s7, s[4:5], 0xd7c
	s_mov_b32 s1, 0
	s_add_u32 s8, s4, 0xd70
	s_addc_u32 s9, s5, 0
	s_lshl_b64 s[2:3], s[0:1], 2
	s_waitcnt lgkmcnt(0)
	s_and_b32 s7, s7, 0xffff
	s_add_u32 s10, s4, s2
	s_addc_u32 s11, s5, s3
	v_mad_u64_u32 v[0:1], null, s6, s7, v[0:1]
	s_load_dword s12, s[10:11], 0x408
	s_add_u32 s0, s10, 8
	s_addc_u32 s10, s11, 0
	s_mov_b32 s11, exec_lo
	s_waitcnt lgkmcnt(0)
	s_lshr_b32 s6, s12, 3
	v_cmpx_gt_u32_e64 s6, v0
	s_cbranch_execz .LBB120_3
; %bb.1:
	s_add_u32 s12, s0, s2
	s_addc_u32 s13, s10, s3
	s_sub_u32 s0, 0, s2
	s_subb_u32 s3, 0, s3
	s_add_u32 s2, s12, s0
	s_addc_u32 s3, s13, s3
	v_mov_b32_e32 v3, 0
	s_clause 0x3
	s_load_dword s0, s[2:3], 0x200
	s_load_dword s10, s[4:5], 0xd6c
	s_load_dwordx2 s[2:3], s[12:13], 0x0
	s_load_dword s12, s[4:5], 0xd58
	s_load_dword s13, s[8:9], 0x0
	s_load_dwordx2 s[8:9], s[4:5], 0x0
	s_waitcnt lgkmcnt(0)
	s_mul_i32 s0, s0, s10
	v_mul_lo_u32 v2, s12, v0
	s_lshr_b32 s0, s0, 3
	s_mul_i32 s4, s13, s7
	s_lshl_b64 s[10:11], s[0:1], 4
	s_add_u32 s5, s8, s10
	s_addc_u32 s7, s9, s11
	s_mul_i32 s8, s4, s12
	.p2align	6
.LBB120_2:                              ; =>This Inner Loop Header: Depth=1
	v_mov_b32_e32 v1, v3
	v_lshlrev_b64 v[8:9], 4, v[2:3]
	v_add_nc_u32_e32 v2, s8, v2
	v_lshlrev_b64 v[4:5], 4, v[0:1]
	v_add_nc_u32_e32 v0, s4, v0
	v_cmp_le_u32_e64 s0, s6, v0
	v_add_co_u32 v4, vcc_lo, s2, v4
	v_add_co_ci_u32_e64 v5, null, s3, v5, vcc_lo
	v_add_co_u32 v8, vcc_lo, s5, v8
	v_add_co_ci_u32_e64 v9, null, s7, v9, vcc_lo
	global_load_dwordx4 v[4:7], v[4:5], off
	s_or_b32 s1, s0, s1
	s_waitcnt vmcnt(0)
	global_store_dwordx4 v[8:9], v[4:7], off
	s_andn2_b32 exec_lo, exec_lo, s1
	s_cbranch_execnz .LBB120_2
.LBB120_3:
	s_endpgm
	.section	.rodata,"a",@progbits
	.p2align	6, 0x0
	.amdhsa_kernel _ZN2at6native12_GLOBAL__N_130CatArrayBatchedCopy_vectorizedINS1_10OpaqueTypeILj2EEEjLi1ELi64ELi64ELi16ELi8EEEvPcNS1_25CatArrInputTensorMetadataIT_T0_XT2_EXT3_EEENS1_16TensorSizeStrideIS8_Lj4EEEiS8_
		.amdhsa_group_segment_fixed_size 0
		.amdhsa_private_segment_fixed_size 0
		.amdhsa_kernarg_size 3696
		.amdhsa_user_sgpr_count 6
		.amdhsa_user_sgpr_private_segment_buffer 1
		.amdhsa_user_sgpr_dispatch_ptr 0
		.amdhsa_user_sgpr_queue_ptr 0
		.amdhsa_user_sgpr_kernarg_segment_ptr 1
		.amdhsa_user_sgpr_dispatch_id 0
		.amdhsa_user_sgpr_flat_scratch_init 0
		.amdhsa_user_sgpr_private_segment_size 0
		.amdhsa_wavefront_size32 1
		.amdhsa_uses_dynamic_stack 0
		.amdhsa_system_sgpr_private_segment_wavefront_offset 0
		.amdhsa_system_sgpr_workgroup_id_x 1
		.amdhsa_system_sgpr_workgroup_id_y 1
		.amdhsa_system_sgpr_workgroup_id_z 0
		.amdhsa_system_sgpr_workgroup_info 0
		.amdhsa_system_vgpr_workitem_id 0
		.amdhsa_next_free_vgpr 10
		.amdhsa_next_free_sgpr 14
		.amdhsa_reserve_vcc 1
		.amdhsa_reserve_flat_scratch 0
		.amdhsa_float_round_mode_32 0
		.amdhsa_float_round_mode_16_64 0
		.amdhsa_float_denorm_mode_32 3
		.amdhsa_float_denorm_mode_16_64 3
		.amdhsa_dx10_clamp 1
		.amdhsa_ieee_mode 1
		.amdhsa_fp16_overflow 0
		.amdhsa_workgroup_processor_mode 1
		.amdhsa_memory_ordered 1
		.amdhsa_forward_progress 1
		.amdhsa_shared_vgpr_count 0
		.amdhsa_exception_fp_ieee_invalid_op 0
		.amdhsa_exception_fp_denorm_src 0
		.amdhsa_exception_fp_ieee_div_zero 0
		.amdhsa_exception_fp_ieee_overflow 0
		.amdhsa_exception_fp_ieee_underflow 0
		.amdhsa_exception_fp_ieee_inexact 0
		.amdhsa_exception_int_div_zero 0
	.end_amdhsa_kernel
	.section	.text._ZN2at6native12_GLOBAL__N_130CatArrayBatchedCopy_vectorizedINS1_10OpaqueTypeILj2EEEjLi1ELi64ELi64ELi16ELi8EEEvPcNS1_25CatArrInputTensorMetadataIT_T0_XT2_EXT3_EEENS1_16TensorSizeStrideIS8_Lj4EEEiS8_,"axG",@progbits,_ZN2at6native12_GLOBAL__N_130CatArrayBatchedCopy_vectorizedINS1_10OpaqueTypeILj2EEEjLi1ELi64ELi64ELi16ELi8EEEvPcNS1_25CatArrInputTensorMetadataIT_T0_XT2_EXT3_EEENS1_16TensorSizeStrideIS8_Lj4EEEiS8_,comdat
.Lfunc_end120:
	.size	_ZN2at6native12_GLOBAL__N_130CatArrayBatchedCopy_vectorizedINS1_10OpaqueTypeILj2EEEjLi1ELi64ELi64ELi16ELi8EEEvPcNS1_25CatArrInputTensorMetadataIT_T0_XT2_EXT3_EEENS1_16TensorSizeStrideIS8_Lj4EEEiS8_, .Lfunc_end120-_ZN2at6native12_GLOBAL__N_130CatArrayBatchedCopy_vectorizedINS1_10OpaqueTypeILj2EEEjLi1ELi64ELi64ELi16ELi8EEEvPcNS1_25CatArrInputTensorMetadataIT_T0_XT2_EXT3_EEENS1_16TensorSizeStrideIS8_Lj4EEEiS8_
                                        ; -- End function
	.set _ZN2at6native12_GLOBAL__N_130CatArrayBatchedCopy_vectorizedINS1_10OpaqueTypeILj2EEEjLi1ELi64ELi64ELi16ELi8EEEvPcNS1_25CatArrInputTensorMetadataIT_T0_XT2_EXT3_EEENS1_16TensorSizeStrideIS8_Lj4EEEiS8_.num_vgpr, 10
	.set _ZN2at6native12_GLOBAL__N_130CatArrayBatchedCopy_vectorizedINS1_10OpaqueTypeILj2EEEjLi1ELi64ELi64ELi16ELi8EEEvPcNS1_25CatArrInputTensorMetadataIT_T0_XT2_EXT3_EEENS1_16TensorSizeStrideIS8_Lj4EEEiS8_.num_agpr, 0
	.set _ZN2at6native12_GLOBAL__N_130CatArrayBatchedCopy_vectorizedINS1_10OpaqueTypeILj2EEEjLi1ELi64ELi64ELi16ELi8EEEvPcNS1_25CatArrInputTensorMetadataIT_T0_XT2_EXT3_EEENS1_16TensorSizeStrideIS8_Lj4EEEiS8_.numbered_sgpr, 14
	.set _ZN2at6native12_GLOBAL__N_130CatArrayBatchedCopy_vectorizedINS1_10OpaqueTypeILj2EEEjLi1ELi64ELi64ELi16ELi8EEEvPcNS1_25CatArrInputTensorMetadataIT_T0_XT2_EXT3_EEENS1_16TensorSizeStrideIS8_Lj4EEEiS8_.num_named_barrier, 0
	.set _ZN2at6native12_GLOBAL__N_130CatArrayBatchedCopy_vectorizedINS1_10OpaqueTypeILj2EEEjLi1ELi64ELi64ELi16ELi8EEEvPcNS1_25CatArrInputTensorMetadataIT_T0_XT2_EXT3_EEENS1_16TensorSizeStrideIS8_Lj4EEEiS8_.private_seg_size, 0
	.set _ZN2at6native12_GLOBAL__N_130CatArrayBatchedCopy_vectorizedINS1_10OpaqueTypeILj2EEEjLi1ELi64ELi64ELi16ELi8EEEvPcNS1_25CatArrInputTensorMetadataIT_T0_XT2_EXT3_EEENS1_16TensorSizeStrideIS8_Lj4EEEiS8_.uses_vcc, 1
	.set _ZN2at6native12_GLOBAL__N_130CatArrayBatchedCopy_vectorizedINS1_10OpaqueTypeILj2EEEjLi1ELi64ELi64ELi16ELi8EEEvPcNS1_25CatArrInputTensorMetadataIT_T0_XT2_EXT3_EEENS1_16TensorSizeStrideIS8_Lj4EEEiS8_.uses_flat_scratch, 0
	.set _ZN2at6native12_GLOBAL__N_130CatArrayBatchedCopy_vectorizedINS1_10OpaqueTypeILj2EEEjLi1ELi64ELi64ELi16ELi8EEEvPcNS1_25CatArrInputTensorMetadataIT_T0_XT2_EXT3_EEENS1_16TensorSizeStrideIS8_Lj4EEEiS8_.has_dyn_sized_stack, 0
	.set _ZN2at6native12_GLOBAL__N_130CatArrayBatchedCopy_vectorizedINS1_10OpaqueTypeILj2EEEjLi1ELi64ELi64ELi16ELi8EEEvPcNS1_25CatArrInputTensorMetadataIT_T0_XT2_EXT3_EEENS1_16TensorSizeStrideIS8_Lj4EEEiS8_.has_recursion, 0
	.set _ZN2at6native12_GLOBAL__N_130CatArrayBatchedCopy_vectorizedINS1_10OpaqueTypeILj2EEEjLi1ELi64ELi64ELi16ELi8EEEvPcNS1_25CatArrInputTensorMetadataIT_T0_XT2_EXT3_EEENS1_16TensorSizeStrideIS8_Lj4EEEiS8_.has_indirect_call, 0
	.section	.AMDGPU.csdata,"",@progbits
; Kernel info:
; codeLenInByte = 360
; TotalNumSgprs: 16
; NumVgprs: 10
; ScratchSize: 0
; MemoryBound: 0
; FloatMode: 240
; IeeeMode: 1
; LDSByteSize: 0 bytes/workgroup (compile time only)
; SGPRBlocks: 0
; VGPRBlocks: 1
; NumSGPRsForWavesPerEU: 16
; NumVGPRsForWavesPerEU: 10
; Occupancy: 16
; WaveLimiterHint : 1
; COMPUTE_PGM_RSRC2:SCRATCH_EN: 0
; COMPUTE_PGM_RSRC2:USER_SGPR: 6
; COMPUTE_PGM_RSRC2:TRAP_HANDLER: 0
; COMPUTE_PGM_RSRC2:TGID_X_EN: 1
; COMPUTE_PGM_RSRC2:TGID_Y_EN: 1
; COMPUTE_PGM_RSRC2:TGID_Z_EN: 0
; COMPUTE_PGM_RSRC2:TIDIG_COMP_CNT: 0
	.section	.text._ZN2at6native12_GLOBAL__N_135CatArrayBatchedCopy_alignedK_contigINS1_10OpaqueTypeILj2EEEjLi1ELi64ELi64ELi16EEEvPT_NS1_25CatArrInputTensorMetadataIS5_T0_XT2_EXT3_EEENS1_16TensorSizeStrideIS8_Lj4EEEiS8_,"axG",@progbits,_ZN2at6native12_GLOBAL__N_135CatArrayBatchedCopy_alignedK_contigINS1_10OpaqueTypeILj2EEEjLi1ELi64ELi64ELi16EEEvPT_NS1_25CatArrInputTensorMetadataIS5_T0_XT2_EXT3_EEENS1_16TensorSizeStrideIS8_Lj4EEEiS8_,comdat
	.globl	_ZN2at6native12_GLOBAL__N_135CatArrayBatchedCopy_alignedK_contigINS1_10OpaqueTypeILj2EEEjLi1ELi64ELi64ELi16EEEvPT_NS1_25CatArrInputTensorMetadataIS5_T0_XT2_EXT3_EEENS1_16TensorSizeStrideIS8_Lj4EEEiS8_ ; -- Begin function _ZN2at6native12_GLOBAL__N_135CatArrayBatchedCopy_alignedK_contigINS1_10OpaqueTypeILj2EEEjLi1ELi64ELi64ELi16EEEvPT_NS1_25CatArrInputTensorMetadataIS5_T0_XT2_EXT3_EEENS1_16TensorSizeStrideIS8_Lj4EEEiS8_
	.p2align	8
	.type	_ZN2at6native12_GLOBAL__N_135CatArrayBatchedCopy_alignedK_contigINS1_10OpaqueTypeILj2EEEjLi1ELi64ELi64ELi16EEEvPT_NS1_25CatArrInputTensorMetadataIS5_T0_XT2_EXT3_EEENS1_16TensorSizeStrideIS8_Lj4EEEiS8_,@function
_ZN2at6native12_GLOBAL__N_135CatArrayBatchedCopy_alignedK_contigINS1_10OpaqueTypeILj2EEEjLi1ELi64ELi64ELi16EEEvPT_NS1_25CatArrInputTensorMetadataIS5_T0_XT2_EXT3_EEENS1_16TensorSizeStrideIS8_Lj4EEEiS8_: ; @_ZN2at6native12_GLOBAL__N_135CatArrayBatchedCopy_alignedK_contigINS1_10OpaqueTypeILj2EEEjLi1ELi64ELi64ELi16EEEvPT_NS1_25CatArrInputTensorMetadataIS5_T0_XT2_EXT3_EEENS1_16TensorSizeStrideIS8_Lj4EEEiS8_
; %bb.0:
	s_mov_b32 s2, s7
	s_load_dword s7, s[4:5], 0xd7c
	s_mov_b32 s3, 0
	s_add_u32 s0, s4, 0xd70
	s_addc_u32 s1, s5, 0
	s_lshl_b64 s[2:3], s[2:3], 2
	s_mov_b32 s8, exec_lo
	s_waitcnt lgkmcnt(0)
	s_and_b32 s10, s7, 0xffff
	s_add_u32 s12, s4, s2
	s_addc_u32 s13, s5, s3
	v_mad_u64_u32 v[1:2], null, s6, s10, v[0:1]
	s_load_dword s9, s[12:13], 0x408
	s_add_u32 s6, s12, 8
	s_addc_u32 s7, s13, 0
	v_lshlrev_b32_e32 v0, 3, v1
	s_waitcnt lgkmcnt(0)
	v_cmpx_gt_u32_e64 s9, v0
	s_cbranch_execz .LBB121_8
; %bb.1:
	s_add_u32 s6, s6, s2
	s_addc_u32 s7, s7, s3
	s_sub_u32 s2, 0, s2
	s_subb_u32 s3, 0, s3
	s_add_u32 s2, s6, s2
	s_addc_u32 s3, s7, s3
	v_add_nc_u32_e32 v2, 8, v0
	s_clause 0x4
	s_load_dword s8, s[2:3], 0x200
	s_load_dwordx2 s[2:3], s[4:5], 0x0
	s_load_dword s11, s[4:5], 0xd6c
	s_load_dwordx2 s[6:7], s[6:7], 0x0
	s_load_dword s4, s[4:5], 0xd58
	s_mov_b32 s5, exec_lo
	s_waitcnt lgkmcnt(0)
	s_mul_i32 s8, s8, s11
	v_cmpx_ge_u32_e64 s9, v2
	s_cbranch_execz .LBB121_5
; %bb.2:
	s_load_dword s0, s[0:1], 0x0
	v_mad_u64_u32 v[2:3], null, s4, v0, s[4:5]
	v_add_nc_u32_e32 v3, 2, v0
	v_add_nc_u32_e32 v4, 3, v0
	;; [unrolled: 1-line block ×6, first 2 shown]
	v_mul_lo_u32 v9, s4, v1
	v_mul_lo_u32 v3, s4, v3
	v_mul_lo_u32 v4, s4, v4
	v_mul_lo_u32 v5, s4, v5
	v_mul_lo_u32 v6, s4, v6
	v_mul_lo_u32 v7, s4, v7
	v_mul_lo_u32 v8, s4, v8
	v_mov_b32_e32 v1, 0
	v_lshlrev_b32_e32 v9, 3, v9
	s_mov_b32 s1, 0
	s_mov_b32 s12, s8
	s_waitcnt lgkmcnt(0)
	s_mul_i32 s0, s0, s10
	s_mul_i32 s11, s0, s4
	s_lshl_b32 s10, s0, 3
	s_lshl_b32 s11, s11, 3
.LBB121_3:                              ; =>This Inner Loop Header: Depth=1
	v_lshlrev_b64 v[10:11], 1, v[0:1]
	v_add_nc_u32_e32 v14, s12, v9
	v_mov_b32_e32 v15, v1
	v_add_nc_u32_e32 v16, s12, v2
	v_mov_b32_e32 v17, v1
	v_add_nc_u32_e32 v18, s12, v3
	v_add_co_u32 v10, vcc_lo, s6, v10
	v_add_co_ci_u32_e64 v11, null, s7, v11, vcc_lo
	v_mov_b32_e32 v19, v1
	v_lshlrev_b64 v[14:15], 1, v[14:15]
	v_add_nc_u32_e32 v20, s12, v4
	global_load_dwordx4 v[10:13], v[10:11], off
	v_mov_b32_e32 v21, v1
	v_lshlrev_b64 v[16:17], 1, v[16:17]
	v_add_nc_u32_e32 v22, s12, v5
	v_mov_b32_e32 v23, v1
	v_lshlrev_b64 v[18:19], 1, v[18:19]
	v_add_nc_u32_e32 v24, s12, v6
	v_mov_b32_e32 v25, v1
	v_add_nc_u32_e32 v0, s10, v0
	v_lshlrev_b64 v[20:21], 1, v[20:21]
	v_add_co_u32 v14, s0, s2, v14
	v_add_nc_u32_e32 v26, s12, v7
	v_mov_b32_e32 v27, v1
	v_lshlrev_b64 v[22:23], 1, v[22:23]
	v_add_co_ci_u32_e64 v15, null, s3, v15, s0
	v_add_co_u32 v16, s0, s2, v16
	v_add_nc_u32_e32 v28, s12, v8
	v_mov_b32_e32 v29, v1
	v_add_nc_u32_e32 v30, 8, v0
	v_lshlrev_b64 v[24:25], 1, v[24:25]
	v_add_co_ci_u32_e64 v17, null, s3, v17, s0
	v_add_co_u32 v18, s0, s2, v18
	v_lshlrev_b64 v[26:27], 1, v[26:27]
	v_add_co_ci_u32_e64 v19, null, s3, v19, s0
	v_add_co_u32 v20, s0, s2, v20
	;; [unrolled: 3-line block ×3, first 2 shown]
	v_cmp_lt_u32_e32 vcc_lo, s9, v30
	v_add_co_ci_u32_e64 v23, null, s3, v23, s0
	v_add_co_u32 v24, s0, s2, v24
	v_add_co_ci_u32_e64 v25, null, s3, v25, s0
	v_add_co_u32 v26, s0, s2, v26
	s_add_i32 s12, s12, s11
	v_add_co_ci_u32_e64 v27, null, s3, v27, s0
	v_add_co_u32 v28, s0, s2, v28
	s_or_b32 s1, vcc_lo, s1
	v_add_co_ci_u32_e64 v29, null, s3, v29, s0
	s_waitcnt vmcnt(0)
	global_store_short v[14:15], v10, off
	global_store_short_d16_hi v[16:17], v10, off
	global_store_short v[18:19], v11, off
	global_store_short_d16_hi v[20:21], v11, off
	;; [unrolled: 2-line block ×4, first 2 shown]
	s_andn2_b32 exec_lo, exec_lo, s1
	s_cbranch_execnz .LBB121_3
; %bb.4:
	s_or_b32 exec_lo, exec_lo, s1
.LBB121_5:
	s_or_b32 exec_lo, exec_lo, s5
	v_cmp_gt_u32_e32 vcc_lo, s9, v0
	s_and_b32 exec_lo, exec_lo, vcc_lo
	s_cbranch_execz .LBB121_8
; %bb.6:
	v_mov_b32_e32 v2, 0
	v_mad_u64_u32 v[5:6], null, v0, s4, s[8:9]
	s_mov_b32 s1, 0
	v_mov_b32_e32 v1, v2
	v_lshlrev_b64 v[3:4], 1, v[0:1]
	v_mov_b32_e32 v1, v5
	v_add_co_u32 v3, vcc_lo, s6, v3
	v_add_co_ci_u32_e64 v4, null, s7, v4, vcc_lo
	.p2align	6
.LBB121_7:                              ; =>This Inner Loop Header: Depth=1
	global_load_ushort v7, v[3:4], off
	v_lshlrev_b64 v[5:6], 1, v[1:2]
	v_add_nc_u32_e32 v0, 1, v0
	v_add_co_u32 v3, vcc_lo, v3, 2
	v_add_co_ci_u32_e64 v4, null, 0, v4, vcc_lo
	v_cmp_le_u32_e32 vcc_lo, s9, v0
	v_add_co_u32 v5, s0, s2, v5
	v_add_co_ci_u32_e64 v6, null, s3, v6, s0
	v_add_nc_u32_e32 v1, s4, v1
	s_or_b32 s1, vcc_lo, s1
	s_waitcnt vmcnt(0)
	global_store_short v[5:6], v7, off
	s_andn2_b32 exec_lo, exec_lo, s1
	s_cbranch_execnz .LBB121_7
.LBB121_8:
	s_endpgm
	.section	.rodata,"a",@progbits
	.p2align	6, 0x0
	.amdhsa_kernel _ZN2at6native12_GLOBAL__N_135CatArrayBatchedCopy_alignedK_contigINS1_10OpaqueTypeILj2EEEjLi1ELi64ELi64ELi16EEEvPT_NS1_25CatArrInputTensorMetadataIS5_T0_XT2_EXT3_EEENS1_16TensorSizeStrideIS8_Lj4EEEiS8_
		.amdhsa_group_segment_fixed_size 0
		.amdhsa_private_segment_fixed_size 0
		.amdhsa_kernarg_size 3696
		.amdhsa_user_sgpr_count 6
		.amdhsa_user_sgpr_private_segment_buffer 1
		.amdhsa_user_sgpr_dispatch_ptr 0
		.amdhsa_user_sgpr_queue_ptr 0
		.amdhsa_user_sgpr_kernarg_segment_ptr 1
		.amdhsa_user_sgpr_dispatch_id 0
		.amdhsa_user_sgpr_flat_scratch_init 0
		.amdhsa_user_sgpr_private_segment_size 0
		.amdhsa_wavefront_size32 1
		.amdhsa_uses_dynamic_stack 0
		.amdhsa_system_sgpr_private_segment_wavefront_offset 0
		.amdhsa_system_sgpr_workgroup_id_x 1
		.amdhsa_system_sgpr_workgroup_id_y 1
		.amdhsa_system_sgpr_workgroup_id_z 0
		.amdhsa_system_sgpr_workgroup_info 0
		.amdhsa_system_vgpr_workitem_id 0
		.amdhsa_next_free_vgpr 31
		.amdhsa_next_free_sgpr 14
		.amdhsa_reserve_vcc 1
		.amdhsa_reserve_flat_scratch 0
		.amdhsa_float_round_mode_32 0
		.amdhsa_float_round_mode_16_64 0
		.amdhsa_float_denorm_mode_32 3
		.amdhsa_float_denorm_mode_16_64 3
		.amdhsa_dx10_clamp 1
		.amdhsa_ieee_mode 1
		.amdhsa_fp16_overflow 0
		.amdhsa_workgroup_processor_mode 1
		.amdhsa_memory_ordered 1
		.amdhsa_forward_progress 1
		.amdhsa_shared_vgpr_count 0
		.amdhsa_exception_fp_ieee_invalid_op 0
		.amdhsa_exception_fp_denorm_src 0
		.amdhsa_exception_fp_ieee_div_zero 0
		.amdhsa_exception_fp_ieee_overflow 0
		.amdhsa_exception_fp_ieee_underflow 0
		.amdhsa_exception_fp_ieee_inexact 0
		.amdhsa_exception_int_div_zero 0
	.end_amdhsa_kernel
	.section	.text._ZN2at6native12_GLOBAL__N_135CatArrayBatchedCopy_alignedK_contigINS1_10OpaqueTypeILj2EEEjLi1ELi64ELi64ELi16EEEvPT_NS1_25CatArrInputTensorMetadataIS5_T0_XT2_EXT3_EEENS1_16TensorSizeStrideIS8_Lj4EEEiS8_,"axG",@progbits,_ZN2at6native12_GLOBAL__N_135CatArrayBatchedCopy_alignedK_contigINS1_10OpaqueTypeILj2EEEjLi1ELi64ELi64ELi16EEEvPT_NS1_25CatArrInputTensorMetadataIS5_T0_XT2_EXT3_EEENS1_16TensorSizeStrideIS8_Lj4EEEiS8_,comdat
.Lfunc_end121:
	.size	_ZN2at6native12_GLOBAL__N_135CatArrayBatchedCopy_alignedK_contigINS1_10OpaqueTypeILj2EEEjLi1ELi64ELi64ELi16EEEvPT_NS1_25CatArrInputTensorMetadataIS5_T0_XT2_EXT3_EEENS1_16TensorSizeStrideIS8_Lj4EEEiS8_, .Lfunc_end121-_ZN2at6native12_GLOBAL__N_135CatArrayBatchedCopy_alignedK_contigINS1_10OpaqueTypeILj2EEEjLi1ELi64ELi64ELi16EEEvPT_NS1_25CatArrInputTensorMetadataIS5_T0_XT2_EXT3_EEENS1_16TensorSizeStrideIS8_Lj4EEEiS8_
                                        ; -- End function
	.set _ZN2at6native12_GLOBAL__N_135CatArrayBatchedCopy_alignedK_contigINS1_10OpaqueTypeILj2EEEjLi1ELi64ELi64ELi16EEEvPT_NS1_25CatArrInputTensorMetadataIS5_T0_XT2_EXT3_EEENS1_16TensorSizeStrideIS8_Lj4EEEiS8_.num_vgpr, 31
	.set _ZN2at6native12_GLOBAL__N_135CatArrayBatchedCopy_alignedK_contigINS1_10OpaqueTypeILj2EEEjLi1ELi64ELi64ELi16EEEvPT_NS1_25CatArrInputTensorMetadataIS5_T0_XT2_EXT3_EEENS1_16TensorSizeStrideIS8_Lj4EEEiS8_.num_agpr, 0
	.set _ZN2at6native12_GLOBAL__N_135CatArrayBatchedCopy_alignedK_contigINS1_10OpaqueTypeILj2EEEjLi1ELi64ELi64ELi16EEEvPT_NS1_25CatArrInputTensorMetadataIS5_T0_XT2_EXT3_EEENS1_16TensorSizeStrideIS8_Lj4EEEiS8_.numbered_sgpr, 14
	.set _ZN2at6native12_GLOBAL__N_135CatArrayBatchedCopy_alignedK_contigINS1_10OpaqueTypeILj2EEEjLi1ELi64ELi64ELi16EEEvPT_NS1_25CatArrInputTensorMetadataIS5_T0_XT2_EXT3_EEENS1_16TensorSizeStrideIS8_Lj4EEEiS8_.num_named_barrier, 0
	.set _ZN2at6native12_GLOBAL__N_135CatArrayBatchedCopy_alignedK_contigINS1_10OpaqueTypeILj2EEEjLi1ELi64ELi64ELi16EEEvPT_NS1_25CatArrInputTensorMetadataIS5_T0_XT2_EXT3_EEENS1_16TensorSizeStrideIS8_Lj4EEEiS8_.private_seg_size, 0
	.set _ZN2at6native12_GLOBAL__N_135CatArrayBatchedCopy_alignedK_contigINS1_10OpaqueTypeILj2EEEjLi1ELi64ELi64ELi16EEEvPT_NS1_25CatArrInputTensorMetadataIS5_T0_XT2_EXT3_EEENS1_16TensorSizeStrideIS8_Lj4EEEiS8_.uses_vcc, 1
	.set _ZN2at6native12_GLOBAL__N_135CatArrayBatchedCopy_alignedK_contigINS1_10OpaqueTypeILj2EEEjLi1ELi64ELi64ELi16EEEvPT_NS1_25CatArrInputTensorMetadataIS5_T0_XT2_EXT3_EEENS1_16TensorSizeStrideIS8_Lj4EEEiS8_.uses_flat_scratch, 0
	.set _ZN2at6native12_GLOBAL__N_135CatArrayBatchedCopy_alignedK_contigINS1_10OpaqueTypeILj2EEEjLi1ELi64ELi64ELi16EEEvPT_NS1_25CatArrInputTensorMetadataIS5_T0_XT2_EXT3_EEENS1_16TensorSizeStrideIS8_Lj4EEEiS8_.has_dyn_sized_stack, 0
	.set _ZN2at6native12_GLOBAL__N_135CatArrayBatchedCopy_alignedK_contigINS1_10OpaqueTypeILj2EEEjLi1ELi64ELi64ELi16EEEvPT_NS1_25CatArrInputTensorMetadataIS5_T0_XT2_EXT3_EEENS1_16TensorSizeStrideIS8_Lj4EEEiS8_.has_recursion, 0
	.set _ZN2at6native12_GLOBAL__N_135CatArrayBatchedCopy_alignedK_contigINS1_10OpaqueTypeILj2EEEjLi1ELi64ELi64ELi16EEEvPT_NS1_25CatArrInputTensorMetadataIS5_T0_XT2_EXT3_EEENS1_16TensorSizeStrideIS8_Lj4EEEiS8_.has_indirect_call, 0
	.section	.AMDGPU.csdata,"",@progbits
; Kernel info:
; codeLenInByte = 920
; TotalNumSgprs: 16
; NumVgprs: 31
; ScratchSize: 0
; MemoryBound: 0
; FloatMode: 240
; IeeeMode: 1
; LDSByteSize: 0 bytes/workgroup (compile time only)
; SGPRBlocks: 0
; VGPRBlocks: 3
; NumSGPRsForWavesPerEU: 16
; NumVGPRsForWavesPerEU: 31
; Occupancy: 16
; WaveLimiterHint : 1
; COMPUTE_PGM_RSRC2:SCRATCH_EN: 0
; COMPUTE_PGM_RSRC2:USER_SGPR: 6
; COMPUTE_PGM_RSRC2:TRAP_HANDLER: 0
; COMPUTE_PGM_RSRC2:TGID_X_EN: 1
; COMPUTE_PGM_RSRC2:TGID_Y_EN: 1
; COMPUTE_PGM_RSRC2:TGID_Z_EN: 0
; COMPUTE_PGM_RSRC2:TIDIG_COMP_CNT: 0
	.section	.text._ZN2at6native12_GLOBAL__N_135CatArrayBatchedCopy_alignedK_contigINS1_10OpaqueTypeILj2EEEjLi1ELi64ELi64ELi8EEEvPT_NS1_25CatArrInputTensorMetadataIS5_T0_XT2_EXT3_EEENS1_16TensorSizeStrideIS8_Lj4EEEiS8_,"axG",@progbits,_ZN2at6native12_GLOBAL__N_135CatArrayBatchedCopy_alignedK_contigINS1_10OpaqueTypeILj2EEEjLi1ELi64ELi64ELi8EEEvPT_NS1_25CatArrInputTensorMetadataIS5_T0_XT2_EXT3_EEENS1_16TensorSizeStrideIS8_Lj4EEEiS8_,comdat
	.globl	_ZN2at6native12_GLOBAL__N_135CatArrayBatchedCopy_alignedK_contigINS1_10OpaqueTypeILj2EEEjLi1ELi64ELi64ELi8EEEvPT_NS1_25CatArrInputTensorMetadataIS5_T0_XT2_EXT3_EEENS1_16TensorSizeStrideIS8_Lj4EEEiS8_ ; -- Begin function _ZN2at6native12_GLOBAL__N_135CatArrayBatchedCopy_alignedK_contigINS1_10OpaqueTypeILj2EEEjLi1ELi64ELi64ELi8EEEvPT_NS1_25CatArrInputTensorMetadataIS5_T0_XT2_EXT3_EEENS1_16TensorSizeStrideIS8_Lj4EEEiS8_
	.p2align	8
	.type	_ZN2at6native12_GLOBAL__N_135CatArrayBatchedCopy_alignedK_contigINS1_10OpaqueTypeILj2EEEjLi1ELi64ELi64ELi8EEEvPT_NS1_25CatArrInputTensorMetadataIS5_T0_XT2_EXT3_EEENS1_16TensorSizeStrideIS8_Lj4EEEiS8_,@function
_ZN2at6native12_GLOBAL__N_135CatArrayBatchedCopy_alignedK_contigINS1_10OpaqueTypeILj2EEEjLi1ELi64ELi64ELi8EEEvPT_NS1_25CatArrInputTensorMetadataIS5_T0_XT2_EXT3_EEENS1_16TensorSizeStrideIS8_Lj4EEEiS8_: ; @_ZN2at6native12_GLOBAL__N_135CatArrayBatchedCopy_alignedK_contigINS1_10OpaqueTypeILj2EEEjLi1ELi64ELi64ELi8EEEvPT_NS1_25CatArrInputTensorMetadataIS5_T0_XT2_EXT3_EEENS1_16TensorSizeStrideIS8_Lj4EEEiS8_
; %bb.0:
	s_mov_b32 s2, s7
	s_load_dword s7, s[4:5], 0xd7c
	s_mov_b32 s3, 0
	s_add_u32 s0, s4, 0xd70
	s_addc_u32 s1, s5, 0
	s_lshl_b64 s[2:3], s[2:3], 2
	s_mov_b32 s8, exec_lo
	s_waitcnt lgkmcnt(0)
	s_and_b32 s10, s7, 0xffff
	s_add_u32 s12, s4, s2
	s_addc_u32 s13, s5, s3
	v_mad_u64_u32 v[1:2], null, s6, s10, v[0:1]
	s_load_dword s9, s[12:13], 0x408
	s_add_u32 s6, s12, 8
	s_addc_u32 s7, s13, 0
	v_lshlrev_b32_e32 v0, 2, v1
	s_waitcnt lgkmcnt(0)
	v_cmpx_gt_u32_e64 s9, v0
	s_cbranch_execz .LBB122_8
; %bb.1:
	s_add_u32 s6, s6, s2
	s_addc_u32 s7, s7, s3
	s_sub_u32 s2, 0, s2
	s_subb_u32 s3, 0, s3
	s_add_u32 s2, s6, s2
	s_addc_u32 s3, s7, s3
	v_add_nc_u32_e32 v2, 4, v0
	s_clause 0x4
	s_load_dword s8, s[2:3], 0x200
	s_load_dwordx2 s[2:3], s[4:5], 0x0
	s_load_dword s11, s[4:5], 0xd6c
	s_load_dwordx2 s[6:7], s[6:7], 0x0
	s_load_dword s4, s[4:5], 0xd58
	s_mov_b32 s5, exec_lo
	s_waitcnt lgkmcnt(0)
	s_mul_i32 s8, s8, s11
	v_cmpx_ge_u32_e64 s9, v2
	s_cbranch_execz .LBB122_5
; %bb.2:
	s_load_dword s0, s[0:1], 0x0
	v_add_nc_u32_e32 v4, 2, v0
	v_add_nc_u32_e32 v5, 3, v0
	v_mul_lo_u32 v6, s4, v1
	v_mad_u64_u32 v[2:3], null, s4, v0, s[4:5]
	v_mul_lo_u32 v3, s4, v4
	v_mul_lo_u32 v4, s4, v5
	v_mov_b32_e32 v1, 0
	s_mov_b32 s1, 0
	s_mov_b32 s12, s8
	v_lshlrev_b32_e32 v5, 2, v6
	s_waitcnt lgkmcnt(0)
	s_mul_i32 s0, s0, s10
	s_mul_i32 s11, s0, s4
	s_lshl_b32 s10, s0, 2
	s_lshl_b32 s11, s11, 2
.LBB122_3:                              ; =>This Inner Loop Header: Depth=1
	v_lshlrev_b64 v[6:7], 1, v[0:1]
	v_add_nc_u32_e32 v8, s12, v5
	v_mov_b32_e32 v9, v1
	v_add_nc_u32_e32 v10, s12, v2
	v_mov_b32_e32 v11, v1
	v_add_nc_u32_e32 v12, s12, v3
	v_add_co_u32 v6, vcc_lo, s6, v6
	v_add_co_ci_u32_e64 v7, null, s7, v7, vcc_lo
	v_add_nc_u32_e32 v0, s10, v0
	v_mov_b32_e32 v13, v1
	v_lshlrev_b64 v[8:9], 1, v[8:9]
	global_load_dwordx2 v[6:7], v[6:7], off
	v_add_nc_u32_e32 v14, s12, v4
	v_mov_b32_e32 v15, v1
	v_lshlrev_b64 v[10:11], 1, v[10:11]
	v_add_nc_u32_e32 v16, 4, v0
	v_lshlrev_b64 v[12:13], 1, v[12:13]
	v_add_co_u32 v8, s0, s2, v8
	v_lshlrev_b64 v[14:15], 1, v[14:15]
	v_add_co_ci_u32_e64 v9, null, s3, v9, s0
	v_add_co_u32 v10, s0, s2, v10
	v_cmp_lt_u32_e32 vcc_lo, s9, v16
	v_add_co_ci_u32_e64 v11, null, s3, v11, s0
	v_add_co_u32 v12, s0, s2, v12
	v_add_co_ci_u32_e64 v13, null, s3, v13, s0
	v_add_co_u32 v14, s0, s2, v14
	s_add_i32 s12, s12, s11
	v_add_co_ci_u32_e64 v15, null, s3, v15, s0
	s_or_b32 s1, vcc_lo, s1
	s_waitcnt vmcnt(0)
	global_store_short v[8:9], v6, off
	global_store_short_d16_hi v[10:11], v6, off
	global_store_short v[12:13], v7, off
	global_store_short_d16_hi v[14:15], v7, off
	s_andn2_b32 exec_lo, exec_lo, s1
	s_cbranch_execnz .LBB122_3
; %bb.4:
	s_or_b32 exec_lo, exec_lo, s1
.LBB122_5:
	s_or_b32 exec_lo, exec_lo, s5
	v_cmp_gt_u32_e32 vcc_lo, s9, v0
	s_and_b32 exec_lo, exec_lo, vcc_lo
	s_cbranch_execz .LBB122_8
; %bb.6:
	v_mov_b32_e32 v2, 0
	v_mad_u64_u32 v[5:6], null, v0, s4, s[8:9]
	s_mov_b32 s1, 0
	v_mov_b32_e32 v1, v2
	v_lshlrev_b64 v[3:4], 1, v[0:1]
	v_mov_b32_e32 v1, v5
	v_add_co_u32 v3, vcc_lo, s6, v3
	v_add_co_ci_u32_e64 v4, null, s7, v4, vcc_lo
	.p2align	6
.LBB122_7:                              ; =>This Inner Loop Header: Depth=1
	global_load_ushort v7, v[3:4], off
	v_lshlrev_b64 v[5:6], 1, v[1:2]
	v_add_nc_u32_e32 v0, 1, v0
	v_add_co_u32 v3, vcc_lo, v3, 2
	v_add_co_ci_u32_e64 v4, null, 0, v4, vcc_lo
	v_cmp_le_u32_e32 vcc_lo, s9, v0
	v_add_co_u32 v5, s0, s2, v5
	v_add_co_ci_u32_e64 v6, null, s3, v6, s0
	v_add_nc_u32_e32 v1, s4, v1
	s_or_b32 s1, vcc_lo, s1
	s_waitcnt vmcnt(0)
	global_store_short v[5:6], v7, off
	s_andn2_b32 exec_lo, exec_lo, s1
	s_cbranch_execnz .LBB122_7
.LBB122_8:
	s_endpgm
	.section	.rodata,"a",@progbits
	.p2align	6, 0x0
	.amdhsa_kernel _ZN2at6native12_GLOBAL__N_135CatArrayBatchedCopy_alignedK_contigINS1_10OpaqueTypeILj2EEEjLi1ELi64ELi64ELi8EEEvPT_NS1_25CatArrInputTensorMetadataIS5_T0_XT2_EXT3_EEENS1_16TensorSizeStrideIS8_Lj4EEEiS8_
		.amdhsa_group_segment_fixed_size 0
		.amdhsa_private_segment_fixed_size 0
		.amdhsa_kernarg_size 3696
		.amdhsa_user_sgpr_count 6
		.amdhsa_user_sgpr_private_segment_buffer 1
		.amdhsa_user_sgpr_dispatch_ptr 0
		.amdhsa_user_sgpr_queue_ptr 0
		.amdhsa_user_sgpr_kernarg_segment_ptr 1
		.amdhsa_user_sgpr_dispatch_id 0
		.amdhsa_user_sgpr_flat_scratch_init 0
		.amdhsa_user_sgpr_private_segment_size 0
		.amdhsa_wavefront_size32 1
		.amdhsa_uses_dynamic_stack 0
		.amdhsa_system_sgpr_private_segment_wavefront_offset 0
		.amdhsa_system_sgpr_workgroup_id_x 1
		.amdhsa_system_sgpr_workgroup_id_y 1
		.amdhsa_system_sgpr_workgroup_id_z 0
		.amdhsa_system_sgpr_workgroup_info 0
		.amdhsa_system_vgpr_workitem_id 0
		.amdhsa_next_free_vgpr 17
		.amdhsa_next_free_sgpr 14
		.amdhsa_reserve_vcc 1
		.amdhsa_reserve_flat_scratch 0
		.amdhsa_float_round_mode_32 0
		.amdhsa_float_round_mode_16_64 0
		.amdhsa_float_denorm_mode_32 3
		.amdhsa_float_denorm_mode_16_64 3
		.amdhsa_dx10_clamp 1
		.amdhsa_ieee_mode 1
		.amdhsa_fp16_overflow 0
		.amdhsa_workgroup_processor_mode 1
		.amdhsa_memory_ordered 1
		.amdhsa_forward_progress 1
		.amdhsa_shared_vgpr_count 0
		.amdhsa_exception_fp_ieee_invalid_op 0
		.amdhsa_exception_fp_denorm_src 0
		.amdhsa_exception_fp_ieee_div_zero 0
		.amdhsa_exception_fp_ieee_overflow 0
		.amdhsa_exception_fp_ieee_underflow 0
		.amdhsa_exception_fp_ieee_inexact 0
		.amdhsa_exception_int_div_zero 0
	.end_amdhsa_kernel
	.section	.text._ZN2at6native12_GLOBAL__N_135CatArrayBatchedCopy_alignedK_contigINS1_10OpaqueTypeILj2EEEjLi1ELi64ELi64ELi8EEEvPT_NS1_25CatArrInputTensorMetadataIS5_T0_XT2_EXT3_EEENS1_16TensorSizeStrideIS8_Lj4EEEiS8_,"axG",@progbits,_ZN2at6native12_GLOBAL__N_135CatArrayBatchedCopy_alignedK_contigINS1_10OpaqueTypeILj2EEEjLi1ELi64ELi64ELi8EEEvPT_NS1_25CatArrInputTensorMetadataIS5_T0_XT2_EXT3_EEENS1_16TensorSizeStrideIS8_Lj4EEEiS8_,comdat
.Lfunc_end122:
	.size	_ZN2at6native12_GLOBAL__N_135CatArrayBatchedCopy_alignedK_contigINS1_10OpaqueTypeILj2EEEjLi1ELi64ELi64ELi8EEEvPT_NS1_25CatArrInputTensorMetadataIS5_T0_XT2_EXT3_EEENS1_16TensorSizeStrideIS8_Lj4EEEiS8_, .Lfunc_end122-_ZN2at6native12_GLOBAL__N_135CatArrayBatchedCopy_alignedK_contigINS1_10OpaqueTypeILj2EEEjLi1ELi64ELi64ELi8EEEvPT_NS1_25CatArrInputTensorMetadataIS5_T0_XT2_EXT3_EEENS1_16TensorSizeStrideIS8_Lj4EEEiS8_
                                        ; -- End function
	.set _ZN2at6native12_GLOBAL__N_135CatArrayBatchedCopy_alignedK_contigINS1_10OpaqueTypeILj2EEEjLi1ELi64ELi64ELi8EEEvPT_NS1_25CatArrInputTensorMetadataIS5_T0_XT2_EXT3_EEENS1_16TensorSizeStrideIS8_Lj4EEEiS8_.num_vgpr, 17
	.set _ZN2at6native12_GLOBAL__N_135CatArrayBatchedCopy_alignedK_contigINS1_10OpaqueTypeILj2EEEjLi1ELi64ELi64ELi8EEEvPT_NS1_25CatArrInputTensorMetadataIS5_T0_XT2_EXT3_EEENS1_16TensorSizeStrideIS8_Lj4EEEiS8_.num_agpr, 0
	.set _ZN2at6native12_GLOBAL__N_135CatArrayBatchedCopy_alignedK_contigINS1_10OpaqueTypeILj2EEEjLi1ELi64ELi64ELi8EEEvPT_NS1_25CatArrInputTensorMetadataIS5_T0_XT2_EXT3_EEENS1_16TensorSizeStrideIS8_Lj4EEEiS8_.numbered_sgpr, 14
	.set _ZN2at6native12_GLOBAL__N_135CatArrayBatchedCopy_alignedK_contigINS1_10OpaqueTypeILj2EEEjLi1ELi64ELi64ELi8EEEvPT_NS1_25CatArrInputTensorMetadataIS5_T0_XT2_EXT3_EEENS1_16TensorSizeStrideIS8_Lj4EEEiS8_.num_named_barrier, 0
	.set _ZN2at6native12_GLOBAL__N_135CatArrayBatchedCopy_alignedK_contigINS1_10OpaqueTypeILj2EEEjLi1ELi64ELi64ELi8EEEvPT_NS1_25CatArrInputTensorMetadataIS5_T0_XT2_EXT3_EEENS1_16TensorSizeStrideIS8_Lj4EEEiS8_.private_seg_size, 0
	.set _ZN2at6native12_GLOBAL__N_135CatArrayBatchedCopy_alignedK_contigINS1_10OpaqueTypeILj2EEEjLi1ELi64ELi64ELi8EEEvPT_NS1_25CatArrInputTensorMetadataIS5_T0_XT2_EXT3_EEENS1_16TensorSizeStrideIS8_Lj4EEEiS8_.uses_vcc, 1
	.set _ZN2at6native12_GLOBAL__N_135CatArrayBatchedCopy_alignedK_contigINS1_10OpaqueTypeILj2EEEjLi1ELi64ELi64ELi8EEEvPT_NS1_25CatArrInputTensorMetadataIS5_T0_XT2_EXT3_EEENS1_16TensorSizeStrideIS8_Lj4EEEiS8_.uses_flat_scratch, 0
	.set _ZN2at6native12_GLOBAL__N_135CatArrayBatchedCopy_alignedK_contigINS1_10OpaqueTypeILj2EEEjLi1ELi64ELi64ELi8EEEvPT_NS1_25CatArrInputTensorMetadataIS5_T0_XT2_EXT3_EEENS1_16TensorSizeStrideIS8_Lj4EEEiS8_.has_dyn_sized_stack, 0
	.set _ZN2at6native12_GLOBAL__N_135CatArrayBatchedCopy_alignedK_contigINS1_10OpaqueTypeILj2EEEjLi1ELi64ELi64ELi8EEEvPT_NS1_25CatArrInputTensorMetadataIS5_T0_XT2_EXT3_EEENS1_16TensorSizeStrideIS8_Lj4EEEiS8_.has_recursion, 0
	.set _ZN2at6native12_GLOBAL__N_135CatArrayBatchedCopy_alignedK_contigINS1_10OpaqueTypeILj2EEEjLi1ELi64ELi64ELi8EEEvPT_NS1_25CatArrInputTensorMetadataIS5_T0_XT2_EXT3_EEENS1_16TensorSizeStrideIS8_Lj4EEEiS8_.has_indirect_call, 0
	.section	.AMDGPU.csdata,"",@progbits
; Kernel info:
; codeLenInByte = 664
; TotalNumSgprs: 16
; NumVgprs: 17
; ScratchSize: 0
; MemoryBound: 0
; FloatMode: 240
; IeeeMode: 1
; LDSByteSize: 0 bytes/workgroup (compile time only)
; SGPRBlocks: 0
; VGPRBlocks: 2
; NumSGPRsForWavesPerEU: 16
; NumVGPRsForWavesPerEU: 17
; Occupancy: 16
; WaveLimiterHint : 1
; COMPUTE_PGM_RSRC2:SCRATCH_EN: 0
; COMPUTE_PGM_RSRC2:USER_SGPR: 6
; COMPUTE_PGM_RSRC2:TRAP_HANDLER: 0
; COMPUTE_PGM_RSRC2:TGID_X_EN: 1
; COMPUTE_PGM_RSRC2:TGID_Y_EN: 1
; COMPUTE_PGM_RSRC2:TGID_Z_EN: 0
; COMPUTE_PGM_RSRC2:TIDIG_COMP_CNT: 0
	.section	.text._ZN2at6native12_GLOBAL__N_126CatArrayBatchedCopy_contigINS1_10OpaqueTypeILj2EEEjLi1ELi64ELi64EEEvPT_NS1_25CatArrInputTensorMetadataIS5_T0_XT2_EXT3_EEENS1_16TensorSizeStrideIS8_Lj4EEEiS8_,"axG",@progbits,_ZN2at6native12_GLOBAL__N_126CatArrayBatchedCopy_contigINS1_10OpaqueTypeILj2EEEjLi1ELi64ELi64EEEvPT_NS1_25CatArrInputTensorMetadataIS5_T0_XT2_EXT3_EEENS1_16TensorSizeStrideIS8_Lj4EEEiS8_,comdat
	.globl	_ZN2at6native12_GLOBAL__N_126CatArrayBatchedCopy_contigINS1_10OpaqueTypeILj2EEEjLi1ELi64ELi64EEEvPT_NS1_25CatArrInputTensorMetadataIS5_T0_XT2_EXT3_EEENS1_16TensorSizeStrideIS8_Lj4EEEiS8_ ; -- Begin function _ZN2at6native12_GLOBAL__N_126CatArrayBatchedCopy_contigINS1_10OpaqueTypeILj2EEEjLi1ELi64ELi64EEEvPT_NS1_25CatArrInputTensorMetadataIS5_T0_XT2_EXT3_EEENS1_16TensorSizeStrideIS8_Lj4EEEiS8_
	.p2align	8
	.type	_ZN2at6native12_GLOBAL__N_126CatArrayBatchedCopy_contigINS1_10OpaqueTypeILj2EEEjLi1ELi64ELi64EEEvPT_NS1_25CatArrInputTensorMetadataIS5_T0_XT2_EXT3_EEENS1_16TensorSizeStrideIS8_Lj4EEEiS8_,@function
_ZN2at6native12_GLOBAL__N_126CatArrayBatchedCopy_contigINS1_10OpaqueTypeILj2EEEjLi1ELi64ELi64EEEvPT_NS1_25CatArrInputTensorMetadataIS5_T0_XT2_EXT3_EEENS1_16TensorSizeStrideIS8_Lj4EEEiS8_: ; @_ZN2at6native12_GLOBAL__N_126CatArrayBatchedCopy_contigINS1_10OpaqueTypeILj2EEEjLi1ELi64ELi64EEEvPT_NS1_25CatArrInputTensorMetadataIS5_T0_XT2_EXT3_EEENS1_16TensorSizeStrideIS8_Lj4EEEiS8_
; %bb.0:
	s_load_dword s2, s[4:5], 0xd7c
	s_mov_b32 s0, s7
	s_mov_b32 s1, 0
	s_add_u32 s8, s4, 0xd70
	s_addc_u32 s9, s5, 0
	s_lshl_b64 s[10:11], s[0:1], 2
	s_waitcnt lgkmcnt(0)
	s_and_b32 s0, s2, 0xffff
	s_add_u32 s2, s4, s10
	s_addc_u32 s3, s5, s11
	v_mad_u64_u32 v[0:1], null, s6, s0, v[0:1]
	s_load_dword s7, s[2:3], 0x408
	s_add_u32 s2, s2, 8
	s_addc_u32 s3, s3, 0
	s_mov_b32 s6, exec_lo
	s_waitcnt lgkmcnt(0)
	v_cmpx_gt_u32_e64 s7, v0
	s_cbranch_execz .LBB123_3
; %bb.1:
	s_add_u32 s12, s2, s10
	s_addc_u32 s13, s3, s11
	s_sub_u32 s6, 0, s10
	s_clause 0x1
	s_load_dwordx2 s[2:3], s[12:13], 0x0
	s_load_dword s14, s[4:5], 0xd58
	s_subb_u32 s11, 0, s11
	s_add_u32 s10, s12, s6
	s_addc_u32 s11, s13, s11
	s_clause 0x1
	s_load_dword s6, s[4:5], 0xd6c
	s_load_dword s10, s[10:11], 0x200
	;; [unrolled: 1-line block ×3, first 2 shown]
	s_load_dwordx2 s[4:5], s[4:5], 0x0
	s_waitcnt lgkmcnt(0)
	v_mul_lo_u32 v1, s14, v0
	v_mad_u64_u32 v[2:3], null, s10, s6, v[1:2]
	v_mov_b32_e32 v1, 0
	s_mul_i32 s6, s8, s0
	s_mul_i32 s8, s6, s14
	.p2align	6
.LBB123_2:                              ; =>This Inner Loop Header: Depth=1
	v_lshlrev_b64 v[3:4], 1, v[0:1]
	v_add_nc_u32_e32 v0, s6, v0
	v_add_co_u32 v3, vcc_lo, s2, v3
	v_add_co_ci_u32_e64 v4, null, s3, v4, vcc_lo
	v_cmp_le_u32_e32 vcc_lo, s7, v0
	global_load_ushort v5, v[3:4], off
	v_mov_b32_e32 v3, v1
	s_or_b32 s1, vcc_lo, s1
	v_lshlrev_b64 v[3:4], 1, v[2:3]
	v_add_nc_u32_e32 v2, s8, v2
	v_add_co_u32 v3, s0, s4, v3
	v_add_co_ci_u32_e64 v4, null, s5, v4, s0
	s_waitcnt vmcnt(0)
	global_store_short v[3:4], v5, off
	s_andn2_b32 exec_lo, exec_lo, s1
	s_cbranch_execnz .LBB123_2
.LBB123_3:
	s_endpgm
	.section	.rodata,"a",@progbits
	.p2align	6, 0x0
	.amdhsa_kernel _ZN2at6native12_GLOBAL__N_126CatArrayBatchedCopy_contigINS1_10OpaqueTypeILj2EEEjLi1ELi64ELi64EEEvPT_NS1_25CatArrInputTensorMetadataIS5_T0_XT2_EXT3_EEENS1_16TensorSizeStrideIS8_Lj4EEEiS8_
		.amdhsa_group_segment_fixed_size 0
		.amdhsa_private_segment_fixed_size 0
		.amdhsa_kernarg_size 3696
		.amdhsa_user_sgpr_count 6
		.amdhsa_user_sgpr_private_segment_buffer 1
		.amdhsa_user_sgpr_dispatch_ptr 0
		.amdhsa_user_sgpr_queue_ptr 0
		.amdhsa_user_sgpr_kernarg_segment_ptr 1
		.amdhsa_user_sgpr_dispatch_id 0
		.amdhsa_user_sgpr_flat_scratch_init 0
		.amdhsa_user_sgpr_private_segment_size 0
		.amdhsa_wavefront_size32 1
		.amdhsa_uses_dynamic_stack 0
		.amdhsa_system_sgpr_private_segment_wavefront_offset 0
		.amdhsa_system_sgpr_workgroup_id_x 1
		.amdhsa_system_sgpr_workgroup_id_y 1
		.amdhsa_system_sgpr_workgroup_id_z 0
		.amdhsa_system_sgpr_workgroup_info 0
		.amdhsa_system_vgpr_workitem_id 0
		.amdhsa_next_free_vgpr 6
		.amdhsa_next_free_sgpr 15
		.amdhsa_reserve_vcc 1
		.amdhsa_reserve_flat_scratch 0
		.amdhsa_float_round_mode_32 0
		.amdhsa_float_round_mode_16_64 0
		.amdhsa_float_denorm_mode_32 3
		.amdhsa_float_denorm_mode_16_64 3
		.amdhsa_dx10_clamp 1
		.amdhsa_ieee_mode 1
		.amdhsa_fp16_overflow 0
		.amdhsa_workgroup_processor_mode 1
		.amdhsa_memory_ordered 1
		.amdhsa_forward_progress 1
		.amdhsa_shared_vgpr_count 0
		.amdhsa_exception_fp_ieee_invalid_op 0
		.amdhsa_exception_fp_denorm_src 0
		.amdhsa_exception_fp_ieee_div_zero 0
		.amdhsa_exception_fp_ieee_overflow 0
		.amdhsa_exception_fp_ieee_underflow 0
		.amdhsa_exception_fp_ieee_inexact 0
		.amdhsa_exception_int_div_zero 0
	.end_amdhsa_kernel
	.section	.text._ZN2at6native12_GLOBAL__N_126CatArrayBatchedCopy_contigINS1_10OpaqueTypeILj2EEEjLi1ELi64ELi64EEEvPT_NS1_25CatArrInputTensorMetadataIS5_T0_XT2_EXT3_EEENS1_16TensorSizeStrideIS8_Lj4EEEiS8_,"axG",@progbits,_ZN2at6native12_GLOBAL__N_126CatArrayBatchedCopy_contigINS1_10OpaqueTypeILj2EEEjLi1ELi64ELi64EEEvPT_NS1_25CatArrInputTensorMetadataIS5_T0_XT2_EXT3_EEENS1_16TensorSizeStrideIS8_Lj4EEEiS8_,comdat
.Lfunc_end123:
	.size	_ZN2at6native12_GLOBAL__N_126CatArrayBatchedCopy_contigINS1_10OpaqueTypeILj2EEEjLi1ELi64ELi64EEEvPT_NS1_25CatArrInputTensorMetadataIS5_T0_XT2_EXT3_EEENS1_16TensorSizeStrideIS8_Lj4EEEiS8_, .Lfunc_end123-_ZN2at6native12_GLOBAL__N_126CatArrayBatchedCopy_contigINS1_10OpaqueTypeILj2EEEjLi1ELi64ELi64EEEvPT_NS1_25CatArrInputTensorMetadataIS5_T0_XT2_EXT3_EEENS1_16TensorSizeStrideIS8_Lj4EEEiS8_
                                        ; -- End function
	.set _ZN2at6native12_GLOBAL__N_126CatArrayBatchedCopy_contigINS1_10OpaqueTypeILj2EEEjLi1ELi64ELi64EEEvPT_NS1_25CatArrInputTensorMetadataIS5_T0_XT2_EXT3_EEENS1_16TensorSizeStrideIS8_Lj4EEEiS8_.num_vgpr, 6
	.set _ZN2at6native12_GLOBAL__N_126CatArrayBatchedCopy_contigINS1_10OpaqueTypeILj2EEEjLi1ELi64ELi64EEEvPT_NS1_25CatArrInputTensorMetadataIS5_T0_XT2_EXT3_EEENS1_16TensorSizeStrideIS8_Lj4EEEiS8_.num_agpr, 0
	.set _ZN2at6native12_GLOBAL__N_126CatArrayBatchedCopy_contigINS1_10OpaqueTypeILj2EEEjLi1ELi64ELi64EEEvPT_NS1_25CatArrInputTensorMetadataIS5_T0_XT2_EXT3_EEENS1_16TensorSizeStrideIS8_Lj4EEEiS8_.numbered_sgpr, 15
	.set _ZN2at6native12_GLOBAL__N_126CatArrayBatchedCopy_contigINS1_10OpaqueTypeILj2EEEjLi1ELi64ELi64EEEvPT_NS1_25CatArrInputTensorMetadataIS5_T0_XT2_EXT3_EEENS1_16TensorSizeStrideIS8_Lj4EEEiS8_.num_named_barrier, 0
	.set _ZN2at6native12_GLOBAL__N_126CatArrayBatchedCopy_contigINS1_10OpaqueTypeILj2EEEjLi1ELi64ELi64EEEvPT_NS1_25CatArrInputTensorMetadataIS5_T0_XT2_EXT3_EEENS1_16TensorSizeStrideIS8_Lj4EEEiS8_.private_seg_size, 0
	.set _ZN2at6native12_GLOBAL__N_126CatArrayBatchedCopy_contigINS1_10OpaqueTypeILj2EEEjLi1ELi64ELi64EEEvPT_NS1_25CatArrInputTensorMetadataIS5_T0_XT2_EXT3_EEENS1_16TensorSizeStrideIS8_Lj4EEEiS8_.uses_vcc, 1
	.set _ZN2at6native12_GLOBAL__N_126CatArrayBatchedCopy_contigINS1_10OpaqueTypeILj2EEEjLi1ELi64ELi64EEEvPT_NS1_25CatArrInputTensorMetadataIS5_T0_XT2_EXT3_EEENS1_16TensorSizeStrideIS8_Lj4EEEiS8_.uses_flat_scratch, 0
	.set _ZN2at6native12_GLOBAL__N_126CatArrayBatchedCopy_contigINS1_10OpaqueTypeILj2EEEjLi1ELi64ELi64EEEvPT_NS1_25CatArrInputTensorMetadataIS5_T0_XT2_EXT3_EEENS1_16TensorSizeStrideIS8_Lj4EEEiS8_.has_dyn_sized_stack, 0
	.set _ZN2at6native12_GLOBAL__N_126CatArrayBatchedCopy_contigINS1_10OpaqueTypeILj2EEEjLi1ELi64ELi64EEEvPT_NS1_25CatArrInputTensorMetadataIS5_T0_XT2_EXT3_EEENS1_16TensorSizeStrideIS8_Lj4EEEiS8_.has_recursion, 0
	.set _ZN2at6native12_GLOBAL__N_126CatArrayBatchedCopy_contigINS1_10OpaqueTypeILj2EEEjLi1ELi64ELi64EEEvPT_NS1_25CatArrInputTensorMetadataIS5_T0_XT2_EXT3_EEENS1_16TensorSizeStrideIS8_Lj4EEEiS8_.has_indirect_call, 0
	.section	.AMDGPU.csdata,"",@progbits
; Kernel info:
; codeLenInByte = 356
; TotalNumSgprs: 17
; NumVgprs: 6
; ScratchSize: 0
; MemoryBound: 0
; FloatMode: 240
; IeeeMode: 1
; LDSByteSize: 0 bytes/workgroup (compile time only)
; SGPRBlocks: 0
; VGPRBlocks: 0
; NumSGPRsForWavesPerEU: 17
; NumVGPRsForWavesPerEU: 6
; Occupancy: 16
; WaveLimiterHint : 1
; COMPUTE_PGM_RSRC2:SCRATCH_EN: 0
; COMPUTE_PGM_RSRC2:USER_SGPR: 6
; COMPUTE_PGM_RSRC2:TRAP_HANDLER: 0
; COMPUTE_PGM_RSRC2:TGID_X_EN: 1
; COMPUTE_PGM_RSRC2:TGID_Y_EN: 1
; COMPUTE_PGM_RSRC2:TGID_Z_EN: 0
; COMPUTE_PGM_RSRC2:TIDIG_COMP_CNT: 0
	.section	.text._ZN2at6native12_GLOBAL__N_119CatArrayBatchedCopyINS1_10OpaqueTypeILj2EEEjLi1ELi64ELi64EEEvPT_NS1_25CatArrInputTensorMetadataIS5_T0_XT2_EXT3_EEENS1_16TensorSizeStrideIS8_Lj4EEEiS8_,"axG",@progbits,_ZN2at6native12_GLOBAL__N_119CatArrayBatchedCopyINS1_10OpaqueTypeILj2EEEjLi1ELi64ELi64EEEvPT_NS1_25CatArrInputTensorMetadataIS5_T0_XT2_EXT3_EEENS1_16TensorSizeStrideIS8_Lj4EEEiS8_,comdat
	.globl	_ZN2at6native12_GLOBAL__N_119CatArrayBatchedCopyINS1_10OpaqueTypeILj2EEEjLi1ELi64ELi64EEEvPT_NS1_25CatArrInputTensorMetadataIS5_T0_XT2_EXT3_EEENS1_16TensorSizeStrideIS8_Lj4EEEiS8_ ; -- Begin function _ZN2at6native12_GLOBAL__N_119CatArrayBatchedCopyINS1_10OpaqueTypeILj2EEEjLi1ELi64ELi64EEEvPT_NS1_25CatArrInputTensorMetadataIS5_T0_XT2_EXT3_EEENS1_16TensorSizeStrideIS8_Lj4EEEiS8_
	.p2align	8
	.type	_ZN2at6native12_GLOBAL__N_119CatArrayBatchedCopyINS1_10OpaqueTypeILj2EEEjLi1ELi64ELi64EEEvPT_NS1_25CatArrInputTensorMetadataIS5_T0_XT2_EXT3_EEENS1_16TensorSizeStrideIS8_Lj4EEEiS8_,@function
_ZN2at6native12_GLOBAL__N_119CatArrayBatchedCopyINS1_10OpaqueTypeILj2EEEjLi1ELi64ELi64EEEvPT_NS1_25CatArrInputTensorMetadataIS5_T0_XT2_EXT3_EEENS1_16TensorSizeStrideIS8_Lj4EEEiS8_: ; @_ZN2at6native12_GLOBAL__N_119CatArrayBatchedCopyINS1_10OpaqueTypeILj2EEEjLi1ELi64ELi64EEEvPT_NS1_25CatArrInputTensorMetadataIS5_T0_XT2_EXT3_EEENS1_16TensorSizeStrideIS8_Lj4EEEiS8_
; %bb.0:
	s_mov_b32 s0, s7
	s_load_dword s7, s[4:5], 0xd7c
	s_or_b32 s13, s4, 8
	s_mov_b32 s1, 0
	s_add_u32 s2, s4, 0xd70
	s_addc_u32 s3, s5, 0
	s_lshl_b64 s[8:9], s[0:1], 2
	s_mov_b32 s14, exec_lo
	s_waitcnt lgkmcnt(0)
	s_and_b32 s12, s7, 0xffff
	s_add_u32 s10, s13, s8
	s_addc_u32 s11, s5, s9
	v_mad_u64_u32 v[0:1], null, s6, s12, v[0:1]
	s_load_dword s7, s[10:11], 0x400
	s_waitcnt lgkmcnt(0)
	v_cmpx_gt_u32_e64 s7, v0
	s_cbranch_execz .LBB124_3
; %bb.1:
	s_mul_i32 s14, s0, 28
	s_mul_hi_u32 s15, s0, 28
	s_add_u32 s10, s10, s14
	v_mov_b32_e32 v2, 0
	s_addc_u32 s11, s11, s15
	s_add_u32 s14, s13, s0
	s_addc_u32 s15, s5, 0
	s_mul_i32 s13, s0, 7
	global_load_ubyte v1, v2, s[14:15] offset:1280
	s_clause 0x1
	s_load_dword s16, s[10:11], 0x550
	s_load_dword s17, s[4:5], 0xd58
	s_mul_hi_u32 s0, s0, 7
	s_waitcnt lgkmcnt(0)
	v_mul_lo_u32 v3, s17, v0
	s_waitcnt vmcnt(0)
	v_readfirstlane_b32 s6, v1
	s_and_b32 s6, 1, s6
	s_add_u32 s10, s14, s13
	s_addc_u32 s11, s15, s0
	s_sub_u32 s0, 0, s8
	s_subb_u32 s9, 0, s9
	s_add_u32 s8, s10, s0
	s_addc_u32 s9, s11, s9
	s_clause 0x1
	s_load_dword s0, s[4:5], 0xd6c
	s_load_dword s8, s[8:9], 0x200
	;; [unrolled: 1-line block ×3, first 2 shown]
	s_clause 0x1
	s_load_dwordx2 s[2:3], s[4:5], 0x0
	s_load_dwordx2 s[4:5], s[10:11], 0x0
	s_cmp_eq_u32 s6, 1
	s_cselect_b32 s10, 1, s16
	v_mul_lo_u32 v1, s10, v0
	s_waitcnt lgkmcnt(0)
	v_mad_u64_u32 v[3:4], null, s8, s0, v[3:4]
	s_mul_i32 s6, s9, s12
	s_mul_i32 s8, s6, s10
	;; [unrolled: 1-line block ×3, first 2 shown]
	.p2align	6
.LBB124_2:                              ; =>This Inner Loop Header: Depth=1
	v_lshlrev_b64 v[4:5], 1, v[1:2]
	v_add_nc_u32_e32 v0, s6, v0
	v_add_nc_u32_e32 v1, s8, v1
	v_add_co_u32 v4, vcc_lo, s4, v4
	v_add_co_ci_u32_e64 v5, null, s5, v5, vcc_lo
	v_cmp_le_u32_e32 vcc_lo, s7, v0
	global_load_ushort v6, v[4:5], off
	v_mov_b32_e32 v4, v2
	s_or_b32 s1, vcc_lo, s1
	v_lshlrev_b64 v[4:5], 1, v[3:4]
	v_add_nc_u32_e32 v3, s9, v3
	v_add_co_u32 v4, s0, s2, v4
	v_add_co_ci_u32_e64 v5, null, s3, v5, s0
	s_waitcnt vmcnt(0)
	global_store_short v[4:5], v6, off
	s_andn2_b32 exec_lo, exec_lo, s1
	s_cbranch_execnz .LBB124_2
.LBB124_3:
	s_endpgm
	.section	.rodata,"a",@progbits
	.p2align	6, 0x0
	.amdhsa_kernel _ZN2at6native12_GLOBAL__N_119CatArrayBatchedCopyINS1_10OpaqueTypeILj2EEEjLi1ELi64ELi64EEEvPT_NS1_25CatArrInputTensorMetadataIS5_T0_XT2_EXT3_EEENS1_16TensorSizeStrideIS8_Lj4EEEiS8_
		.amdhsa_group_segment_fixed_size 0
		.amdhsa_private_segment_fixed_size 0
		.amdhsa_kernarg_size 3696
		.amdhsa_user_sgpr_count 6
		.amdhsa_user_sgpr_private_segment_buffer 1
		.amdhsa_user_sgpr_dispatch_ptr 0
		.amdhsa_user_sgpr_queue_ptr 0
		.amdhsa_user_sgpr_kernarg_segment_ptr 1
		.amdhsa_user_sgpr_dispatch_id 0
		.amdhsa_user_sgpr_flat_scratch_init 0
		.amdhsa_user_sgpr_private_segment_size 0
		.amdhsa_wavefront_size32 1
		.amdhsa_uses_dynamic_stack 0
		.amdhsa_system_sgpr_private_segment_wavefront_offset 0
		.amdhsa_system_sgpr_workgroup_id_x 1
		.amdhsa_system_sgpr_workgroup_id_y 1
		.amdhsa_system_sgpr_workgroup_id_z 0
		.amdhsa_system_sgpr_workgroup_info 0
		.amdhsa_system_vgpr_workitem_id 0
		.amdhsa_next_free_vgpr 7
		.amdhsa_next_free_sgpr 18
		.amdhsa_reserve_vcc 1
		.amdhsa_reserve_flat_scratch 0
		.amdhsa_float_round_mode_32 0
		.amdhsa_float_round_mode_16_64 0
		.amdhsa_float_denorm_mode_32 3
		.amdhsa_float_denorm_mode_16_64 3
		.amdhsa_dx10_clamp 1
		.amdhsa_ieee_mode 1
		.amdhsa_fp16_overflow 0
		.amdhsa_workgroup_processor_mode 1
		.amdhsa_memory_ordered 1
		.amdhsa_forward_progress 1
		.amdhsa_shared_vgpr_count 0
		.amdhsa_exception_fp_ieee_invalid_op 0
		.amdhsa_exception_fp_denorm_src 0
		.amdhsa_exception_fp_ieee_div_zero 0
		.amdhsa_exception_fp_ieee_overflow 0
		.amdhsa_exception_fp_ieee_underflow 0
		.amdhsa_exception_fp_ieee_inexact 0
		.amdhsa_exception_int_div_zero 0
	.end_amdhsa_kernel
	.section	.text._ZN2at6native12_GLOBAL__N_119CatArrayBatchedCopyINS1_10OpaqueTypeILj2EEEjLi1ELi64ELi64EEEvPT_NS1_25CatArrInputTensorMetadataIS5_T0_XT2_EXT3_EEENS1_16TensorSizeStrideIS8_Lj4EEEiS8_,"axG",@progbits,_ZN2at6native12_GLOBAL__N_119CatArrayBatchedCopyINS1_10OpaqueTypeILj2EEEjLi1ELi64ELi64EEEvPT_NS1_25CatArrInputTensorMetadataIS5_T0_XT2_EXT3_EEENS1_16TensorSizeStrideIS8_Lj4EEEiS8_,comdat
.Lfunc_end124:
	.size	_ZN2at6native12_GLOBAL__N_119CatArrayBatchedCopyINS1_10OpaqueTypeILj2EEEjLi1ELi64ELi64EEEvPT_NS1_25CatArrInputTensorMetadataIS5_T0_XT2_EXT3_EEENS1_16TensorSizeStrideIS8_Lj4EEEiS8_, .Lfunc_end124-_ZN2at6native12_GLOBAL__N_119CatArrayBatchedCopyINS1_10OpaqueTypeILj2EEEjLi1ELi64ELi64EEEvPT_NS1_25CatArrInputTensorMetadataIS5_T0_XT2_EXT3_EEENS1_16TensorSizeStrideIS8_Lj4EEEiS8_
                                        ; -- End function
	.set _ZN2at6native12_GLOBAL__N_119CatArrayBatchedCopyINS1_10OpaqueTypeILj2EEEjLi1ELi64ELi64EEEvPT_NS1_25CatArrInputTensorMetadataIS5_T0_XT2_EXT3_EEENS1_16TensorSizeStrideIS8_Lj4EEEiS8_.num_vgpr, 7
	.set _ZN2at6native12_GLOBAL__N_119CatArrayBatchedCopyINS1_10OpaqueTypeILj2EEEjLi1ELi64ELi64EEEvPT_NS1_25CatArrInputTensorMetadataIS5_T0_XT2_EXT3_EEENS1_16TensorSizeStrideIS8_Lj4EEEiS8_.num_agpr, 0
	.set _ZN2at6native12_GLOBAL__N_119CatArrayBatchedCopyINS1_10OpaqueTypeILj2EEEjLi1ELi64ELi64EEEvPT_NS1_25CatArrInputTensorMetadataIS5_T0_XT2_EXT3_EEENS1_16TensorSizeStrideIS8_Lj4EEEiS8_.numbered_sgpr, 18
	.set _ZN2at6native12_GLOBAL__N_119CatArrayBatchedCopyINS1_10OpaqueTypeILj2EEEjLi1ELi64ELi64EEEvPT_NS1_25CatArrInputTensorMetadataIS5_T0_XT2_EXT3_EEENS1_16TensorSizeStrideIS8_Lj4EEEiS8_.num_named_barrier, 0
	.set _ZN2at6native12_GLOBAL__N_119CatArrayBatchedCopyINS1_10OpaqueTypeILj2EEEjLi1ELi64ELi64EEEvPT_NS1_25CatArrInputTensorMetadataIS5_T0_XT2_EXT3_EEENS1_16TensorSizeStrideIS8_Lj4EEEiS8_.private_seg_size, 0
	.set _ZN2at6native12_GLOBAL__N_119CatArrayBatchedCopyINS1_10OpaqueTypeILj2EEEjLi1ELi64ELi64EEEvPT_NS1_25CatArrInputTensorMetadataIS5_T0_XT2_EXT3_EEENS1_16TensorSizeStrideIS8_Lj4EEEiS8_.uses_vcc, 1
	.set _ZN2at6native12_GLOBAL__N_119CatArrayBatchedCopyINS1_10OpaqueTypeILj2EEEjLi1ELi64ELi64EEEvPT_NS1_25CatArrInputTensorMetadataIS5_T0_XT2_EXT3_EEENS1_16TensorSizeStrideIS8_Lj4EEEiS8_.uses_flat_scratch, 0
	.set _ZN2at6native12_GLOBAL__N_119CatArrayBatchedCopyINS1_10OpaqueTypeILj2EEEjLi1ELi64ELi64EEEvPT_NS1_25CatArrInputTensorMetadataIS5_T0_XT2_EXT3_EEENS1_16TensorSizeStrideIS8_Lj4EEEiS8_.has_dyn_sized_stack, 0
	.set _ZN2at6native12_GLOBAL__N_119CatArrayBatchedCopyINS1_10OpaqueTypeILj2EEEjLi1ELi64ELi64EEEvPT_NS1_25CatArrInputTensorMetadataIS5_T0_XT2_EXT3_EEENS1_16TensorSizeStrideIS8_Lj4EEEiS8_.has_recursion, 0
	.set _ZN2at6native12_GLOBAL__N_119CatArrayBatchedCopyINS1_10OpaqueTypeILj2EEEjLi1ELi64ELi64EEEvPT_NS1_25CatArrInputTensorMetadataIS5_T0_XT2_EXT3_EEENS1_16TensorSizeStrideIS8_Lj4EEEiS8_.has_indirect_call, 0
	.section	.AMDGPU.csdata,"",@progbits
; Kernel info:
; codeLenInByte = 424
; TotalNumSgprs: 20
; NumVgprs: 7
; ScratchSize: 0
; MemoryBound: 0
; FloatMode: 240
; IeeeMode: 1
; LDSByteSize: 0 bytes/workgroup (compile time only)
; SGPRBlocks: 0
; VGPRBlocks: 0
; NumSGPRsForWavesPerEU: 20
; NumVGPRsForWavesPerEU: 7
; Occupancy: 16
; WaveLimiterHint : 1
; COMPUTE_PGM_RSRC2:SCRATCH_EN: 0
; COMPUTE_PGM_RSRC2:USER_SGPR: 6
; COMPUTE_PGM_RSRC2:TRAP_HANDLER: 0
; COMPUTE_PGM_RSRC2:TGID_X_EN: 1
; COMPUTE_PGM_RSRC2:TGID_Y_EN: 1
; COMPUTE_PGM_RSRC2:TGID_Z_EN: 0
; COMPUTE_PGM_RSRC2:TIDIG_COMP_CNT: 0
	.section	.text._ZN2at6native12_GLOBAL__N_130CatArrayBatchedCopy_vectorizedINS1_10OpaqueTypeILj2EEEjLi2ELi64ELi64ELi16ELi8EEEvPcNS1_25CatArrInputTensorMetadataIT_T0_XT2_EXT3_EEENS1_16TensorSizeStrideIS8_Lj4EEEiS8_,"axG",@progbits,_ZN2at6native12_GLOBAL__N_130CatArrayBatchedCopy_vectorizedINS1_10OpaqueTypeILj2EEEjLi2ELi64ELi64ELi16ELi8EEEvPcNS1_25CatArrInputTensorMetadataIT_T0_XT2_EXT3_EEENS1_16TensorSizeStrideIS8_Lj4EEEiS8_,comdat
	.globl	_ZN2at6native12_GLOBAL__N_130CatArrayBatchedCopy_vectorizedINS1_10OpaqueTypeILj2EEEjLi2ELi64ELi64ELi16ELi8EEEvPcNS1_25CatArrInputTensorMetadataIT_T0_XT2_EXT3_EEENS1_16TensorSizeStrideIS8_Lj4EEEiS8_ ; -- Begin function _ZN2at6native12_GLOBAL__N_130CatArrayBatchedCopy_vectorizedINS1_10OpaqueTypeILj2EEEjLi2ELi64ELi64ELi16ELi8EEEvPcNS1_25CatArrInputTensorMetadataIT_T0_XT2_EXT3_EEENS1_16TensorSizeStrideIS8_Lj4EEEiS8_
	.p2align	8
	.type	_ZN2at6native12_GLOBAL__N_130CatArrayBatchedCopy_vectorizedINS1_10OpaqueTypeILj2EEEjLi2ELi64ELi64ELi16ELi8EEEvPcNS1_25CatArrInputTensorMetadataIT_T0_XT2_EXT3_EEENS1_16TensorSizeStrideIS8_Lj4EEEiS8_,@function
_ZN2at6native12_GLOBAL__N_130CatArrayBatchedCopy_vectorizedINS1_10OpaqueTypeILj2EEEjLi2ELi64ELi64ELi16ELi8EEEvPcNS1_25CatArrInputTensorMetadataIT_T0_XT2_EXT3_EEENS1_16TensorSizeStrideIS8_Lj4EEEiS8_: ; @_ZN2at6native12_GLOBAL__N_130CatArrayBatchedCopy_vectorizedINS1_10OpaqueTypeILj2EEEjLi2ELi64ELi64ELi16ELi8EEEvPcNS1_25CatArrInputTensorMetadataIT_T0_XT2_EXT3_EEENS1_16TensorSizeStrideIS8_Lj4EEEiS8_
; %bb.0:
	s_mov_b32 s0, s7
	s_load_dword s7, s[4:5], 0xd7c
	s_mov_b32 s1, 0
	s_add_u32 s8, s4, 0xd70
	s_addc_u32 s9, s5, 0
	s_lshl_b64 s[2:3], s[0:1], 2
	s_waitcnt lgkmcnt(0)
	s_and_b32 s13, s7, 0xffff
	s_add_u32 s10, s4, s2
	s_addc_u32 s11, s5, s3
	v_mad_u64_u32 v[0:1], null, s6, s13, v[0:1]
	s_load_dword s12, s[10:11], 0x408
	s_add_u32 s0, s10, 8
	s_addc_u32 s7, s11, 0
	s_mov_b32 s10, exec_lo
	s_waitcnt lgkmcnt(0)
	s_lshr_b32 s6, s12, 3
	v_cmpx_gt_u32_e64 s6, v0
	s_cbranch_execz .LBB125_3
; %bb.1:
	s_add_u32 s14, s0, s2
	s_addc_u32 s15, s7, s3
	s_sub_u32 s0, 0, s2
	s_subb_u32 s3, 0, s3
	s_add_u32 s2, s14, s0
	s_addc_u32 s3, s15, s3
	s_clause 0x5
	s_load_dwordx2 s[10:11], s[4:5], 0xd68
	s_load_dword s0, s[2:3], 0x200
	s_load_dword s7, s[2:3], 0x300
	;; [unrolled: 1-line block ×3, first 2 shown]
	s_load_dwordx2 s[2:3], s[4:5], 0xd58
	s_load_dwordx2 s[4:5], s[4:5], 0x0
	s_load_dword s8, s[8:9], 0x0
	s_waitcnt lgkmcnt(0)
	s_mul_i32 s0, s0, s11
	s_mul_i32 s7, s7, s11
	s_lshr_b32 s0, s0, 3
	s_lshr_b32 s7, s7, 3
	s_lshl_b64 s[16:17], s[0:1], 4
	s_cmp_eq_u32 s10, 1
	s_mul_i32 s8, s8, s13
	s_cselect_b32 s7, s7, s12
	s_add_u32 s10, s4, s16
	v_cvt_f32_u32_e32 v1, s7
	s_addc_u32 s11, s5, s17
	s_sub_i32 s12, 0, s7
	s_load_dwordx2 s[4:5], s[14:15], 0x0
	v_rcp_iflag_f32_e32 v1, v1
	v_mul_f32_e32 v1, 0x4f7ffffe, v1
	v_cvt_u32_f32_e32 v1, v1
	v_mul_lo_u32 v2, s12, v1
	v_mul_hi_u32 v2, v1, v2
	v_add_nc_u32_e32 v2, v1, v2
	v_mov_b32_e32 v1, 0
	s_inst_prefetch 0x1
	.p2align	6
.LBB125_2:                              ; =>This Inner Loop Header: Depth=1
	v_lshlrev_b64 v[3:4], 4, v[0:1]
	v_mul_hi_u32 v9, v2, v0
	s_waitcnt lgkmcnt(0)
	v_add_co_u32 v3, vcc_lo, s4, v3
	v_add_co_ci_u32_e64 v4, null, s5, v4, vcc_lo
	v_mul_lo_u32 v10, s7, v9
	v_not_b32_e32 v7, v9
	v_add_nc_u32_e32 v11, 1, v9
	global_load_dwordx4 v[3:6], v[3:4], off
	v_mad_u64_u32 v[7:8], null, s7, v7, v[0:1]
	v_sub_nc_u32_e32 v8, v0, v10
	v_cmp_le_u32_e32 vcc_lo, s7, v8
	v_cndmask_b32_e32 v9, v9, v11, vcc_lo
	v_cndmask_b32_e32 v7, v8, v7, vcc_lo
	v_add_nc_u32_e32 v8, 1, v9
	v_cmp_le_u32_e32 vcc_lo, s7, v7
	v_cndmask_b32_e32 v9, v9, v8, vcc_lo
	v_mad_u64_u32 v[7:8], null, s12, v9, v[0:1]
	v_mul_lo_u32 v8, v9, s2
	v_add_nc_u32_e32 v0, s8, v0
	v_cmp_le_u32_e32 vcc_lo, s6, v0
	v_mad_u64_u32 v[7:8], null, v7, s3, v[8:9]
	v_mov_b32_e32 v8, v1
	s_or_b32 s1, vcc_lo, s1
	v_lshlrev_b64 v[7:8], 4, v[7:8]
	v_add_co_u32 v7, s0, s10, v7
	v_add_co_ci_u32_e64 v8, null, s11, v8, s0
	s_waitcnt vmcnt(0)
	global_store_dwordx4 v[7:8], v[3:6], off
	s_andn2_b32 exec_lo, exec_lo, s1
	s_cbranch_execnz .LBB125_2
.LBB125_3:
	s_inst_prefetch 0x2
	s_endpgm
	.section	.rodata,"a",@progbits
	.p2align	6, 0x0
	.amdhsa_kernel _ZN2at6native12_GLOBAL__N_130CatArrayBatchedCopy_vectorizedINS1_10OpaqueTypeILj2EEEjLi2ELi64ELi64ELi16ELi8EEEvPcNS1_25CatArrInputTensorMetadataIT_T0_XT2_EXT3_EEENS1_16TensorSizeStrideIS8_Lj4EEEiS8_
		.amdhsa_group_segment_fixed_size 0
		.amdhsa_private_segment_fixed_size 0
		.amdhsa_kernarg_size 3696
		.amdhsa_user_sgpr_count 6
		.amdhsa_user_sgpr_private_segment_buffer 1
		.amdhsa_user_sgpr_dispatch_ptr 0
		.amdhsa_user_sgpr_queue_ptr 0
		.amdhsa_user_sgpr_kernarg_segment_ptr 1
		.amdhsa_user_sgpr_dispatch_id 0
		.amdhsa_user_sgpr_flat_scratch_init 0
		.amdhsa_user_sgpr_private_segment_size 0
		.amdhsa_wavefront_size32 1
		.amdhsa_uses_dynamic_stack 0
		.amdhsa_system_sgpr_private_segment_wavefront_offset 0
		.amdhsa_system_sgpr_workgroup_id_x 1
		.amdhsa_system_sgpr_workgroup_id_y 1
		.amdhsa_system_sgpr_workgroup_id_z 0
		.amdhsa_system_sgpr_workgroup_info 0
		.amdhsa_system_vgpr_workitem_id 0
		.amdhsa_next_free_vgpr 12
		.amdhsa_next_free_sgpr 18
		.amdhsa_reserve_vcc 1
		.amdhsa_reserve_flat_scratch 0
		.amdhsa_float_round_mode_32 0
		.amdhsa_float_round_mode_16_64 0
		.amdhsa_float_denorm_mode_32 3
		.amdhsa_float_denorm_mode_16_64 3
		.amdhsa_dx10_clamp 1
		.amdhsa_ieee_mode 1
		.amdhsa_fp16_overflow 0
		.amdhsa_workgroup_processor_mode 1
		.amdhsa_memory_ordered 1
		.amdhsa_forward_progress 1
		.amdhsa_shared_vgpr_count 0
		.amdhsa_exception_fp_ieee_invalid_op 0
		.amdhsa_exception_fp_denorm_src 0
		.amdhsa_exception_fp_ieee_div_zero 0
		.amdhsa_exception_fp_ieee_overflow 0
		.amdhsa_exception_fp_ieee_underflow 0
		.amdhsa_exception_fp_ieee_inexact 0
		.amdhsa_exception_int_div_zero 0
	.end_amdhsa_kernel
	.section	.text._ZN2at6native12_GLOBAL__N_130CatArrayBatchedCopy_vectorizedINS1_10OpaqueTypeILj2EEEjLi2ELi64ELi64ELi16ELi8EEEvPcNS1_25CatArrInputTensorMetadataIT_T0_XT2_EXT3_EEENS1_16TensorSizeStrideIS8_Lj4EEEiS8_,"axG",@progbits,_ZN2at6native12_GLOBAL__N_130CatArrayBatchedCopy_vectorizedINS1_10OpaqueTypeILj2EEEjLi2ELi64ELi64ELi16ELi8EEEvPcNS1_25CatArrInputTensorMetadataIT_T0_XT2_EXT3_EEENS1_16TensorSizeStrideIS8_Lj4EEEiS8_,comdat
.Lfunc_end125:
	.size	_ZN2at6native12_GLOBAL__N_130CatArrayBatchedCopy_vectorizedINS1_10OpaqueTypeILj2EEEjLi2ELi64ELi64ELi16ELi8EEEvPcNS1_25CatArrInputTensorMetadataIT_T0_XT2_EXT3_EEENS1_16TensorSizeStrideIS8_Lj4EEEiS8_, .Lfunc_end125-_ZN2at6native12_GLOBAL__N_130CatArrayBatchedCopy_vectorizedINS1_10OpaqueTypeILj2EEEjLi2ELi64ELi64ELi16ELi8EEEvPcNS1_25CatArrInputTensorMetadataIT_T0_XT2_EXT3_EEENS1_16TensorSizeStrideIS8_Lj4EEEiS8_
                                        ; -- End function
	.set _ZN2at6native12_GLOBAL__N_130CatArrayBatchedCopy_vectorizedINS1_10OpaqueTypeILj2EEEjLi2ELi64ELi64ELi16ELi8EEEvPcNS1_25CatArrInputTensorMetadataIT_T0_XT2_EXT3_EEENS1_16TensorSizeStrideIS8_Lj4EEEiS8_.num_vgpr, 12
	.set _ZN2at6native12_GLOBAL__N_130CatArrayBatchedCopy_vectorizedINS1_10OpaqueTypeILj2EEEjLi2ELi64ELi64ELi16ELi8EEEvPcNS1_25CatArrInputTensorMetadataIT_T0_XT2_EXT3_EEENS1_16TensorSizeStrideIS8_Lj4EEEiS8_.num_agpr, 0
	.set _ZN2at6native12_GLOBAL__N_130CatArrayBatchedCopy_vectorizedINS1_10OpaqueTypeILj2EEEjLi2ELi64ELi64ELi16ELi8EEEvPcNS1_25CatArrInputTensorMetadataIT_T0_XT2_EXT3_EEENS1_16TensorSizeStrideIS8_Lj4EEEiS8_.numbered_sgpr, 18
	.set _ZN2at6native12_GLOBAL__N_130CatArrayBatchedCopy_vectorizedINS1_10OpaqueTypeILj2EEEjLi2ELi64ELi64ELi16ELi8EEEvPcNS1_25CatArrInputTensorMetadataIT_T0_XT2_EXT3_EEENS1_16TensorSizeStrideIS8_Lj4EEEiS8_.num_named_barrier, 0
	.set _ZN2at6native12_GLOBAL__N_130CatArrayBatchedCopy_vectorizedINS1_10OpaqueTypeILj2EEEjLi2ELi64ELi64ELi16ELi8EEEvPcNS1_25CatArrInputTensorMetadataIT_T0_XT2_EXT3_EEENS1_16TensorSizeStrideIS8_Lj4EEEiS8_.private_seg_size, 0
	.set _ZN2at6native12_GLOBAL__N_130CatArrayBatchedCopy_vectorizedINS1_10OpaqueTypeILj2EEEjLi2ELi64ELi64ELi16ELi8EEEvPcNS1_25CatArrInputTensorMetadataIT_T0_XT2_EXT3_EEENS1_16TensorSizeStrideIS8_Lj4EEEiS8_.uses_vcc, 1
	.set _ZN2at6native12_GLOBAL__N_130CatArrayBatchedCopy_vectorizedINS1_10OpaqueTypeILj2EEEjLi2ELi64ELi64ELi16ELi8EEEvPcNS1_25CatArrInputTensorMetadataIT_T0_XT2_EXT3_EEENS1_16TensorSizeStrideIS8_Lj4EEEiS8_.uses_flat_scratch, 0
	.set _ZN2at6native12_GLOBAL__N_130CatArrayBatchedCopy_vectorizedINS1_10OpaqueTypeILj2EEEjLi2ELi64ELi64ELi16ELi8EEEvPcNS1_25CatArrInputTensorMetadataIT_T0_XT2_EXT3_EEENS1_16TensorSizeStrideIS8_Lj4EEEiS8_.has_dyn_sized_stack, 0
	.set _ZN2at6native12_GLOBAL__N_130CatArrayBatchedCopy_vectorizedINS1_10OpaqueTypeILj2EEEjLi2ELi64ELi64ELi16ELi8EEEvPcNS1_25CatArrInputTensorMetadataIT_T0_XT2_EXT3_EEENS1_16TensorSizeStrideIS8_Lj4EEEiS8_.has_recursion, 0
	.set _ZN2at6native12_GLOBAL__N_130CatArrayBatchedCopy_vectorizedINS1_10OpaqueTypeILj2EEEjLi2ELi64ELi64ELi16ELi8EEEvPcNS1_25CatArrInputTensorMetadataIT_T0_XT2_EXT3_EEENS1_16TensorSizeStrideIS8_Lj4EEEiS8_.has_indirect_call, 0
	.section	.AMDGPU.csdata,"",@progbits
; Kernel info:
; codeLenInByte = 508
; TotalNumSgprs: 20
; NumVgprs: 12
; ScratchSize: 0
; MemoryBound: 0
; FloatMode: 240
; IeeeMode: 1
; LDSByteSize: 0 bytes/workgroup (compile time only)
; SGPRBlocks: 0
; VGPRBlocks: 1
; NumSGPRsForWavesPerEU: 20
; NumVGPRsForWavesPerEU: 12
; Occupancy: 16
; WaveLimiterHint : 1
; COMPUTE_PGM_RSRC2:SCRATCH_EN: 0
; COMPUTE_PGM_RSRC2:USER_SGPR: 6
; COMPUTE_PGM_RSRC2:TRAP_HANDLER: 0
; COMPUTE_PGM_RSRC2:TGID_X_EN: 1
; COMPUTE_PGM_RSRC2:TGID_Y_EN: 1
; COMPUTE_PGM_RSRC2:TGID_Z_EN: 0
; COMPUTE_PGM_RSRC2:TIDIG_COMP_CNT: 0
	.section	.text._ZN2at6native12_GLOBAL__N_135CatArrayBatchedCopy_alignedK_contigINS1_10OpaqueTypeILj2EEEjLi2ELi64ELi64ELi16EEEvPT_NS1_25CatArrInputTensorMetadataIS5_T0_XT2_EXT3_EEENS1_16TensorSizeStrideIS8_Lj4EEEiS8_,"axG",@progbits,_ZN2at6native12_GLOBAL__N_135CatArrayBatchedCopy_alignedK_contigINS1_10OpaqueTypeILj2EEEjLi2ELi64ELi64ELi16EEEvPT_NS1_25CatArrInputTensorMetadataIS5_T0_XT2_EXT3_EEENS1_16TensorSizeStrideIS8_Lj4EEEiS8_,comdat
	.globl	_ZN2at6native12_GLOBAL__N_135CatArrayBatchedCopy_alignedK_contigINS1_10OpaqueTypeILj2EEEjLi2ELi64ELi64ELi16EEEvPT_NS1_25CatArrInputTensorMetadataIS5_T0_XT2_EXT3_EEENS1_16TensorSizeStrideIS8_Lj4EEEiS8_ ; -- Begin function _ZN2at6native12_GLOBAL__N_135CatArrayBatchedCopy_alignedK_contigINS1_10OpaqueTypeILj2EEEjLi2ELi64ELi64ELi16EEEvPT_NS1_25CatArrInputTensorMetadataIS5_T0_XT2_EXT3_EEENS1_16TensorSizeStrideIS8_Lj4EEEiS8_
	.p2align	8
	.type	_ZN2at6native12_GLOBAL__N_135CatArrayBatchedCopy_alignedK_contigINS1_10OpaqueTypeILj2EEEjLi2ELi64ELi64ELi16EEEvPT_NS1_25CatArrInputTensorMetadataIS5_T0_XT2_EXT3_EEENS1_16TensorSizeStrideIS8_Lj4EEEiS8_,@function
_ZN2at6native12_GLOBAL__N_135CatArrayBatchedCopy_alignedK_contigINS1_10OpaqueTypeILj2EEEjLi2ELi64ELi64ELi16EEEvPT_NS1_25CatArrInputTensorMetadataIS5_T0_XT2_EXT3_EEENS1_16TensorSizeStrideIS8_Lj4EEEiS8_: ; @_ZN2at6native12_GLOBAL__N_135CatArrayBatchedCopy_alignedK_contigINS1_10OpaqueTypeILj2EEEjLi2ELi64ELi64ELi16EEEvPT_NS1_25CatArrInputTensorMetadataIS5_T0_XT2_EXT3_EEENS1_16TensorSizeStrideIS8_Lj4EEEiS8_
; %bb.0:
	s_mov_b32 s2, s7
	s_load_dword s7, s[4:5], 0xd7c
	s_mov_b32 s3, 0
	s_add_u32 s0, s4, 0xd70
	s_addc_u32 s1, s5, 0
	s_lshl_b64 s[2:3], s[2:3], 2
	s_waitcnt lgkmcnt(0)
	s_and_b32 s14, s7, 0xffff
	s_add_u32 s8, s4, s2
	s_addc_u32 s9, s5, s3
	s_mul_i32 s6, s6, s14
	s_load_dword s15, s[8:9], 0x408
	v_add_lshl_u32 v0, s6, v0, 3
	s_add_u32 s6, s8, 8
	s_addc_u32 s7, s9, 0
	s_mov_b32 s8, exec_lo
	s_waitcnt lgkmcnt(0)
	v_cmpx_gt_u32_e64 s15, v0
	s_cbranch_execz .LBB126_8
; %bb.1:
	s_add_u32 s10, s6, s2
	s_addc_u32 s11, s7, s3
	s_sub_u32 s2, 0, s2
	s_subb_u32 s3, 0, s3
	s_add_u32 s2, s10, s2
	s_addc_u32 s3, s11, s3
	s_clause 0x6
	s_load_dwordx2 s[6:7], s[4:5], 0x0
	s_load_dwordx2 s[12:13], s[4:5], 0xd68
	s_load_dword s16, s[4:5], 0xd4c
	s_load_dwordx2 s[8:9], s[4:5], 0xd58
	s_load_dword s4, s[2:3], 0x200
	;; [unrolled: 2-line block ×3, first 2 shown]
	v_add_nc_u32_e32 v1, 8, v0
	s_mov_b32 s18, exec_lo
	s_waitcnt lgkmcnt(0)
	s_mul_i32 s13, s4, s13
	v_cmpx_ge_u32_e64 s15, v1
	s_cbranch_execz .LBB126_5
; %bb.2:
	s_load_dword s0, s[0:1], 0x0
	v_add_nc_u32_e32 v2, 7, v0
	v_add_nc_u32_e32 v3, 6, v0
	;; [unrolled: 1-line block ×6, first 2 shown]
	s_mov_b32 s22, 0
	s_waitcnt lgkmcnt(0)
	s_mul_i32 s0, s0, s14
	s_mov_b32 s14, s9
	s_lshl_b32 s19, s0, 3
	s_cmp_eq_u32 s12, 1
	s_cselect_b32 s20, s17, s16
	v_cvt_f32_u32_e32 v1, s20
	s_sub_i32 s21, 0, s20
	v_rcp_iflag_f32_e32 v1, v1
	v_mul_f32_e32 v1, 0x4f7ffffe, v1
	v_cvt_u32_f32_e32 v8, v1
	v_mul_lo_u32 v1, s21, v8
	v_mul_hi_u32 v9, v8, v1
	v_mov_b32_e32 v1, 0
	v_add_nc_u32_e32 v8, v8, v9
	v_add_nc_u32_e32 v9, 1, v0
.LBB126_3:                              ; =>This Inner Loop Header: Depth=1
	v_lshlrev_b64 v[10:11], 1, v[0:1]
	v_mul_hi_u32 v22, v8, v0
	v_mul_hi_u32 v38, v8, v9
	v_add_nc_u32_e32 v14, 1, v0
	v_add_nc_u32_e32 v15, 2, v0
	v_mul_hi_u32 v37, v8, v7
	v_add_co_u32 v10, vcc_lo, s10, v10
	v_add_co_ci_u32_e64 v11, null, s11, v11, vcc_lo
	v_mad_u64_u32 v[34:35], null, s21, v22, v[0:1]
	v_add_nc_u32_e32 v35, 1, v22
	global_load_dwordx4 v[10:13], v[10:11], off
	v_not_b32_e32 v36, v22
	v_add_nc_u32_e32 v16, 3, v0
	v_mul_hi_u32 v39, v14, v8
	v_mul_hi_u32 v40, v15, v8
	v_cmp_le_u32_e32 vcc_lo, s20, v34
	v_mul_hi_u32 v32, v8, v6
	v_add_nc_u32_e32 v17, 4, v0
	v_mul_hi_u32 v30, v8, v5
	v_add_nc_u32_e32 v18, 5, v0
	v_cndmask_b32_e32 v22, v22, v35, vcc_lo
	v_mad_u64_u32 v[35:36], null, s20, v36, v[0:1]
	v_not_b32_e32 v36, v38
	v_mul_hi_u32 v41, v16, v8
	v_mul_hi_u32 v42, v17, v8
	v_mul_hi_u32 v28, v8, v4
	v_add_nc_u32_e32 v19, 6, v0
	v_mul_hi_u32 v26, v8, v3
	v_cndmask_b32_e32 v45, v34, v35, vcc_lo
	v_mad_u64_u32 v[34:35], null, s21, v38, v[14:15]
	v_mad_u64_u32 v[35:36], null, s20, v36, v[14:15]
	v_add_nc_u32_e32 v14, 1, v39
	v_add_nc_u32_e32 v36, 1, v40
	;; [unrolled: 1-line block ×3, first 2 shown]
	v_mul_hi_u32 v43, v18, v8
	v_cmp_le_u32_e32 vcc_lo, s20, v34
	v_mul_hi_u32 v44, v19, v8
	v_mul_hi_u32 v24, v8, v2
	v_mov_b32_e32 v21, v1
	v_mul_hi_u32 v46, v20, v8
	v_cndmask_b32_e32 v38, v34, v35, vcc_lo
	v_mad_u64_u32 v[34:35], null, s21, v37, v[15:16]
	v_cndmask_b32_e32 v14, v39, v14, vcc_lo
	v_not_b32_e32 v35, v37
	v_not_b32_e32 v39, v32
	v_cmp_le_u32_e64 s5, s20, v38
	v_mov_b32_e32 v23, v1
	v_mov_b32_e32 v25, v1
	v_cmp_le_u32_e32 vcc_lo, s20, v34
	v_mov_b32_e32 v27, v1
	v_mov_b32_e32 v29, v1
	;; [unrolled: 1-line block ×4, first 2 shown]
	v_cndmask_b32_e32 v37, v40, v36, vcc_lo
	v_mad_u64_u32 v[35:36], null, s20, v35, v[15:16]
	v_add_nc_u32_e32 v2, s19, v2
	v_add_nc_u32_e32 v3, s19, v3
	;; [unrolled: 1-line block ×6, first 2 shown]
	v_cndmask_b32_e32 v40, v34, v35, vcc_lo
	v_mad_u64_u32 v[34:35], null, s21, v32, v[16:17]
	v_mad_u64_u32 v[35:36], null, s20, v39, v[16:17]
	v_add_nc_u32_e32 v32, 1, v41
	v_add_nc_u32_e32 v9, s19, v9
	v_cmp_le_u32_e32 vcc_lo, s20, v34
	v_cndmask_b32_e32 v39, v34, v35, vcc_lo
	v_mad_u64_u32 v[34:35], null, s21, v30, v[17:18]
	v_cndmask_b32_e32 v32, v41, v32, vcc_lo
	v_not_b32_e32 v30, v30
	v_add_nc_u32_e32 v35, 1, v42
	v_not_b32_e32 v41, v28
	v_cmp_le_u32_e64 s0, s20, v39
	v_cmp_le_u32_e32 vcc_lo, s20, v34
	v_cndmask_b32_e32 v42, v42, v35, vcc_lo
	v_mad_u64_u32 v[35:36], null, s20, v30, v[17:18]
	v_cndmask_b32_e32 v30, v34, v35, vcc_lo
	v_mad_u64_u32 v[34:35], null, s21, v28, v[18:19]
	v_mad_u64_u32 v[35:36], null, s20, v41, v[18:19]
	v_add_nc_u32_e32 v28, 1, v43
	v_cmp_le_u32_e64 s1, s20, v30
	v_cmp_le_u32_e32 vcc_lo, s20, v34
	v_cndmask_b32_e32 v41, v34, v35, vcc_lo
	v_mad_u64_u32 v[34:35], null, s21, v26, v[19:20]
	v_cndmask_b32_e32 v28, v43, v28, vcc_lo
	v_not_b32_e32 v26, v26
	v_add_nc_u32_e32 v35, 1, v44
	v_not_b32_e32 v43, v24
	v_cmp_le_u32_e64 s2, s20, v41
	v_add_nc_u32_e32 v39, 1, v28
	v_cmp_le_u32_e32 vcc_lo, s20, v34
	v_cndmask_b32_e64 v28, v28, v39, s2
	v_cndmask_b32_e32 v44, v44, v35, vcc_lo
	v_mad_u64_u32 v[35:36], null, s20, v26, v[19:20]
	v_mul_lo_u32 v39, v28, s8
	v_add_nc_u32_e32 v30, 1, v44
	v_cndmask_b32_e32 v26, v34, v35, vcc_lo
	v_mad_u64_u32 v[34:35], null, s21, v24, v[20:21]
	v_mad_u64_u32 v[35:36], null, s20, v43, v[20:21]
	v_add_nc_u32_e32 v24, 1, v46
	v_add_nc_u32_e32 v36, 1, v22
	;; [unrolled: 1-line block ×3, first 2 shown]
	v_cmp_le_u32_e64 s3, s20, v26
	v_cmp_le_u32_e32 vcc_lo, s20, v34
	v_cndmask_b32_e64 v14, v14, v43, s5
	v_cndmask_b32_e64 v30, v44, v30, s3
	v_cndmask_b32_e32 v24, v46, v24, vcc_lo
	v_cndmask_b32_e32 v34, v34, v35, vcc_lo
	v_cmp_le_u32_e32 vcc_lo, s20, v45
	v_add_nc_u32_e32 v45, 1, v37
	v_mov_b32_e32 v35, v1
	v_add_nc_u32_e32 v41, 1, v24
	v_cmp_le_u32_e64 s4, s20, v34
	v_cndmask_b32_e32 v22, v22, v36, vcc_lo
	v_cmp_le_u32_e32 vcc_lo, s20, v40
	v_add_nc_u32_e32 v36, 1, v32
	v_add_nc_u32_e32 v40, 1, v42
	v_cndmask_b32_e64 v24, v24, v41, s4
	v_cndmask_b32_e32 v26, v37, v45, vcc_lo
	v_cndmask_b32_e64 v32, v32, v36, s0
	v_cndmask_b32_e64 v34, v42, v40, s1
	v_mad_u64_u32 v[36:37], null, s21, v22, v[0:1]
	v_mad_u64_u32 v[37:38], null, s21, v14, v[0:1]
	v_mul_lo_u32 v38, v14, s8
	v_mad_u64_u32 v[14:15], null, s21, v26, v[15:16]
	v_mad_u64_u32 v[15:16], null, s21, v32, v[16:17]
	;; [unrolled: 1-line block ×4, first 2 shown]
	v_add_nc_u32_e32 v0, s19, v0
	v_mad_u64_u32 v[18:19], null, s21, v30, v[19:20]
	v_mul_lo_u32 v22, v22, s8
	v_mad_u64_u32 v[19:20], null, s21, v24, v[20:21]
	v_mul_lo_u32 v41, v24, s8
	v_mul_lo_u32 v24, v36, s9
	v_mad_u64_u32 v[36:37], null, s9, v37, s[14:15]
	v_add_nc_u32_e32 v20, 8, v0
	v_mul_lo_u32 v26, v26, s8
	v_mul_lo_u32 v14, v14, s9
	;; [unrolled: 1-line block ×7, first 2 shown]
	v_cmp_lt_u32_e32 vcc_lo, s15, v20
	v_add3_u32 v20, v24, v22, s13
	v_mul_lo_u32 v40, v30, s8
	v_mul_lo_u32 v18, v18, s9
	v_mul_lo_u32 v19, v19, s9
	v_add3_u32 v22, v36, v38, s13
	v_add3_u32 v24, v14, v26, s13
	;; [unrolled: 1-line block ×3, first 2 shown]
	v_lshlrev_b64 v[14:15], 1, v[20:21]
	v_add3_u32 v28, v16, v34, s13
	v_add3_u32 v30, v17, v39, s13
	v_lshlrev_b64 v[16:17], 1, v[22:23]
	v_add3_u32 v32, v18, v40, s13
	v_add3_u32 v34, v19, v41, s13
	v_lshlrev_b64 v[18:19], 1, v[24:25]
	s_or_b32 s22, vcc_lo, s22
	v_lshlrev_b64 v[20:21], 1, v[26:27]
	v_add_co_u32 v14, vcc_lo, s6, v14
	v_lshlrev_b64 v[22:23], 1, v[28:29]
	v_add_co_ci_u32_e64 v15, null, s7, v15, vcc_lo
	v_add_co_u32 v16, vcc_lo, s6, v16
	v_lshlrev_b64 v[24:25], 1, v[30:31]
	v_add_co_ci_u32_e64 v17, null, s7, v17, vcc_lo
	;; [unrolled: 3-line block ×4, first 2 shown]
	v_add_co_u32 v22, vcc_lo, s6, v22
	v_add_co_ci_u32_e64 v23, null, s7, v23, vcc_lo
	v_add_co_u32 v24, vcc_lo, s6, v24
	v_add_co_ci_u32_e64 v25, null, s7, v25, vcc_lo
	;; [unrolled: 2-line block ×4, first 2 shown]
	s_waitcnt vmcnt(0)
	global_store_short v[14:15], v10, off
	global_store_short_d16_hi v[16:17], v10, off
	global_store_short v[18:19], v11, off
	global_store_short_d16_hi v[20:21], v11, off
	;; [unrolled: 2-line block ×4, first 2 shown]
	s_andn2_b32 exec_lo, exec_lo, s22
	s_cbranch_execnz .LBB126_3
; %bb.4:
	s_or_b32 exec_lo, exec_lo, s22
.LBB126_5:
	s_or_b32 exec_lo, exec_lo, s18
	v_cmp_gt_u32_e32 vcc_lo, s15, v0
	s_and_b32 exec_lo, exec_lo, vcc_lo
	s_cbranch_execz .LBB126_8
; %bb.6:
	s_cmp_eq_u32 s12, 1
	v_mov_b32_e32 v2, 0
	s_cselect_b32 s2, s17, s16
	s_mov_b32 s4, 0
	v_cvt_f32_u32_e32 v1, s2
	s_sub_i32 s3, 0, s2
	v_rcp_iflag_f32_e32 v1, v1
	v_mul_f32_e32 v1, 0x4f7ffffe, v1
	v_cvt_u32_f32_e32 v3, v1
	v_mul_lo_u32 v1, s3, v3
	v_mul_hi_u32 v4, v3, v1
	v_mov_b32_e32 v1, v2
	v_lshlrev_b64 v[5:6], 1, v[0:1]
	v_add_nc_u32_e32 v7, v3, v4
	v_add_co_u32 v5, vcc_lo, s10, v5
	v_mad_u64_u32 v[3:4], null, v0, v7, 0
	v_add_co_ci_u32_e64 v6, null, s11, v6, vcc_lo
	s_inst_prefetch 0x1
	.p2align	6
.LBB126_7:                              ; =>This Inner Loop Header: Depth=1
	global_load_ushort v10, v[5:6], off
	v_mul_lo_u32 v1, s2, v4
	v_not_b32_e32 v8, v4
	v_add_nc_u32_e32 v11, 1, v4
	v_add_co_u32 v5, s0, v5, 2
	v_add_co_ci_u32_e64 v6, null, 0, v6, s0
	v_mad_u64_u32 v[8:9], null, s2, v8, v[0:1]
	v_sub_nc_u32_e32 v1, v0, v1
	v_cmp_le_u32_e32 vcc_lo, s2, v1
	v_cndmask_b32_e32 v9, v4, v11, vcc_lo
	v_cndmask_b32_e32 v1, v1, v8, vcc_lo
	v_add_nc_u32_e32 v8, 1, v9
	v_cmp_le_u32_e32 vcc_lo, s2, v1
	v_cndmask_b32_e32 v1, v9, v8, vcc_lo
	v_add_co_u32 v3, vcc_lo, v3, v7
	v_add_co_ci_u32_e64 v4, null, 0, v4, vcc_lo
	v_mad_u64_u32 v[8:9], null, s3, v1, v[0:1]
	v_mul_lo_u32 v1, v1, s8
	v_add_nc_u32_e32 v0, 1, v0
	v_mul_lo_u32 v8, v8, s9
	v_cmp_le_u32_e64 s0, s15, v0
	s_or_b32 s4, s0, s4
	v_add3_u32 v1, v8, v1, s13
	v_lshlrev_b64 v[8:9], 1, v[1:2]
	v_add_co_u32 v8, s1, s6, v8
	v_add_co_ci_u32_e64 v9, null, s7, v9, s1
	s_waitcnt vmcnt(0)
	global_store_short v[8:9], v10, off
	s_andn2_b32 exec_lo, exec_lo, s4
	s_cbranch_execnz .LBB126_7
.LBB126_8:
	s_inst_prefetch 0x2
	s_endpgm
	.section	.rodata,"a",@progbits
	.p2align	6, 0x0
	.amdhsa_kernel _ZN2at6native12_GLOBAL__N_135CatArrayBatchedCopy_alignedK_contigINS1_10OpaqueTypeILj2EEEjLi2ELi64ELi64ELi16EEEvPT_NS1_25CatArrInputTensorMetadataIS5_T0_XT2_EXT3_EEENS1_16TensorSizeStrideIS8_Lj4EEEiS8_
		.amdhsa_group_segment_fixed_size 0
		.amdhsa_private_segment_fixed_size 0
		.amdhsa_kernarg_size 3696
		.amdhsa_user_sgpr_count 6
		.amdhsa_user_sgpr_private_segment_buffer 1
		.amdhsa_user_sgpr_dispatch_ptr 0
		.amdhsa_user_sgpr_queue_ptr 0
		.amdhsa_user_sgpr_kernarg_segment_ptr 1
		.amdhsa_user_sgpr_dispatch_id 0
		.amdhsa_user_sgpr_flat_scratch_init 0
		.amdhsa_user_sgpr_private_segment_size 0
		.amdhsa_wavefront_size32 1
		.amdhsa_uses_dynamic_stack 0
		.amdhsa_system_sgpr_private_segment_wavefront_offset 0
		.amdhsa_system_sgpr_workgroup_id_x 1
		.amdhsa_system_sgpr_workgroup_id_y 1
		.amdhsa_system_sgpr_workgroup_id_z 0
		.amdhsa_system_sgpr_workgroup_info 0
		.amdhsa_system_vgpr_workitem_id 0
		.amdhsa_next_free_vgpr 47
		.amdhsa_next_free_sgpr 23
		.amdhsa_reserve_vcc 1
		.amdhsa_reserve_flat_scratch 0
		.amdhsa_float_round_mode_32 0
		.amdhsa_float_round_mode_16_64 0
		.amdhsa_float_denorm_mode_32 3
		.amdhsa_float_denorm_mode_16_64 3
		.amdhsa_dx10_clamp 1
		.amdhsa_ieee_mode 1
		.amdhsa_fp16_overflow 0
		.amdhsa_workgroup_processor_mode 1
		.amdhsa_memory_ordered 1
		.amdhsa_forward_progress 1
		.amdhsa_shared_vgpr_count 0
		.amdhsa_exception_fp_ieee_invalid_op 0
		.amdhsa_exception_fp_denorm_src 0
		.amdhsa_exception_fp_ieee_div_zero 0
		.amdhsa_exception_fp_ieee_overflow 0
		.amdhsa_exception_fp_ieee_underflow 0
		.amdhsa_exception_fp_ieee_inexact 0
		.amdhsa_exception_int_div_zero 0
	.end_amdhsa_kernel
	.section	.text._ZN2at6native12_GLOBAL__N_135CatArrayBatchedCopy_alignedK_contigINS1_10OpaqueTypeILj2EEEjLi2ELi64ELi64ELi16EEEvPT_NS1_25CatArrInputTensorMetadataIS5_T0_XT2_EXT3_EEENS1_16TensorSizeStrideIS8_Lj4EEEiS8_,"axG",@progbits,_ZN2at6native12_GLOBAL__N_135CatArrayBatchedCopy_alignedK_contigINS1_10OpaqueTypeILj2EEEjLi2ELi64ELi64ELi16EEEvPT_NS1_25CatArrInputTensorMetadataIS5_T0_XT2_EXT3_EEENS1_16TensorSizeStrideIS8_Lj4EEEiS8_,comdat
.Lfunc_end126:
	.size	_ZN2at6native12_GLOBAL__N_135CatArrayBatchedCopy_alignedK_contigINS1_10OpaqueTypeILj2EEEjLi2ELi64ELi64ELi16EEEvPT_NS1_25CatArrInputTensorMetadataIS5_T0_XT2_EXT3_EEENS1_16TensorSizeStrideIS8_Lj4EEEiS8_, .Lfunc_end126-_ZN2at6native12_GLOBAL__N_135CatArrayBatchedCopy_alignedK_contigINS1_10OpaqueTypeILj2EEEjLi2ELi64ELi64ELi16EEEvPT_NS1_25CatArrInputTensorMetadataIS5_T0_XT2_EXT3_EEENS1_16TensorSizeStrideIS8_Lj4EEEiS8_
                                        ; -- End function
	.set _ZN2at6native12_GLOBAL__N_135CatArrayBatchedCopy_alignedK_contigINS1_10OpaqueTypeILj2EEEjLi2ELi64ELi64ELi16EEEvPT_NS1_25CatArrInputTensorMetadataIS5_T0_XT2_EXT3_EEENS1_16TensorSizeStrideIS8_Lj4EEEiS8_.num_vgpr, 47
	.set _ZN2at6native12_GLOBAL__N_135CatArrayBatchedCopy_alignedK_contigINS1_10OpaqueTypeILj2EEEjLi2ELi64ELi64ELi16EEEvPT_NS1_25CatArrInputTensorMetadataIS5_T0_XT2_EXT3_EEENS1_16TensorSizeStrideIS8_Lj4EEEiS8_.num_agpr, 0
	.set _ZN2at6native12_GLOBAL__N_135CatArrayBatchedCopy_alignedK_contigINS1_10OpaqueTypeILj2EEEjLi2ELi64ELi64ELi16EEEvPT_NS1_25CatArrInputTensorMetadataIS5_T0_XT2_EXT3_EEENS1_16TensorSizeStrideIS8_Lj4EEEiS8_.numbered_sgpr, 23
	.set _ZN2at6native12_GLOBAL__N_135CatArrayBatchedCopy_alignedK_contigINS1_10OpaqueTypeILj2EEEjLi2ELi64ELi64ELi16EEEvPT_NS1_25CatArrInputTensorMetadataIS5_T0_XT2_EXT3_EEENS1_16TensorSizeStrideIS8_Lj4EEEiS8_.num_named_barrier, 0
	.set _ZN2at6native12_GLOBAL__N_135CatArrayBatchedCopy_alignedK_contigINS1_10OpaqueTypeILj2EEEjLi2ELi64ELi64ELi16EEEvPT_NS1_25CatArrInputTensorMetadataIS5_T0_XT2_EXT3_EEENS1_16TensorSizeStrideIS8_Lj4EEEiS8_.private_seg_size, 0
	.set _ZN2at6native12_GLOBAL__N_135CatArrayBatchedCopy_alignedK_contigINS1_10OpaqueTypeILj2EEEjLi2ELi64ELi64ELi16EEEvPT_NS1_25CatArrInputTensorMetadataIS5_T0_XT2_EXT3_EEENS1_16TensorSizeStrideIS8_Lj4EEEiS8_.uses_vcc, 1
	.set _ZN2at6native12_GLOBAL__N_135CatArrayBatchedCopy_alignedK_contigINS1_10OpaqueTypeILj2EEEjLi2ELi64ELi64ELi16EEEvPT_NS1_25CatArrInputTensorMetadataIS5_T0_XT2_EXT3_EEENS1_16TensorSizeStrideIS8_Lj4EEEiS8_.uses_flat_scratch, 0
	.set _ZN2at6native12_GLOBAL__N_135CatArrayBatchedCopy_alignedK_contigINS1_10OpaqueTypeILj2EEEjLi2ELi64ELi64ELi16EEEvPT_NS1_25CatArrInputTensorMetadataIS5_T0_XT2_EXT3_EEENS1_16TensorSizeStrideIS8_Lj4EEEiS8_.has_dyn_sized_stack, 0
	.set _ZN2at6native12_GLOBAL__N_135CatArrayBatchedCopy_alignedK_contigINS1_10OpaqueTypeILj2EEEjLi2ELi64ELi64ELi16EEEvPT_NS1_25CatArrInputTensorMetadataIS5_T0_XT2_EXT3_EEENS1_16TensorSizeStrideIS8_Lj4EEEiS8_.has_recursion, 0
	.set _ZN2at6native12_GLOBAL__N_135CatArrayBatchedCopy_alignedK_contigINS1_10OpaqueTypeILj2EEEjLi2ELi64ELi64ELi16EEEvPT_NS1_25CatArrInputTensorMetadataIS5_T0_XT2_EXT3_EEENS1_16TensorSizeStrideIS8_Lj4EEEiS8_.has_indirect_call, 0
	.section	.AMDGPU.csdata,"",@progbits
; Kernel info:
; codeLenInByte = 1856
; TotalNumSgprs: 25
; NumVgprs: 47
; ScratchSize: 0
; MemoryBound: 0
; FloatMode: 240
; IeeeMode: 1
; LDSByteSize: 0 bytes/workgroup (compile time only)
; SGPRBlocks: 0
; VGPRBlocks: 5
; NumSGPRsForWavesPerEU: 25
; NumVGPRsForWavesPerEU: 47
; Occupancy: 16
; WaveLimiterHint : 1
; COMPUTE_PGM_RSRC2:SCRATCH_EN: 0
; COMPUTE_PGM_RSRC2:USER_SGPR: 6
; COMPUTE_PGM_RSRC2:TRAP_HANDLER: 0
; COMPUTE_PGM_RSRC2:TGID_X_EN: 1
; COMPUTE_PGM_RSRC2:TGID_Y_EN: 1
; COMPUTE_PGM_RSRC2:TGID_Z_EN: 0
; COMPUTE_PGM_RSRC2:TIDIG_COMP_CNT: 0
	.section	.text._ZN2at6native12_GLOBAL__N_135CatArrayBatchedCopy_alignedK_contigINS1_10OpaqueTypeILj2EEEjLi2ELi64ELi64ELi8EEEvPT_NS1_25CatArrInputTensorMetadataIS5_T0_XT2_EXT3_EEENS1_16TensorSizeStrideIS8_Lj4EEEiS8_,"axG",@progbits,_ZN2at6native12_GLOBAL__N_135CatArrayBatchedCopy_alignedK_contigINS1_10OpaqueTypeILj2EEEjLi2ELi64ELi64ELi8EEEvPT_NS1_25CatArrInputTensorMetadataIS5_T0_XT2_EXT3_EEENS1_16TensorSizeStrideIS8_Lj4EEEiS8_,comdat
	.globl	_ZN2at6native12_GLOBAL__N_135CatArrayBatchedCopy_alignedK_contigINS1_10OpaqueTypeILj2EEEjLi2ELi64ELi64ELi8EEEvPT_NS1_25CatArrInputTensorMetadataIS5_T0_XT2_EXT3_EEENS1_16TensorSizeStrideIS8_Lj4EEEiS8_ ; -- Begin function _ZN2at6native12_GLOBAL__N_135CatArrayBatchedCopy_alignedK_contigINS1_10OpaqueTypeILj2EEEjLi2ELi64ELi64ELi8EEEvPT_NS1_25CatArrInputTensorMetadataIS5_T0_XT2_EXT3_EEENS1_16TensorSizeStrideIS8_Lj4EEEiS8_
	.p2align	8
	.type	_ZN2at6native12_GLOBAL__N_135CatArrayBatchedCopy_alignedK_contigINS1_10OpaqueTypeILj2EEEjLi2ELi64ELi64ELi8EEEvPT_NS1_25CatArrInputTensorMetadataIS5_T0_XT2_EXT3_EEENS1_16TensorSizeStrideIS8_Lj4EEEiS8_,@function
_ZN2at6native12_GLOBAL__N_135CatArrayBatchedCopy_alignedK_contigINS1_10OpaqueTypeILj2EEEjLi2ELi64ELi64ELi8EEEvPT_NS1_25CatArrInputTensorMetadataIS5_T0_XT2_EXT3_EEENS1_16TensorSizeStrideIS8_Lj4EEEiS8_: ; @_ZN2at6native12_GLOBAL__N_135CatArrayBatchedCopy_alignedK_contigINS1_10OpaqueTypeILj2EEEjLi2ELi64ELi64ELi8EEEvPT_NS1_25CatArrInputTensorMetadataIS5_T0_XT2_EXT3_EEENS1_16TensorSizeStrideIS8_Lj4EEEiS8_
; %bb.0:
	s_mov_b32 s2, s7
	s_load_dword s7, s[4:5], 0xd7c
	s_mov_b32 s3, 0
	s_add_u32 s0, s4, 0xd70
	s_addc_u32 s1, s5, 0
	s_lshl_b64 s[2:3], s[2:3], 2
	s_waitcnt lgkmcnt(0)
	s_and_b32 s12, s7, 0xffff
	s_add_u32 s8, s4, s2
	s_addc_u32 s9, s5, s3
	s_mul_i32 s6, s6, s12
	s_load_dword s13, s[8:9], 0x408
	v_add_lshl_u32 v0, s6, v0, 2
	s_add_u32 s6, s8, 8
	s_addc_u32 s7, s9, 0
	s_mov_b32 s8, exec_lo
	s_waitcnt lgkmcnt(0)
	v_cmpx_gt_u32_e64 s13, v0
	s_cbranch_execz .LBB127_8
; %bb.1:
	s_add_u32 s8, s6, s2
	s_addc_u32 s9, s7, s3
	s_sub_u32 s2, 0, s2
	s_subb_u32 s3, 0, s3
	s_add_u32 s2, s8, s2
	s_addc_u32 s3, s9, s3
	s_clause 0x6
	s_load_dwordx2 s[6:7], s[4:5], 0x0
	s_load_dwordx2 s[10:11], s[4:5], 0xd68
	s_load_dword s14, s[4:5], 0xd4c
	s_load_dwordx2 s[4:5], s[4:5], 0xd58
	s_load_dword s16, s[2:3], 0x200
	;; [unrolled: 2-line block ×3, first 2 shown]
	v_add_nc_u32_e32 v1, 4, v0
	s_waitcnt lgkmcnt(0)
	s_mul_i32 s3, s16, s11
	s_mov_b32 s11, exec_lo
	v_cmpx_ge_u32_e64 s13, v1
	s_cbranch_execz .LBB127_5
; %bb.2:
	s_load_dword s0, s[0:1], 0x0
	v_add_nc_u32_e32 v2, 3, v0
	v_add_nc_u32_e32 v3, 2, v0
	s_mov_b32 s19, 0
	s_waitcnt lgkmcnt(0)
	s_mul_i32 s0, s0, s12
	s_mov_b32 s12, s5
	s_lshl_b32 s16, s0, 2
	s_cmp_eq_u32 s10, 1
	s_cselect_b32 s17, s15, s14
	v_cvt_f32_u32_e32 v1, s17
	s_sub_i32 s18, 0, s17
	v_rcp_iflag_f32_e32 v1, v1
	v_mul_f32_e32 v1, 0x4f7ffffe, v1
	v_cvt_u32_f32_e32 v4, v1
	v_mul_lo_u32 v1, s18, v4
	v_mul_hi_u32 v5, v4, v1
	v_mov_b32_e32 v1, 0
	v_add_nc_u32_e32 v4, v4, v5
	v_add_nc_u32_e32 v5, 1, v0
.LBB127_3:                              ; =>This Inner Loop Header: Depth=1
	v_lshlrev_b64 v[6:7], 1, v[0:1]
	v_mul_hi_u32 v12, v4, v0
	v_mul_hi_u32 v20, v4, v5
	;; [unrolled: 1-line block ×4, first 2 shown]
	v_add_nc_u32_e32 v8, 1, v0
	v_add_co_u32 v6, vcc_lo, s8, v6
	v_add_co_ci_u32_e64 v7, null, s9, v7, vcc_lo
	v_add_nc_u32_e32 v9, 2, v0
	v_add_nc_u32_e32 v10, 3, v0
	v_mov_b32_e32 v11, v1
	global_load_dwordx2 v[6:7], v[6:7], off
	v_not_b32_e32 v23, v12
	v_mad_u64_u32 v[18:19], null, s18, v12, v[0:1]
	v_not_b32_e32 v24, v20
	v_mad_u64_u32 v[19:20], null, s18, v20, v[8:9]
	v_mul_hi_u32 v27, v8, v4
	v_mad_u64_u32 v[20:21], null, s18, v16, v[9:10]
	v_mad_u64_u32 v[21:22], null, s18, v14, v[10:11]
	v_mul_hi_u32 v28, v9, v4
	v_not_b32_e32 v25, v16
	v_mad_u64_u32 v[22:23], null, s17, v23, v[0:1]
	v_mul_hi_u32 v29, v10, v4
	v_not_b32_e32 v26, v14
	v_add_nc_u32_e32 v30, 1, v12
	v_mad_u64_u32 v[23:24], null, s17, v24, v[8:9]
	v_cmp_le_u32_e32 vcc_lo, s17, v18
	v_mad_u64_u32 v[24:25], null, s17, v25, v[9:10]
	v_add_nc_u32_e32 v14, 1, v27
	v_mad_u64_u32 v[25:26], null, s17, v26, v[10:11]
	v_cmp_le_u32_e64 s2, s17, v19
	v_add_nc_u32_e32 v8, 1, v28
	v_cndmask_b32_e32 v12, v12, v30, vcc_lo
	v_cmp_le_u32_e64 s0, s17, v20
	v_cndmask_b32_e32 v18, v18, v22, vcc_lo
	v_add_nc_u32_e32 v16, 1, v29
	v_cmp_le_u32_e64 s1, s17, v21
	v_cndmask_b32_e64 v14, v27, v14, s2
	v_cndmask_b32_e64 v19, v19, v23, s2
	;; [unrolled: 1-line block ×3, first 2 shown]
	v_add_nc_u32_e32 v22, 1, v12
	v_cndmask_b32_e64 v20, v20, v24, s0
	v_cmp_le_u32_e32 vcc_lo, s17, v18
	v_cndmask_b32_e64 v16, v29, v16, s1
	v_cndmask_b32_e64 v21, v21, v25, s1
	v_add_nc_u32_e32 v23, 1, v14
	v_cmp_le_u32_e64 s1, s17, v19
	v_add_nc_u32_e32 v24, 1, v8
	v_cndmask_b32_e32 v12, v12, v22, vcc_lo
	v_cmp_le_u32_e32 vcc_lo, s17, v20
	v_add_nc_u32_e32 v25, 1, v16
	v_cmp_le_u32_e64 s0, s17, v21
	v_cndmask_b32_e64 v14, v14, v23, s1
	v_mad_u64_u32 v[18:19], null, s18, v12, v[0:1]
	v_cndmask_b32_e32 v21, v8, v24, vcc_lo
	v_cndmask_b32_e64 v16, v16, v25, s0
	v_mad_u64_u32 v[19:20], null, s18, v14, v[0:1]
	v_add_nc_u32_e32 v0, s16, v0
	v_mad_u64_u32 v[8:9], null, s18, v21, v[9:10]
	v_mad_u64_u32 v[9:10], null, s18, v16, v[10:11]
	v_mul_lo_u32 v12, v12, s4
	v_mul_lo_u32 v20, v21, s4
	;; [unrolled: 1-line block ×4, first 2 shown]
	v_mad_u64_u32 v[18:19], null, s5, v19, s[12:13]
	v_add_nc_u32_e32 v10, 4, v0
	v_mul_lo_u32 v8, v8, s5
	v_mul_lo_u32 v16, v16, s4
	;; [unrolled: 1-line block ×3, first 2 shown]
	v_mov_b32_e32 v13, v1
	v_cmp_lt_u32_e32 vcc_lo, s13, v10
	v_add3_u32 v10, v21, v12, s3
	v_add3_u32 v12, v18, v14, s3
	v_mov_b32_e32 v15, v1
	v_add3_u32 v14, v8, v20, s3
	v_mov_b32_e32 v17, v1
	v_add3_u32 v16, v9, v16, s3
	v_lshlrev_b64 v[8:9], 1, v[10:11]
	v_lshlrev_b64 v[10:11], 1, v[12:13]
	;; [unrolled: 1-line block ×3, first 2 shown]
	v_add_nc_u32_e32 v2, s16, v2
	v_lshlrev_b64 v[14:15], 1, v[16:17]
	v_add_nc_u32_e32 v3, s16, v3
	v_add_co_u32 v8, s0, s6, v8
	v_add_co_ci_u32_e64 v9, null, s7, v9, s0
	v_add_co_u32 v10, s0, s6, v10
	v_add_co_ci_u32_e64 v11, null, s7, v11, s0
	v_add_co_u32 v12, s0, s6, v12
	v_add_nc_u32_e32 v5, s16, v5
	v_add_co_ci_u32_e64 v13, null, s7, v13, s0
	v_add_co_u32 v14, s0, s6, v14
	v_add_co_ci_u32_e64 v15, null, s7, v15, s0
	s_or_b32 s19, vcc_lo, s19
	s_waitcnt vmcnt(0)
	global_store_short v[8:9], v6, off
	global_store_short_d16_hi v[10:11], v6, off
	global_store_short v[12:13], v7, off
	global_store_short_d16_hi v[14:15], v7, off
	s_andn2_b32 exec_lo, exec_lo, s19
	s_cbranch_execnz .LBB127_3
; %bb.4:
	s_or_b32 exec_lo, exec_lo, s19
.LBB127_5:
	s_or_b32 exec_lo, exec_lo, s11
	v_cmp_gt_u32_e32 vcc_lo, s13, v0
	s_and_b32 exec_lo, exec_lo, vcc_lo
	s_cbranch_execz .LBB127_8
; %bb.6:
	s_cmp_eq_u32 s10, 1
	v_mov_b32_e32 v2, 0
	s_cselect_b32 s2, s15, s14
	v_cvt_f32_u32_e32 v1, s2
	s_sub_i32 s10, 0, s2
	v_rcp_iflag_f32_e32 v1, v1
	v_mul_f32_e32 v1, 0x4f7ffffe, v1
	v_cvt_u32_f32_e32 v3, v1
	v_mul_lo_u32 v1, s10, v3
	v_mul_hi_u32 v4, v3, v1
	v_mov_b32_e32 v1, v2
	v_lshlrev_b64 v[5:6], 1, v[0:1]
	v_add_nc_u32_e32 v7, v3, v4
	v_add_co_u32 v5, vcc_lo, s8, v5
	v_mad_u64_u32 v[3:4], null, v0, v7, 0
	v_add_co_ci_u32_e64 v6, null, s9, v6, vcc_lo
	s_mov_b32 s8, 0
	s_inst_prefetch 0x1
	.p2align	6
.LBB127_7:                              ; =>This Inner Loop Header: Depth=1
	global_load_ushort v10, v[5:6], off
	v_mul_lo_u32 v1, s2, v4
	v_not_b32_e32 v8, v4
	v_add_nc_u32_e32 v11, 1, v4
	v_add_co_u32 v5, s0, v5, 2
	v_add_co_ci_u32_e64 v6, null, 0, v6, s0
	v_mad_u64_u32 v[8:9], null, s2, v8, v[0:1]
	v_sub_nc_u32_e32 v1, v0, v1
	v_cmp_le_u32_e32 vcc_lo, s2, v1
	v_cndmask_b32_e32 v9, v4, v11, vcc_lo
	v_cndmask_b32_e32 v1, v1, v8, vcc_lo
	v_add_nc_u32_e32 v8, 1, v9
	v_cmp_le_u32_e32 vcc_lo, s2, v1
	v_cndmask_b32_e32 v1, v9, v8, vcc_lo
	v_add_co_u32 v3, vcc_lo, v3, v7
	v_add_co_ci_u32_e64 v4, null, 0, v4, vcc_lo
	v_mad_u64_u32 v[8:9], null, s10, v1, v[0:1]
	v_mul_lo_u32 v1, v1, s4
	v_add_nc_u32_e32 v0, 1, v0
	v_mul_lo_u32 v8, v8, s5
	v_cmp_le_u32_e64 s0, s13, v0
	s_or_b32 s8, s0, s8
	v_add3_u32 v1, v8, v1, s3
	v_lshlrev_b64 v[8:9], 1, v[1:2]
	v_add_co_u32 v8, s1, s6, v8
	v_add_co_ci_u32_e64 v9, null, s7, v9, s1
	s_waitcnt vmcnt(0)
	global_store_short v[8:9], v10, off
	s_andn2_b32 exec_lo, exec_lo, s8
	s_cbranch_execnz .LBB127_7
.LBB127_8:
	s_inst_prefetch 0x2
	s_endpgm
	.section	.rodata,"a",@progbits
	.p2align	6, 0x0
	.amdhsa_kernel _ZN2at6native12_GLOBAL__N_135CatArrayBatchedCopy_alignedK_contigINS1_10OpaqueTypeILj2EEEjLi2ELi64ELi64ELi8EEEvPT_NS1_25CatArrInputTensorMetadataIS5_T0_XT2_EXT3_EEENS1_16TensorSizeStrideIS8_Lj4EEEiS8_
		.amdhsa_group_segment_fixed_size 0
		.amdhsa_private_segment_fixed_size 0
		.amdhsa_kernarg_size 3696
		.amdhsa_user_sgpr_count 6
		.amdhsa_user_sgpr_private_segment_buffer 1
		.amdhsa_user_sgpr_dispatch_ptr 0
		.amdhsa_user_sgpr_queue_ptr 0
		.amdhsa_user_sgpr_kernarg_segment_ptr 1
		.amdhsa_user_sgpr_dispatch_id 0
		.amdhsa_user_sgpr_flat_scratch_init 0
		.amdhsa_user_sgpr_private_segment_size 0
		.amdhsa_wavefront_size32 1
		.amdhsa_uses_dynamic_stack 0
		.amdhsa_system_sgpr_private_segment_wavefront_offset 0
		.amdhsa_system_sgpr_workgroup_id_x 1
		.amdhsa_system_sgpr_workgroup_id_y 1
		.amdhsa_system_sgpr_workgroup_id_z 0
		.amdhsa_system_sgpr_workgroup_info 0
		.amdhsa_system_vgpr_workitem_id 0
		.amdhsa_next_free_vgpr 31
		.amdhsa_next_free_sgpr 20
		.amdhsa_reserve_vcc 1
		.amdhsa_reserve_flat_scratch 0
		.amdhsa_float_round_mode_32 0
		.amdhsa_float_round_mode_16_64 0
		.amdhsa_float_denorm_mode_32 3
		.amdhsa_float_denorm_mode_16_64 3
		.amdhsa_dx10_clamp 1
		.amdhsa_ieee_mode 1
		.amdhsa_fp16_overflow 0
		.amdhsa_workgroup_processor_mode 1
		.amdhsa_memory_ordered 1
		.amdhsa_forward_progress 1
		.amdhsa_shared_vgpr_count 0
		.amdhsa_exception_fp_ieee_invalid_op 0
		.amdhsa_exception_fp_denorm_src 0
		.amdhsa_exception_fp_ieee_div_zero 0
		.amdhsa_exception_fp_ieee_overflow 0
		.amdhsa_exception_fp_ieee_underflow 0
		.amdhsa_exception_fp_ieee_inexact 0
		.amdhsa_exception_int_div_zero 0
	.end_amdhsa_kernel
	.section	.text._ZN2at6native12_GLOBAL__N_135CatArrayBatchedCopy_alignedK_contigINS1_10OpaqueTypeILj2EEEjLi2ELi64ELi64ELi8EEEvPT_NS1_25CatArrInputTensorMetadataIS5_T0_XT2_EXT3_EEENS1_16TensorSizeStrideIS8_Lj4EEEiS8_,"axG",@progbits,_ZN2at6native12_GLOBAL__N_135CatArrayBatchedCopy_alignedK_contigINS1_10OpaqueTypeILj2EEEjLi2ELi64ELi64ELi8EEEvPT_NS1_25CatArrInputTensorMetadataIS5_T0_XT2_EXT3_EEENS1_16TensorSizeStrideIS8_Lj4EEEiS8_,comdat
.Lfunc_end127:
	.size	_ZN2at6native12_GLOBAL__N_135CatArrayBatchedCopy_alignedK_contigINS1_10OpaqueTypeILj2EEEjLi2ELi64ELi64ELi8EEEvPT_NS1_25CatArrInputTensorMetadataIS5_T0_XT2_EXT3_EEENS1_16TensorSizeStrideIS8_Lj4EEEiS8_, .Lfunc_end127-_ZN2at6native12_GLOBAL__N_135CatArrayBatchedCopy_alignedK_contigINS1_10OpaqueTypeILj2EEEjLi2ELi64ELi64ELi8EEEvPT_NS1_25CatArrInputTensorMetadataIS5_T0_XT2_EXT3_EEENS1_16TensorSizeStrideIS8_Lj4EEEiS8_
                                        ; -- End function
	.set _ZN2at6native12_GLOBAL__N_135CatArrayBatchedCopy_alignedK_contigINS1_10OpaqueTypeILj2EEEjLi2ELi64ELi64ELi8EEEvPT_NS1_25CatArrInputTensorMetadataIS5_T0_XT2_EXT3_EEENS1_16TensorSizeStrideIS8_Lj4EEEiS8_.num_vgpr, 31
	.set _ZN2at6native12_GLOBAL__N_135CatArrayBatchedCopy_alignedK_contigINS1_10OpaqueTypeILj2EEEjLi2ELi64ELi64ELi8EEEvPT_NS1_25CatArrInputTensorMetadataIS5_T0_XT2_EXT3_EEENS1_16TensorSizeStrideIS8_Lj4EEEiS8_.num_agpr, 0
	.set _ZN2at6native12_GLOBAL__N_135CatArrayBatchedCopy_alignedK_contigINS1_10OpaqueTypeILj2EEEjLi2ELi64ELi64ELi8EEEvPT_NS1_25CatArrInputTensorMetadataIS5_T0_XT2_EXT3_EEENS1_16TensorSizeStrideIS8_Lj4EEEiS8_.numbered_sgpr, 20
	.set _ZN2at6native12_GLOBAL__N_135CatArrayBatchedCopy_alignedK_contigINS1_10OpaqueTypeILj2EEEjLi2ELi64ELi64ELi8EEEvPT_NS1_25CatArrInputTensorMetadataIS5_T0_XT2_EXT3_EEENS1_16TensorSizeStrideIS8_Lj4EEEiS8_.num_named_barrier, 0
	.set _ZN2at6native12_GLOBAL__N_135CatArrayBatchedCopy_alignedK_contigINS1_10OpaqueTypeILj2EEEjLi2ELi64ELi64ELi8EEEvPT_NS1_25CatArrInputTensorMetadataIS5_T0_XT2_EXT3_EEENS1_16TensorSizeStrideIS8_Lj4EEEiS8_.private_seg_size, 0
	.set _ZN2at6native12_GLOBAL__N_135CatArrayBatchedCopy_alignedK_contigINS1_10OpaqueTypeILj2EEEjLi2ELi64ELi64ELi8EEEvPT_NS1_25CatArrInputTensorMetadataIS5_T0_XT2_EXT3_EEENS1_16TensorSizeStrideIS8_Lj4EEEiS8_.uses_vcc, 1
	.set _ZN2at6native12_GLOBAL__N_135CatArrayBatchedCopy_alignedK_contigINS1_10OpaqueTypeILj2EEEjLi2ELi64ELi64ELi8EEEvPT_NS1_25CatArrInputTensorMetadataIS5_T0_XT2_EXT3_EEENS1_16TensorSizeStrideIS8_Lj4EEEiS8_.uses_flat_scratch, 0
	.set _ZN2at6native12_GLOBAL__N_135CatArrayBatchedCopy_alignedK_contigINS1_10OpaqueTypeILj2EEEjLi2ELi64ELi64ELi8EEEvPT_NS1_25CatArrInputTensorMetadataIS5_T0_XT2_EXT3_EEENS1_16TensorSizeStrideIS8_Lj4EEEiS8_.has_dyn_sized_stack, 0
	.set _ZN2at6native12_GLOBAL__N_135CatArrayBatchedCopy_alignedK_contigINS1_10OpaqueTypeILj2EEEjLi2ELi64ELi64ELi8EEEvPT_NS1_25CatArrInputTensorMetadataIS5_T0_XT2_EXT3_EEENS1_16TensorSizeStrideIS8_Lj4EEEiS8_.has_recursion, 0
	.set _ZN2at6native12_GLOBAL__N_135CatArrayBatchedCopy_alignedK_contigINS1_10OpaqueTypeILj2EEEjLi2ELi64ELi64ELi8EEEvPT_NS1_25CatArrInputTensorMetadataIS5_T0_XT2_EXT3_EEENS1_16TensorSizeStrideIS8_Lj4EEEiS8_.has_indirect_call, 0
	.section	.AMDGPU.csdata,"",@progbits
; Kernel info:
; codeLenInByte = 1280
; TotalNumSgprs: 22
; NumVgprs: 31
; ScratchSize: 0
; MemoryBound: 0
; FloatMode: 240
; IeeeMode: 1
; LDSByteSize: 0 bytes/workgroup (compile time only)
; SGPRBlocks: 0
; VGPRBlocks: 3
; NumSGPRsForWavesPerEU: 22
; NumVGPRsForWavesPerEU: 31
; Occupancy: 16
; WaveLimiterHint : 1
; COMPUTE_PGM_RSRC2:SCRATCH_EN: 0
; COMPUTE_PGM_RSRC2:USER_SGPR: 6
; COMPUTE_PGM_RSRC2:TRAP_HANDLER: 0
; COMPUTE_PGM_RSRC2:TGID_X_EN: 1
; COMPUTE_PGM_RSRC2:TGID_Y_EN: 1
; COMPUTE_PGM_RSRC2:TGID_Z_EN: 0
; COMPUTE_PGM_RSRC2:TIDIG_COMP_CNT: 0
	.section	.text._ZN2at6native12_GLOBAL__N_126CatArrayBatchedCopy_contigINS1_10OpaqueTypeILj2EEEjLi2ELi64ELi64EEEvPT_NS1_25CatArrInputTensorMetadataIS5_T0_XT2_EXT3_EEENS1_16TensorSizeStrideIS8_Lj4EEEiS8_,"axG",@progbits,_ZN2at6native12_GLOBAL__N_126CatArrayBatchedCopy_contigINS1_10OpaqueTypeILj2EEEjLi2ELi64ELi64EEEvPT_NS1_25CatArrInputTensorMetadataIS5_T0_XT2_EXT3_EEENS1_16TensorSizeStrideIS8_Lj4EEEiS8_,comdat
	.globl	_ZN2at6native12_GLOBAL__N_126CatArrayBatchedCopy_contigINS1_10OpaqueTypeILj2EEEjLi2ELi64ELi64EEEvPT_NS1_25CatArrInputTensorMetadataIS5_T0_XT2_EXT3_EEENS1_16TensorSizeStrideIS8_Lj4EEEiS8_ ; -- Begin function _ZN2at6native12_GLOBAL__N_126CatArrayBatchedCopy_contigINS1_10OpaqueTypeILj2EEEjLi2ELi64ELi64EEEvPT_NS1_25CatArrInputTensorMetadataIS5_T0_XT2_EXT3_EEENS1_16TensorSizeStrideIS8_Lj4EEEiS8_
	.p2align	8
	.type	_ZN2at6native12_GLOBAL__N_126CatArrayBatchedCopy_contigINS1_10OpaqueTypeILj2EEEjLi2ELi64ELi64EEEvPT_NS1_25CatArrInputTensorMetadataIS5_T0_XT2_EXT3_EEENS1_16TensorSizeStrideIS8_Lj4EEEiS8_,@function
_ZN2at6native12_GLOBAL__N_126CatArrayBatchedCopy_contigINS1_10OpaqueTypeILj2EEEjLi2ELi64ELi64EEEvPT_NS1_25CatArrInputTensorMetadataIS5_T0_XT2_EXT3_EEENS1_16TensorSizeStrideIS8_Lj4EEEiS8_: ; @_ZN2at6native12_GLOBAL__N_126CatArrayBatchedCopy_contigINS1_10OpaqueTypeILj2EEEjLi2ELi64ELi64EEEvPT_NS1_25CatArrInputTensorMetadataIS5_T0_XT2_EXT3_EEENS1_16TensorSizeStrideIS8_Lj4EEEiS8_
; %bb.0:
	s_mov_b32 s0, s7
	s_load_dword s7, s[4:5], 0xd7c
	s_mov_b32 s1, 0
	s_add_u32 s8, s4, 0xd70
	s_addc_u32 s9, s5, 0
	s_lshl_b64 s[2:3], s[0:1], 2
	s_mov_b32 s11, exec_lo
	s_waitcnt lgkmcnt(0)
	s_and_b32 s0, s7, 0xffff
	s_add_u32 s12, s4, s2
	s_addc_u32 s13, s5, s3
	v_mad_u64_u32 v[0:1], null, s6, s0, v[0:1]
	s_load_dword s10, s[12:13], 0x408
	s_add_u32 s6, s12, 8
	s_addc_u32 s7, s13, 0
	s_waitcnt lgkmcnt(0)
	v_cmpx_gt_u32_e64 s10, v0
	s_cbranch_execz .LBB128_3
; %bb.1:
	s_add_u32 s6, s6, s2
	s_addc_u32 s7, s7, s3
	s_sub_u32 s2, 0, s2
	s_subb_u32 s3, 0, s3
	s_add_u32 s12, s6, s2
	s_addc_u32 s13, s7, s3
	s_clause 0x4
	s_load_dwordx2 s[14:15], s[4:5], 0xd68
	s_load_dword s11, s[12:13], 0x300
	s_load_dword s16, s[4:5], 0xd4c
	s_load_dwordx2 s[2:3], s[4:5], 0xd58
	s_load_dword s13, s[12:13], 0x200
	s_load_dword s9, s[8:9], 0x0
	s_clause 0x1
	s_load_dwordx2 s[4:5], s[4:5], 0x0
	s_load_dwordx2 s[6:7], s[6:7], 0x0
	s_waitcnt lgkmcnt(0)
	s_cmp_eq_u32 s14, 1
	s_cselect_b32 s11, s11, s16
	v_cvt_f32_u32_e32 v1, s11
	s_sub_i32 s12, 0, s11
	s_mul_i32 s8, s13, s15
	s_mul_i32 s9, s9, s0
	v_rcp_iflag_f32_e32 v1, v1
	v_mul_f32_e32 v1, 0x4f7ffffe, v1
	v_cvt_u32_f32_e32 v1, v1
	v_mul_lo_u32 v2, s12, v1
	v_mul_hi_u32 v2, v1, v2
	v_add_nc_u32_e32 v2, v1, v2
	v_mov_b32_e32 v1, 0
	s_inst_prefetch 0x1
	.p2align	6
.LBB128_2:                              ; =>This Inner Loop Header: Depth=1
	v_lshlrev_b64 v[3:4], 1, v[0:1]
	v_mul_hi_u32 v6, v2, v0
	v_add_co_u32 v3, vcc_lo, s6, v3
	v_add_co_ci_u32_e64 v4, null, s7, v4, vcc_lo
	v_add_nc_u32_e32 v7, 1, v6
	global_load_ushort v5, v[3:4], off
	v_mul_lo_u32 v3, s11, v6
	v_not_b32_e32 v4, v6
	v_sub_nc_u32_e32 v8, v0, v3
	v_mad_u64_u32 v[3:4], null, s11, v4, v[0:1]
	v_cmp_le_u32_e32 vcc_lo, s11, v8
	v_cndmask_b32_e32 v4, v6, v7, vcc_lo
	v_cndmask_b32_e32 v3, v8, v3, vcc_lo
	v_add_nc_u32_e32 v6, 1, v4
	v_cmp_le_u32_e32 vcc_lo, s11, v3
	v_cndmask_b32_e32 v6, v4, v6, vcc_lo
	v_mad_u64_u32 v[3:4], null, s12, v6, v[0:1]
	v_mul_lo_u32 v6, v6, s2
	v_mov_b32_e32 v4, v1
	v_add_nc_u32_e32 v0, s9, v0
	v_mul_lo_u32 v3, v3, s3
	v_cmp_le_u32_e32 vcc_lo, s10, v0
	s_or_b32 s1, vcc_lo, s1
	v_add3_u32 v3, v6, s8, v3
	v_lshlrev_b64 v[3:4], 1, v[3:4]
	v_add_co_u32 v3, s0, s4, v3
	v_add_co_ci_u32_e64 v4, null, s5, v4, s0
	s_waitcnt vmcnt(0)
	global_store_short v[3:4], v5, off
	s_andn2_b32 exec_lo, exec_lo, s1
	s_cbranch_execnz .LBB128_2
.LBB128_3:
	s_inst_prefetch 0x2
	s_endpgm
	.section	.rodata,"a",@progbits
	.p2align	6, 0x0
	.amdhsa_kernel _ZN2at6native12_GLOBAL__N_126CatArrayBatchedCopy_contigINS1_10OpaqueTypeILj2EEEjLi2ELi64ELi64EEEvPT_NS1_25CatArrInputTensorMetadataIS5_T0_XT2_EXT3_EEENS1_16TensorSizeStrideIS8_Lj4EEEiS8_
		.amdhsa_group_segment_fixed_size 0
		.amdhsa_private_segment_fixed_size 0
		.amdhsa_kernarg_size 3696
		.amdhsa_user_sgpr_count 6
		.amdhsa_user_sgpr_private_segment_buffer 1
		.amdhsa_user_sgpr_dispatch_ptr 0
		.amdhsa_user_sgpr_queue_ptr 0
		.amdhsa_user_sgpr_kernarg_segment_ptr 1
		.amdhsa_user_sgpr_dispatch_id 0
		.amdhsa_user_sgpr_flat_scratch_init 0
		.amdhsa_user_sgpr_private_segment_size 0
		.amdhsa_wavefront_size32 1
		.amdhsa_uses_dynamic_stack 0
		.amdhsa_system_sgpr_private_segment_wavefront_offset 0
		.amdhsa_system_sgpr_workgroup_id_x 1
		.amdhsa_system_sgpr_workgroup_id_y 1
		.amdhsa_system_sgpr_workgroup_id_z 0
		.amdhsa_system_sgpr_workgroup_info 0
		.amdhsa_system_vgpr_workitem_id 0
		.amdhsa_next_free_vgpr 9
		.amdhsa_next_free_sgpr 17
		.amdhsa_reserve_vcc 1
		.amdhsa_reserve_flat_scratch 0
		.amdhsa_float_round_mode_32 0
		.amdhsa_float_round_mode_16_64 0
		.amdhsa_float_denorm_mode_32 3
		.amdhsa_float_denorm_mode_16_64 3
		.amdhsa_dx10_clamp 1
		.amdhsa_ieee_mode 1
		.amdhsa_fp16_overflow 0
		.amdhsa_workgroup_processor_mode 1
		.amdhsa_memory_ordered 1
		.amdhsa_forward_progress 1
		.amdhsa_shared_vgpr_count 0
		.amdhsa_exception_fp_ieee_invalid_op 0
		.amdhsa_exception_fp_denorm_src 0
		.amdhsa_exception_fp_ieee_div_zero 0
		.amdhsa_exception_fp_ieee_overflow 0
		.amdhsa_exception_fp_ieee_underflow 0
		.amdhsa_exception_fp_ieee_inexact 0
		.amdhsa_exception_int_div_zero 0
	.end_amdhsa_kernel
	.section	.text._ZN2at6native12_GLOBAL__N_126CatArrayBatchedCopy_contigINS1_10OpaqueTypeILj2EEEjLi2ELi64ELi64EEEvPT_NS1_25CatArrInputTensorMetadataIS5_T0_XT2_EXT3_EEENS1_16TensorSizeStrideIS8_Lj4EEEiS8_,"axG",@progbits,_ZN2at6native12_GLOBAL__N_126CatArrayBatchedCopy_contigINS1_10OpaqueTypeILj2EEEjLi2ELi64ELi64EEEvPT_NS1_25CatArrInputTensorMetadataIS5_T0_XT2_EXT3_EEENS1_16TensorSizeStrideIS8_Lj4EEEiS8_,comdat
.Lfunc_end128:
	.size	_ZN2at6native12_GLOBAL__N_126CatArrayBatchedCopy_contigINS1_10OpaqueTypeILj2EEEjLi2ELi64ELi64EEEvPT_NS1_25CatArrInputTensorMetadataIS5_T0_XT2_EXT3_EEENS1_16TensorSizeStrideIS8_Lj4EEEiS8_, .Lfunc_end128-_ZN2at6native12_GLOBAL__N_126CatArrayBatchedCopy_contigINS1_10OpaqueTypeILj2EEEjLi2ELi64ELi64EEEvPT_NS1_25CatArrInputTensorMetadataIS5_T0_XT2_EXT3_EEENS1_16TensorSizeStrideIS8_Lj4EEEiS8_
                                        ; -- End function
	.set _ZN2at6native12_GLOBAL__N_126CatArrayBatchedCopy_contigINS1_10OpaqueTypeILj2EEEjLi2ELi64ELi64EEEvPT_NS1_25CatArrInputTensorMetadataIS5_T0_XT2_EXT3_EEENS1_16TensorSizeStrideIS8_Lj4EEEiS8_.num_vgpr, 9
	.set _ZN2at6native12_GLOBAL__N_126CatArrayBatchedCopy_contigINS1_10OpaqueTypeILj2EEEjLi2ELi64ELi64EEEvPT_NS1_25CatArrInputTensorMetadataIS5_T0_XT2_EXT3_EEENS1_16TensorSizeStrideIS8_Lj4EEEiS8_.num_agpr, 0
	.set _ZN2at6native12_GLOBAL__N_126CatArrayBatchedCopy_contigINS1_10OpaqueTypeILj2EEEjLi2ELi64ELi64EEEvPT_NS1_25CatArrInputTensorMetadataIS5_T0_XT2_EXT3_EEENS1_16TensorSizeStrideIS8_Lj4EEEiS8_.numbered_sgpr, 17
	.set _ZN2at6native12_GLOBAL__N_126CatArrayBatchedCopy_contigINS1_10OpaqueTypeILj2EEEjLi2ELi64ELi64EEEvPT_NS1_25CatArrInputTensorMetadataIS5_T0_XT2_EXT3_EEENS1_16TensorSizeStrideIS8_Lj4EEEiS8_.num_named_barrier, 0
	.set _ZN2at6native12_GLOBAL__N_126CatArrayBatchedCopy_contigINS1_10OpaqueTypeILj2EEEjLi2ELi64ELi64EEEvPT_NS1_25CatArrInputTensorMetadataIS5_T0_XT2_EXT3_EEENS1_16TensorSizeStrideIS8_Lj4EEEiS8_.private_seg_size, 0
	.set _ZN2at6native12_GLOBAL__N_126CatArrayBatchedCopy_contigINS1_10OpaqueTypeILj2EEEjLi2ELi64ELi64EEEvPT_NS1_25CatArrInputTensorMetadataIS5_T0_XT2_EXT3_EEENS1_16TensorSizeStrideIS8_Lj4EEEiS8_.uses_vcc, 1
	.set _ZN2at6native12_GLOBAL__N_126CatArrayBatchedCopy_contigINS1_10OpaqueTypeILj2EEEjLi2ELi64ELi64EEEvPT_NS1_25CatArrInputTensorMetadataIS5_T0_XT2_EXT3_EEENS1_16TensorSizeStrideIS8_Lj4EEEiS8_.uses_flat_scratch, 0
	.set _ZN2at6native12_GLOBAL__N_126CatArrayBatchedCopy_contigINS1_10OpaqueTypeILj2EEEjLi2ELi64ELi64EEEvPT_NS1_25CatArrInputTensorMetadataIS5_T0_XT2_EXT3_EEENS1_16TensorSizeStrideIS8_Lj4EEEiS8_.has_dyn_sized_stack, 0
	.set _ZN2at6native12_GLOBAL__N_126CatArrayBatchedCopy_contigINS1_10OpaqueTypeILj2EEEjLi2ELi64ELi64EEEvPT_NS1_25CatArrInputTensorMetadataIS5_T0_XT2_EXT3_EEENS1_16TensorSizeStrideIS8_Lj4EEEiS8_.has_recursion, 0
	.set _ZN2at6native12_GLOBAL__N_126CatArrayBatchedCopy_contigINS1_10OpaqueTypeILj2EEEjLi2ELi64ELi64EEEvPT_NS1_25CatArrInputTensorMetadataIS5_T0_XT2_EXT3_EEENS1_16TensorSizeStrideIS8_Lj4EEEiS8_.has_indirect_call, 0
	.section	.AMDGPU.csdata,"",@progbits
; Kernel info:
; codeLenInByte = 512
; TotalNumSgprs: 19
; NumVgprs: 9
; ScratchSize: 0
; MemoryBound: 0
; FloatMode: 240
; IeeeMode: 1
; LDSByteSize: 0 bytes/workgroup (compile time only)
; SGPRBlocks: 0
; VGPRBlocks: 1
; NumSGPRsForWavesPerEU: 19
; NumVGPRsForWavesPerEU: 9
; Occupancy: 16
; WaveLimiterHint : 1
; COMPUTE_PGM_RSRC2:SCRATCH_EN: 0
; COMPUTE_PGM_RSRC2:USER_SGPR: 6
; COMPUTE_PGM_RSRC2:TRAP_HANDLER: 0
; COMPUTE_PGM_RSRC2:TGID_X_EN: 1
; COMPUTE_PGM_RSRC2:TGID_Y_EN: 1
; COMPUTE_PGM_RSRC2:TGID_Z_EN: 0
; COMPUTE_PGM_RSRC2:TIDIG_COMP_CNT: 0
	.section	.text._ZN2at6native12_GLOBAL__N_119CatArrayBatchedCopyINS1_10OpaqueTypeILj2EEEjLi2ELi64ELi64EEEvPT_NS1_25CatArrInputTensorMetadataIS5_T0_XT2_EXT3_EEENS1_16TensorSizeStrideIS8_Lj4EEEiS8_,"axG",@progbits,_ZN2at6native12_GLOBAL__N_119CatArrayBatchedCopyINS1_10OpaqueTypeILj2EEEjLi2ELi64ELi64EEEvPT_NS1_25CatArrInputTensorMetadataIS5_T0_XT2_EXT3_EEENS1_16TensorSizeStrideIS8_Lj4EEEiS8_,comdat
	.globl	_ZN2at6native12_GLOBAL__N_119CatArrayBatchedCopyINS1_10OpaqueTypeILj2EEEjLi2ELi64ELi64EEEvPT_NS1_25CatArrInputTensorMetadataIS5_T0_XT2_EXT3_EEENS1_16TensorSizeStrideIS8_Lj4EEEiS8_ ; -- Begin function _ZN2at6native12_GLOBAL__N_119CatArrayBatchedCopyINS1_10OpaqueTypeILj2EEEjLi2ELi64ELi64EEEvPT_NS1_25CatArrInputTensorMetadataIS5_T0_XT2_EXT3_EEENS1_16TensorSizeStrideIS8_Lj4EEEiS8_
	.p2align	8
	.type	_ZN2at6native12_GLOBAL__N_119CatArrayBatchedCopyINS1_10OpaqueTypeILj2EEEjLi2ELi64ELi64EEEvPT_NS1_25CatArrInputTensorMetadataIS5_T0_XT2_EXT3_EEENS1_16TensorSizeStrideIS8_Lj4EEEiS8_,@function
_ZN2at6native12_GLOBAL__N_119CatArrayBatchedCopyINS1_10OpaqueTypeILj2EEEjLi2ELi64ELi64EEEvPT_NS1_25CatArrInputTensorMetadataIS5_T0_XT2_EXT3_EEENS1_16TensorSizeStrideIS8_Lj4EEEiS8_: ; @_ZN2at6native12_GLOBAL__N_119CatArrayBatchedCopyINS1_10OpaqueTypeILj2EEEjLi2ELi64ELi64EEEvPT_NS1_25CatArrInputTensorMetadataIS5_T0_XT2_EXT3_EEENS1_16TensorSizeStrideIS8_Lj4EEEiS8_
; %bb.0:
	s_load_dword s8, s[4:5], 0xd7c
	s_mov_b32 s0, s7
	s_or_b32 s7, s4, 8
	s_mov_b32 s1, 0
	s_add_u32 s10, s4, 0xd70
	s_addc_u32 s11, s5, 0
	s_lshl_b64 s[2:3], s[0:1], 2
	s_mov_b32 s13, exec_lo
	s_waitcnt lgkmcnt(0)
	s_and_b32 s17, s8, 0xffff
	s_add_u32 s8, s7, s2
	s_addc_u32 s9, s5, s3
	v_mad_u64_u32 v[0:1], null, s6, s17, v[0:1]
	s_load_dword s12, s[8:9], 0x400
	s_waitcnt lgkmcnt(0)
	v_cmpx_gt_u32_e64 s12, v0
	s_cbranch_execz .LBB129_5
; %bb.1:
	s_mul_i32 s13, s0, 28
	s_mul_hi_u32 s14, s0, 28
	s_add_u32 s8, s8, s13
	v_mov_b32_e32 v1, 0
	s_addc_u32 s9, s9, s14
	s_add_u32 s14, s7, s0
	s_addc_u32 s15, s5, 0
	s_load_dwordx2 s[18:19], s[4:5], 0xd68
	global_load_ubyte v2, v1, s[14:15] offset:1280
	s_mul_hi_u32 s6, s0, 7
	s_mul_i32 s0, s0, 7
	s_waitcnt vmcnt(0)
	v_and_b32_e32 v2, 1, v2
	v_cmp_eq_u32_e32 vcc_lo, 1, v2
	s_xor_b32 s13, vcc_lo, -1
	s_add_u32 s14, s14, s0
	s_addc_u32 s15, s15, s6
	s_sub_u32 s0, 0, s2
	s_subb_u32 s2, 0, s3
	s_add_u32 s20, s14, s0
	s_addc_u32 s21, s15, s2
	s_clause 0x3
	s_load_dword s0, s[4:5], 0xd4c
	s_load_dword s16, s[20:21], 0x300
	;; [unrolled: 1-line block ×3, first 2 shown]
	s_load_dwordx2 s[2:3], s[4:5], 0xd58
	s_waitcnt lgkmcnt(0)
	s_cmp_eq_u32 s18, 1
	s_clause 0x3
	s_load_dwordx2 s[6:7], s[8:9], 0x550
	s_load_dwordx2 s[8:9], s[14:15], 0x0
	s_load_dword s18, s[20:21], 0x200
	s_load_dwordx2 s[4:5], s[4:5], 0x0
	s_cselect_b32 s14, s16, s0
	s_cselect_b32 s15, s16, s22
	v_cvt_f32_u32_e32 v2, s14
	v_cvt_f32_u32_e32 v3, s15
	s_load_dword s0, s[10:11], 0x0
	s_sub_i32 s10, 0, s14
	s_sub_i32 s11, 0, s15
	v_rcp_iflag_f32_e32 v2, v2
	v_rcp_iflag_f32_e32 v3, v3
	s_waitcnt lgkmcnt(0)
	s_mul_i32 s16, s18, s19
	v_mul_f32_e32 v2, 0x4f7ffffe, v2
	v_mul_f32_e32 v3, 0x4f7ffffe, v3
	v_cvt_u32_f32_e32 v2, v2
	v_cvt_u32_f32_e32 v3, v3
	s_mul_i32 s17, s0, s17
	v_mul_lo_u32 v4, s10, v2
	v_mul_lo_u32 v5, s11, v3
	v_mul_hi_u32 v4, v2, v4
	v_mul_hi_u32 v5, v3, v5
	v_add_nc_u32_e32 v4, v2, v4
	v_add_nc_u32_e32 v5, v3, v5
	s_branch .LBB129_3
.LBB129_2:                              ;   in Loop: Header=BB129_3 Depth=1
	v_lshlrev_b64 v[2:3], 1, v[2:3]
	v_mul_hi_u32 v9, v4, v0
	v_add_co_u32 v2, vcc_lo, s8, v2
	v_add_co_ci_u32_e64 v3, null, s9, v3, vcc_lo
	v_not_b32_e32 v6, v9
	global_load_ushort v8, v[2:3], off
	v_mad_u64_u32 v[2:3], null, s10, v9, v[0:1]
	v_mad_u64_u32 v[6:7], null, s14, v6, v[0:1]
	v_add_nc_u32_e32 v3, 1, v9
	v_cmp_le_u32_e32 vcc_lo, s14, v2
	v_cndmask_b32_e32 v3, v9, v3, vcc_lo
	v_cndmask_b32_e32 v2, v2, v6, vcc_lo
	v_add_nc_u32_e32 v6, 1, v3
	v_cmp_le_u32_e32 vcc_lo, s14, v2
	v_cndmask_b32_e32 v6, v3, v6, vcc_lo
	v_mad_u64_u32 v[2:3], null, s10, v6, v[0:1]
	v_mul_lo_u32 v3, v6, s2
	v_add_nc_u32_e32 v0, s17, v0
	v_cmp_le_u32_e32 vcc_lo, s12, v0
	v_mul_lo_u32 v2, v2, s3
	s_or_b32 s1, vcc_lo, s1
	v_add3_u32 v2, v2, v3, s16
	v_mov_b32_e32 v3, v1
	v_lshlrev_b64 v[2:3], 1, v[2:3]
	v_add_co_u32 v2, s0, s4, v2
	v_add_co_ci_u32_e64 v3, null, s5, v3, s0
	s_waitcnt vmcnt(0)
	global_store_short v[2:3], v8, off
	s_andn2_b32 exec_lo, exec_lo, s1
	s_cbranch_execz .LBB129_5
.LBB129_3:                              ; =>This Inner Loop Header: Depth=1
	v_mov_b32_e32 v3, v1
	v_mov_b32_e32 v2, v0
	s_andn2_b32 vcc_lo, exec_lo, s13
	s_cbranch_vccnz .LBB129_2
; %bb.4:                                ;   in Loop: Header=BB129_3 Depth=1
	v_mul_hi_u32 v8, v5, v0
	v_not_b32_e32 v6, v8
	v_mad_u64_u32 v[2:3], null, s11, v8, v[0:1]
	v_add_nc_u32_e32 v3, 1, v8
	v_mad_u64_u32 v[6:7], null, s15, v6, v[0:1]
	v_cmp_le_u32_e32 vcc_lo, s15, v2
	v_cndmask_b32_e32 v3, v8, v3, vcc_lo
	v_cndmask_b32_e32 v2, v2, v6, vcc_lo
	v_add_nc_u32_e32 v6, 1, v3
	v_cmp_le_u32_e32 vcc_lo, s15, v2
	v_cndmask_b32_e32 v6, v3, v6, vcc_lo
	v_mad_u64_u32 v[2:3], null, s11, v6, v[0:1]
	v_mul_lo_u32 v3, v6, s6
	v_mad_u64_u32 v[2:3], null, v2, s7, v[3:4]
	v_mov_b32_e32 v3, v1
	s_branch .LBB129_2
.LBB129_5:
	s_endpgm
	.section	.rodata,"a",@progbits
	.p2align	6, 0x0
	.amdhsa_kernel _ZN2at6native12_GLOBAL__N_119CatArrayBatchedCopyINS1_10OpaqueTypeILj2EEEjLi2ELi64ELi64EEEvPT_NS1_25CatArrInputTensorMetadataIS5_T0_XT2_EXT3_EEENS1_16TensorSizeStrideIS8_Lj4EEEiS8_
		.amdhsa_group_segment_fixed_size 0
		.amdhsa_private_segment_fixed_size 0
		.amdhsa_kernarg_size 3696
		.amdhsa_user_sgpr_count 6
		.amdhsa_user_sgpr_private_segment_buffer 1
		.amdhsa_user_sgpr_dispatch_ptr 0
		.amdhsa_user_sgpr_queue_ptr 0
		.amdhsa_user_sgpr_kernarg_segment_ptr 1
		.amdhsa_user_sgpr_dispatch_id 0
		.amdhsa_user_sgpr_flat_scratch_init 0
		.amdhsa_user_sgpr_private_segment_size 0
		.amdhsa_wavefront_size32 1
		.amdhsa_uses_dynamic_stack 0
		.amdhsa_system_sgpr_private_segment_wavefront_offset 0
		.amdhsa_system_sgpr_workgroup_id_x 1
		.amdhsa_system_sgpr_workgroup_id_y 1
		.amdhsa_system_sgpr_workgroup_id_z 0
		.amdhsa_system_sgpr_workgroup_info 0
		.amdhsa_system_vgpr_workitem_id 0
		.amdhsa_next_free_vgpr 10
		.amdhsa_next_free_sgpr 23
		.amdhsa_reserve_vcc 1
		.amdhsa_reserve_flat_scratch 0
		.amdhsa_float_round_mode_32 0
		.amdhsa_float_round_mode_16_64 0
		.amdhsa_float_denorm_mode_32 3
		.amdhsa_float_denorm_mode_16_64 3
		.amdhsa_dx10_clamp 1
		.amdhsa_ieee_mode 1
		.amdhsa_fp16_overflow 0
		.amdhsa_workgroup_processor_mode 1
		.amdhsa_memory_ordered 1
		.amdhsa_forward_progress 1
		.amdhsa_shared_vgpr_count 0
		.amdhsa_exception_fp_ieee_invalid_op 0
		.amdhsa_exception_fp_denorm_src 0
		.amdhsa_exception_fp_ieee_div_zero 0
		.amdhsa_exception_fp_ieee_overflow 0
		.amdhsa_exception_fp_ieee_underflow 0
		.amdhsa_exception_fp_ieee_inexact 0
		.amdhsa_exception_int_div_zero 0
	.end_amdhsa_kernel
	.section	.text._ZN2at6native12_GLOBAL__N_119CatArrayBatchedCopyINS1_10OpaqueTypeILj2EEEjLi2ELi64ELi64EEEvPT_NS1_25CatArrInputTensorMetadataIS5_T0_XT2_EXT3_EEENS1_16TensorSizeStrideIS8_Lj4EEEiS8_,"axG",@progbits,_ZN2at6native12_GLOBAL__N_119CatArrayBatchedCopyINS1_10OpaqueTypeILj2EEEjLi2ELi64ELi64EEEvPT_NS1_25CatArrInputTensorMetadataIS5_T0_XT2_EXT3_EEENS1_16TensorSizeStrideIS8_Lj4EEEiS8_,comdat
.Lfunc_end129:
	.size	_ZN2at6native12_GLOBAL__N_119CatArrayBatchedCopyINS1_10OpaqueTypeILj2EEEjLi2ELi64ELi64EEEvPT_NS1_25CatArrInputTensorMetadataIS5_T0_XT2_EXT3_EEENS1_16TensorSizeStrideIS8_Lj4EEEiS8_, .Lfunc_end129-_ZN2at6native12_GLOBAL__N_119CatArrayBatchedCopyINS1_10OpaqueTypeILj2EEEjLi2ELi64ELi64EEEvPT_NS1_25CatArrInputTensorMetadataIS5_T0_XT2_EXT3_EEENS1_16TensorSizeStrideIS8_Lj4EEEiS8_
                                        ; -- End function
	.set _ZN2at6native12_GLOBAL__N_119CatArrayBatchedCopyINS1_10OpaqueTypeILj2EEEjLi2ELi64ELi64EEEvPT_NS1_25CatArrInputTensorMetadataIS5_T0_XT2_EXT3_EEENS1_16TensorSizeStrideIS8_Lj4EEEiS8_.num_vgpr, 10
	.set _ZN2at6native12_GLOBAL__N_119CatArrayBatchedCopyINS1_10OpaqueTypeILj2EEEjLi2ELi64ELi64EEEvPT_NS1_25CatArrInputTensorMetadataIS5_T0_XT2_EXT3_EEENS1_16TensorSizeStrideIS8_Lj4EEEiS8_.num_agpr, 0
	.set _ZN2at6native12_GLOBAL__N_119CatArrayBatchedCopyINS1_10OpaqueTypeILj2EEEjLi2ELi64ELi64EEEvPT_NS1_25CatArrInputTensorMetadataIS5_T0_XT2_EXT3_EEENS1_16TensorSizeStrideIS8_Lj4EEEiS8_.numbered_sgpr, 23
	.set _ZN2at6native12_GLOBAL__N_119CatArrayBatchedCopyINS1_10OpaqueTypeILj2EEEjLi2ELi64ELi64EEEvPT_NS1_25CatArrInputTensorMetadataIS5_T0_XT2_EXT3_EEENS1_16TensorSizeStrideIS8_Lj4EEEiS8_.num_named_barrier, 0
	.set _ZN2at6native12_GLOBAL__N_119CatArrayBatchedCopyINS1_10OpaqueTypeILj2EEEjLi2ELi64ELi64EEEvPT_NS1_25CatArrInputTensorMetadataIS5_T0_XT2_EXT3_EEENS1_16TensorSizeStrideIS8_Lj4EEEiS8_.private_seg_size, 0
	.set _ZN2at6native12_GLOBAL__N_119CatArrayBatchedCopyINS1_10OpaqueTypeILj2EEEjLi2ELi64ELi64EEEvPT_NS1_25CatArrInputTensorMetadataIS5_T0_XT2_EXT3_EEENS1_16TensorSizeStrideIS8_Lj4EEEiS8_.uses_vcc, 1
	.set _ZN2at6native12_GLOBAL__N_119CatArrayBatchedCopyINS1_10OpaqueTypeILj2EEEjLi2ELi64ELi64EEEvPT_NS1_25CatArrInputTensorMetadataIS5_T0_XT2_EXT3_EEENS1_16TensorSizeStrideIS8_Lj4EEEiS8_.uses_flat_scratch, 0
	.set _ZN2at6native12_GLOBAL__N_119CatArrayBatchedCopyINS1_10OpaqueTypeILj2EEEjLi2ELi64ELi64EEEvPT_NS1_25CatArrInputTensorMetadataIS5_T0_XT2_EXT3_EEENS1_16TensorSizeStrideIS8_Lj4EEEiS8_.has_dyn_sized_stack, 0
	.set _ZN2at6native12_GLOBAL__N_119CatArrayBatchedCopyINS1_10OpaqueTypeILj2EEEjLi2ELi64ELi64EEEvPT_NS1_25CatArrInputTensorMetadataIS5_T0_XT2_EXT3_EEENS1_16TensorSizeStrideIS8_Lj4EEEiS8_.has_recursion, 0
	.set _ZN2at6native12_GLOBAL__N_119CatArrayBatchedCopyINS1_10OpaqueTypeILj2EEEjLi2ELi64ELi64EEEvPT_NS1_25CatArrInputTensorMetadataIS5_T0_XT2_EXT3_EEENS1_16TensorSizeStrideIS8_Lj4EEEiS8_.has_indirect_call, 0
	.section	.AMDGPU.csdata,"",@progbits
; Kernel info:
; codeLenInByte = 672
; TotalNumSgprs: 25
; NumVgprs: 10
; ScratchSize: 0
; MemoryBound: 0
; FloatMode: 240
; IeeeMode: 1
; LDSByteSize: 0 bytes/workgroup (compile time only)
; SGPRBlocks: 0
; VGPRBlocks: 1
; NumSGPRsForWavesPerEU: 25
; NumVGPRsForWavesPerEU: 10
; Occupancy: 16
; WaveLimiterHint : 1
; COMPUTE_PGM_RSRC2:SCRATCH_EN: 0
; COMPUTE_PGM_RSRC2:USER_SGPR: 6
; COMPUTE_PGM_RSRC2:TRAP_HANDLER: 0
; COMPUTE_PGM_RSRC2:TGID_X_EN: 1
; COMPUTE_PGM_RSRC2:TGID_Y_EN: 1
; COMPUTE_PGM_RSRC2:TGID_Z_EN: 0
; COMPUTE_PGM_RSRC2:TIDIG_COMP_CNT: 0
	.section	.text._ZN2at6native12_GLOBAL__N_130CatArrayBatchedCopy_vectorizedINS1_10OpaqueTypeILj2EEEjLi3ELi64ELi64ELi16ELi8EEEvPcNS1_25CatArrInputTensorMetadataIT_T0_XT2_EXT3_EEENS1_16TensorSizeStrideIS8_Lj4EEEiS8_,"axG",@progbits,_ZN2at6native12_GLOBAL__N_130CatArrayBatchedCopy_vectorizedINS1_10OpaqueTypeILj2EEEjLi3ELi64ELi64ELi16ELi8EEEvPcNS1_25CatArrInputTensorMetadataIT_T0_XT2_EXT3_EEENS1_16TensorSizeStrideIS8_Lj4EEEiS8_,comdat
	.globl	_ZN2at6native12_GLOBAL__N_130CatArrayBatchedCopy_vectorizedINS1_10OpaqueTypeILj2EEEjLi3ELi64ELi64ELi16ELi8EEEvPcNS1_25CatArrInputTensorMetadataIT_T0_XT2_EXT3_EEENS1_16TensorSizeStrideIS8_Lj4EEEiS8_ ; -- Begin function _ZN2at6native12_GLOBAL__N_130CatArrayBatchedCopy_vectorizedINS1_10OpaqueTypeILj2EEEjLi3ELi64ELi64ELi16ELi8EEEvPcNS1_25CatArrInputTensorMetadataIT_T0_XT2_EXT3_EEENS1_16TensorSizeStrideIS8_Lj4EEEiS8_
	.p2align	8
	.type	_ZN2at6native12_GLOBAL__N_130CatArrayBatchedCopy_vectorizedINS1_10OpaqueTypeILj2EEEjLi3ELi64ELi64ELi16ELi8EEEvPcNS1_25CatArrInputTensorMetadataIT_T0_XT2_EXT3_EEENS1_16TensorSizeStrideIS8_Lj4EEEiS8_,@function
_ZN2at6native12_GLOBAL__N_130CatArrayBatchedCopy_vectorizedINS1_10OpaqueTypeILj2EEEjLi3ELi64ELi64ELi16ELi8EEEvPcNS1_25CatArrInputTensorMetadataIT_T0_XT2_EXT3_EEENS1_16TensorSizeStrideIS8_Lj4EEEiS8_: ; @_ZN2at6native12_GLOBAL__N_130CatArrayBatchedCopy_vectorizedINS1_10OpaqueTypeILj2EEEjLi3ELi64ELi64ELi16ELi8EEEvPcNS1_25CatArrInputTensorMetadataIT_T0_XT2_EXT3_EEENS1_16TensorSizeStrideIS8_Lj4EEEiS8_
; %bb.0:
	s_mov_b32 s0, s7
	s_load_dword s7, s[4:5], 0xd7c
	s_mov_b32 s1, 0
	s_add_u32 s2, s4, 0xd70
	s_addc_u32 s3, s5, 0
	s_lshl_b64 s[8:9], s[0:1], 2
	s_waitcnt lgkmcnt(0)
	s_and_b32 s13, s7, 0xffff
	s_add_u32 s10, s4, s8
	s_addc_u32 s11, s5, s9
	v_mad_u64_u32 v[0:1], null, s6, s13, v[0:1]
	s_load_dword s12, s[10:11], 0x408
	s_add_u32 s0, s10, 8
	s_addc_u32 s7, s11, 0
	s_mov_b32 s10, exec_lo
	s_waitcnt lgkmcnt(0)
	s_lshr_b32 s6, s12, 3
	v_cmpx_gt_u32_e64 s6, v0
	s_cbranch_execz .LBB130_3
; %bb.1:
	s_add_u32 s14, s0, s8
	s_addc_u32 s15, s7, s9
	s_sub_u32 s0, 0, s8
	s_subb_u32 s7, 0, s9
	s_add_u32 s8, s14, s0
	s_addc_u32 s9, s15, s7
	s_clause 0x5
	s_load_dwordx2 s[16:17], s[4:5], 0xd68
	s_load_dword s0, s[8:9], 0x200
	s_load_dword s7, s[8:9], 0x300
	s_load_dwordx2 s[18:19], s[4:5], 0xd4c
	s_load_dwordx4 s[8:11], s[4:5], 0xd58
	s_load_dwordx2 s[22:23], s[4:5], 0x0
	s_waitcnt lgkmcnt(0)
	s_mul_i32 s0, s0, s17
	s_mul_i32 s7, s7, s17
	s_lshr_b32 s0, s0, 3
	s_lshr_b32 s7, s7, 3
	s_lshl_b64 s[20:21], s[0:1], 4
	s_cmp_eq_u32 s16, 2
	s_cselect_b32 s4, s7, s19
	s_cmp_eq_u32 s16, 1
	v_cvt_f32_u32_e32 v1, s4
	s_cselect_b32 s5, s7, s18
	s_add_u32 s7, s22, s20
	v_cvt_f32_u32_e32 v2, s5
	s_addc_u32 s11, s23, s21
	v_rcp_iflag_f32_e32 v1, v1
	s_sub_i32 s12, 0, s4
	s_sub_i32 s0, 0, s5
	v_rcp_iflag_f32_e32 v2, v2
	s_load_dword s16, s[2:3], 0x0
	s_load_dwordx2 s[2:3], s[14:15], 0x0
	v_mul_f32_e32 v1, 0x4f7ffffe, v1
	v_mul_f32_e32 v2, 0x4f7ffffe, v2
	v_cvt_u32_f32_e32 v1, v1
	v_cvt_u32_f32_e32 v3, v2
	v_mul_lo_u32 v2, s12, v1
	v_mul_lo_u32 v4, s0, v3
	s_waitcnt lgkmcnt(0)
	s_mul_i32 s13, s16, s13
	v_mul_hi_u32 v2, v1, v2
	v_mul_hi_u32 v4, v3, v4
	v_add_nc_u32_e32 v2, v1, v2
	v_mov_b32_e32 v1, 0
	v_add_nc_u32_e32 v3, v3, v4
.LBB130_2:                              ; =>This Inner Loop Header: Depth=1
	v_lshlrev_b64 v[4:5], 4, v[0:1]
	v_mul_hi_u32 v10, v2, v0
	v_add_co_u32 v4, vcc_lo, s2, v4
	v_add_co_ci_u32_e64 v5, null, s3, v5, vcc_lo
	v_mul_lo_u32 v11, s4, v10
	v_not_b32_e32 v8, v10
	v_add_nc_u32_e32 v12, 1, v10
	global_load_dwordx4 v[4:7], v[4:5], off
	v_mad_u64_u32 v[8:9], null, s4, v8, v[0:1]
	v_sub_nc_u32_e32 v9, v0, v11
	v_cmp_le_u32_e32 vcc_lo, s4, v9
	v_cndmask_b32_e32 v10, v10, v12, vcc_lo
	v_cndmask_b32_e32 v8, v9, v8, vcc_lo
	v_add_nc_u32_e32 v9, 1, v10
	v_cmp_le_u32_e32 vcc_lo, s4, v8
	v_cndmask_b32_e32 v10, v10, v9, vcc_lo
	v_mul_hi_u32 v8, v10, v3
	v_mul_lo_u32 v9, v8, s5
	v_add_nc_u32_e32 v11, 1, v8
	v_sub_nc_u32_e32 v9, v10, v9
	v_subrev_nc_u32_e32 v12, s5, v9
	v_cmp_le_u32_e32 vcc_lo, s5, v9
	v_cndmask_b32_e32 v8, v8, v11, vcc_lo
	v_cndmask_b32_e32 v9, v9, v12, vcc_lo
	v_add_nc_u32_e32 v11, 1, v8
	v_cmp_le_u32_e32 vcc_lo, s5, v9
	v_cndmask_b32_e32 v11, v8, v11, vcc_lo
	v_mad_u64_u32 v[8:9], null, s12, v10, v[0:1]
	v_add_nc_u32_e32 v0, s13, v0
	v_mul_lo_u32 v12, v11, s5
	v_cmp_le_u32_e32 vcc_lo, s6, v0
	v_mul_lo_u32 v8, v8, s10
	v_sub_nc_u32_e32 v9, v10, v12
	v_mul_lo_u32 v10, v11, s8
	s_or_b32 s1, vcc_lo, s1
	v_mul_lo_u32 v11, v9, s9
	v_mov_b32_e32 v9, v1
	v_add3_u32 v8, v8, v10, v11
	v_lshlrev_b64 v[8:9], 4, v[8:9]
	v_add_co_u32 v8, s0, s7, v8
	v_add_co_ci_u32_e64 v9, null, s11, v9, s0
	s_waitcnt vmcnt(0)
	global_store_dwordx4 v[8:9], v[4:7], off
	s_andn2_b32 exec_lo, exec_lo, s1
	s_cbranch_execnz .LBB130_2
.LBB130_3:
	s_endpgm
	.section	.rodata,"a",@progbits
	.p2align	6, 0x0
	.amdhsa_kernel _ZN2at6native12_GLOBAL__N_130CatArrayBatchedCopy_vectorizedINS1_10OpaqueTypeILj2EEEjLi3ELi64ELi64ELi16ELi8EEEvPcNS1_25CatArrInputTensorMetadataIT_T0_XT2_EXT3_EEENS1_16TensorSizeStrideIS8_Lj4EEEiS8_
		.amdhsa_group_segment_fixed_size 0
		.amdhsa_private_segment_fixed_size 0
		.amdhsa_kernarg_size 3696
		.amdhsa_user_sgpr_count 6
		.amdhsa_user_sgpr_private_segment_buffer 1
		.amdhsa_user_sgpr_dispatch_ptr 0
		.amdhsa_user_sgpr_queue_ptr 0
		.amdhsa_user_sgpr_kernarg_segment_ptr 1
		.amdhsa_user_sgpr_dispatch_id 0
		.amdhsa_user_sgpr_flat_scratch_init 0
		.amdhsa_user_sgpr_private_segment_size 0
		.amdhsa_wavefront_size32 1
		.amdhsa_uses_dynamic_stack 0
		.amdhsa_system_sgpr_private_segment_wavefront_offset 0
		.amdhsa_system_sgpr_workgroup_id_x 1
		.amdhsa_system_sgpr_workgroup_id_y 1
		.amdhsa_system_sgpr_workgroup_id_z 0
		.amdhsa_system_sgpr_workgroup_info 0
		.amdhsa_system_vgpr_workitem_id 0
		.amdhsa_next_free_vgpr 13
		.amdhsa_next_free_sgpr 24
		.amdhsa_reserve_vcc 1
		.amdhsa_reserve_flat_scratch 0
		.amdhsa_float_round_mode_32 0
		.amdhsa_float_round_mode_16_64 0
		.amdhsa_float_denorm_mode_32 3
		.amdhsa_float_denorm_mode_16_64 3
		.amdhsa_dx10_clamp 1
		.amdhsa_ieee_mode 1
		.amdhsa_fp16_overflow 0
		.amdhsa_workgroup_processor_mode 1
		.amdhsa_memory_ordered 1
		.amdhsa_forward_progress 1
		.amdhsa_shared_vgpr_count 0
		.amdhsa_exception_fp_ieee_invalid_op 0
		.amdhsa_exception_fp_denorm_src 0
		.amdhsa_exception_fp_ieee_div_zero 0
		.amdhsa_exception_fp_ieee_overflow 0
		.amdhsa_exception_fp_ieee_underflow 0
		.amdhsa_exception_fp_ieee_inexact 0
		.amdhsa_exception_int_div_zero 0
	.end_amdhsa_kernel
	.section	.text._ZN2at6native12_GLOBAL__N_130CatArrayBatchedCopy_vectorizedINS1_10OpaqueTypeILj2EEEjLi3ELi64ELi64ELi16ELi8EEEvPcNS1_25CatArrInputTensorMetadataIT_T0_XT2_EXT3_EEENS1_16TensorSizeStrideIS8_Lj4EEEiS8_,"axG",@progbits,_ZN2at6native12_GLOBAL__N_130CatArrayBatchedCopy_vectorizedINS1_10OpaqueTypeILj2EEEjLi3ELi64ELi64ELi16ELi8EEEvPcNS1_25CatArrInputTensorMetadataIT_T0_XT2_EXT3_EEENS1_16TensorSizeStrideIS8_Lj4EEEiS8_,comdat
.Lfunc_end130:
	.size	_ZN2at6native12_GLOBAL__N_130CatArrayBatchedCopy_vectorizedINS1_10OpaqueTypeILj2EEEjLi3ELi64ELi64ELi16ELi8EEEvPcNS1_25CatArrInputTensorMetadataIT_T0_XT2_EXT3_EEENS1_16TensorSizeStrideIS8_Lj4EEEiS8_, .Lfunc_end130-_ZN2at6native12_GLOBAL__N_130CatArrayBatchedCopy_vectorizedINS1_10OpaqueTypeILj2EEEjLi3ELi64ELi64ELi16ELi8EEEvPcNS1_25CatArrInputTensorMetadataIT_T0_XT2_EXT3_EEENS1_16TensorSizeStrideIS8_Lj4EEEiS8_
                                        ; -- End function
	.set _ZN2at6native12_GLOBAL__N_130CatArrayBatchedCopy_vectorizedINS1_10OpaqueTypeILj2EEEjLi3ELi64ELi64ELi16ELi8EEEvPcNS1_25CatArrInputTensorMetadataIT_T0_XT2_EXT3_EEENS1_16TensorSizeStrideIS8_Lj4EEEiS8_.num_vgpr, 13
	.set _ZN2at6native12_GLOBAL__N_130CatArrayBatchedCopy_vectorizedINS1_10OpaqueTypeILj2EEEjLi3ELi64ELi64ELi16ELi8EEEvPcNS1_25CatArrInputTensorMetadataIT_T0_XT2_EXT3_EEENS1_16TensorSizeStrideIS8_Lj4EEEiS8_.num_agpr, 0
	.set _ZN2at6native12_GLOBAL__N_130CatArrayBatchedCopy_vectorizedINS1_10OpaqueTypeILj2EEEjLi3ELi64ELi64ELi16ELi8EEEvPcNS1_25CatArrInputTensorMetadataIT_T0_XT2_EXT3_EEENS1_16TensorSizeStrideIS8_Lj4EEEiS8_.numbered_sgpr, 24
	.set _ZN2at6native12_GLOBAL__N_130CatArrayBatchedCopy_vectorizedINS1_10OpaqueTypeILj2EEEjLi3ELi64ELi64ELi16ELi8EEEvPcNS1_25CatArrInputTensorMetadataIT_T0_XT2_EXT3_EEENS1_16TensorSizeStrideIS8_Lj4EEEiS8_.num_named_barrier, 0
	.set _ZN2at6native12_GLOBAL__N_130CatArrayBatchedCopy_vectorizedINS1_10OpaqueTypeILj2EEEjLi3ELi64ELi64ELi16ELi8EEEvPcNS1_25CatArrInputTensorMetadataIT_T0_XT2_EXT3_EEENS1_16TensorSizeStrideIS8_Lj4EEEiS8_.private_seg_size, 0
	.set _ZN2at6native12_GLOBAL__N_130CatArrayBatchedCopy_vectorizedINS1_10OpaqueTypeILj2EEEjLi3ELi64ELi64ELi16ELi8EEEvPcNS1_25CatArrInputTensorMetadataIT_T0_XT2_EXT3_EEENS1_16TensorSizeStrideIS8_Lj4EEEiS8_.uses_vcc, 1
	.set _ZN2at6native12_GLOBAL__N_130CatArrayBatchedCopy_vectorizedINS1_10OpaqueTypeILj2EEEjLi3ELi64ELi64ELi16ELi8EEEvPcNS1_25CatArrInputTensorMetadataIT_T0_XT2_EXT3_EEENS1_16TensorSizeStrideIS8_Lj4EEEiS8_.uses_flat_scratch, 0
	.set _ZN2at6native12_GLOBAL__N_130CatArrayBatchedCopy_vectorizedINS1_10OpaqueTypeILj2EEEjLi3ELi64ELi64ELi16ELi8EEEvPcNS1_25CatArrInputTensorMetadataIT_T0_XT2_EXT3_EEENS1_16TensorSizeStrideIS8_Lj4EEEiS8_.has_dyn_sized_stack, 0
	.set _ZN2at6native12_GLOBAL__N_130CatArrayBatchedCopy_vectorizedINS1_10OpaqueTypeILj2EEEjLi3ELi64ELi64ELi16ELi8EEEvPcNS1_25CatArrInputTensorMetadataIT_T0_XT2_EXT3_EEENS1_16TensorSizeStrideIS8_Lj4EEEiS8_.has_recursion, 0
	.set _ZN2at6native12_GLOBAL__N_130CatArrayBatchedCopy_vectorizedINS1_10OpaqueTypeILj2EEEjLi3ELi64ELi64ELi16ELi8EEEvPcNS1_25CatArrInputTensorMetadataIT_T0_XT2_EXT3_EEENS1_16TensorSizeStrideIS8_Lj4EEEiS8_.has_indirect_call, 0
	.section	.AMDGPU.csdata,"",@progbits
; Kernel info:
; codeLenInByte = 600
; TotalNumSgprs: 26
; NumVgprs: 13
; ScratchSize: 0
; MemoryBound: 0
; FloatMode: 240
; IeeeMode: 1
; LDSByteSize: 0 bytes/workgroup (compile time only)
; SGPRBlocks: 0
; VGPRBlocks: 1
; NumSGPRsForWavesPerEU: 26
; NumVGPRsForWavesPerEU: 13
; Occupancy: 16
; WaveLimiterHint : 1
; COMPUTE_PGM_RSRC2:SCRATCH_EN: 0
; COMPUTE_PGM_RSRC2:USER_SGPR: 6
; COMPUTE_PGM_RSRC2:TRAP_HANDLER: 0
; COMPUTE_PGM_RSRC2:TGID_X_EN: 1
; COMPUTE_PGM_RSRC2:TGID_Y_EN: 1
; COMPUTE_PGM_RSRC2:TGID_Z_EN: 0
; COMPUTE_PGM_RSRC2:TIDIG_COMP_CNT: 0
	.section	.text._ZN2at6native12_GLOBAL__N_135CatArrayBatchedCopy_alignedK_contigINS1_10OpaqueTypeILj2EEEjLi3ELi64ELi64ELi16EEEvPT_NS1_25CatArrInputTensorMetadataIS5_T0_XT2_EXT3_EEENS1_16TensorSizeStrideIS8_Lj4EEEiS8_,"axG",@progbits,_ZN2at6native12_GLOBAL__N_135CatArrayBatchedCopy_alignedK_contigINS1_10OpaqueTypeILj2EEEjLi3ELi64ELi64ELi16EEEvPT_NS1_25CatArrInputTensorMetadataIS5_T0_XT2_EXT3_EEENS1_16TensorSizeStrideIS8_Lj4EEEiS8_,comdat
	.globl	_ZN2at6native12_GLOBAL__N_135CatArrayBatchedCopy_alignedK_contigINS1_10OpaqueTypeILj2EEEjLi3ELi64ELi64ELi16EEEvPT_NS1_25CatArrInputTensorMetadataIS5_T0_XT2_EXT3_EEENS1_16TensorSizeStrideIS8_Lj4EEEiS8_ ; -- Begin function _ZN2at6native12_GLOBAL__N_135CatArrayBatchedCopy_alignedK_contigINS1_10OpaqueTypeILj2EEEjLi3ELi64ELi64ELi16EEEvPT_NS1_25CatArrInputTensorMetadataIS5_T0_XT2_EXT3_EEENS1_16TensorSizeStrideIS8_Lj4EEEiS8_
	.p2align	8
	.type	_ZN2at6native12_GLOBAL__N_135CatArrayBatchedCopy_alignedK_contigINS1_10OpaqueTypeILj2EEEjLi3ELi64ELi64ELi16EEEvPT_NS1_25CatArrInputTensorMetadataIS5_T0_XT2_EXT3_EEENS1_16TensorSizeStrideIS8_Lj4EEEiS8_,@function
_ZN2at6native12_GLOBAL__N_135CatArrayBatchedCopy_alignedK_contigINS1_10OpaqueTypeILj2EEEjLi3ELi64ELi64ELi16EEEvPT_NS1_25CatArrInputTensorMetadataIS5_T0_XT2_EXT3_EEENS1_16TensorSizeStrideIS8_Lj4EEEiS8_: ; @_ZN2at6native12_GLOBAL__N_135CatArrayBatchedCopy_alignedK_contigINS1_10OpaqueTypeILj2EEEjLi3ELi64ELi64ELi16EEEvPT_NS1_25CatArrInputTensorMetadataIS5_T0_XT2_EXT3_EEENS1_16TensorSizeStrideIS8_Lj4EEEiS8_
; %bb.0:
	s_mov_b32 s2, s7
	s_load_dword s7, s[4:5], 0xd7c
	s_mov_b32 s3, 0
	s_add_u32 s0, s4, 0xd70
	s_addc_u32 s1, s5, 0
	s_lshl_b64 s[2:3], s[2:3], 2
	s_waitcnt lgkmcnt(0)
	s_and_b32 s7, s7, 0xffff
	s_add_u32 s8, s4, s2
	s_addc_u32 s9, s5, s3
	s_mul_i32 s6, s6, s7
	s_load_dword s20, s[8:9], 0x408
	v_add_lshl_u32 v4, s6, v0, 3
	s_add_u32 s6, s8, 8
	s_addc_u32 s8, s9, 0
	s_mov_b32 s9, exec_lo
	s_waitcnt lgkmcnt(0)
	v_cmpx_gt_u32_e64 s20, v4
	s_cbranch_execz .LBB131_8
; %bb.1:
	s_add_u32 s14, s6, s2
	s_addc_u32 s15, s8, s3
	s_sub_u32 s2, 0, s2
	s_subb_u32 s3, 0, s3
	s_add_u32 s2, s14, s2
	s_addc_u32 s3, s15, s3
	s_clause 0x3
	s_load_dwordx2 s[12:13], s[4:5], 0x0
	s_load_dwordx2 s[16:17], s[4:5], 0xd4c
	;; [unrolled: 1-line block ×3, first 2 shown]
	s_load_dwordx4 s[8:11], s[4:5], 0xd58
	s_waitcnt lgkmcnt(0)
	s_clause 0x2
	s_load_dword s11, s[2:3], 0x200
	s_load_dwordx2 s[14:15], s[14:15], 0x0
	s_load_dword s21, s[2:3], 0x300
	v_add_nc_u32_e32 v0, 8, v4
	s_waitcnt lgkmcnt(0)
	s_mul_i32 s11, s11, s19
	s_mov_b32 s19, exec_lo
	v_cmpx_ge_u32_e64 s20, v0
	s_cbranch_execz .LBB131_5
; %bb.2:
	s_load_dword s0, s[0:1], 0x0
	v_mov_b32_e32 v5, 0
	v_add_nc_u32_e32 v15, 7, v4
	v_add_nc_u32_e32 v16, 6, v4
	;; [unrolled: 1-line block ×7, first 2 shown]
	s_mov_b32 s26, 0
	s_waitcnt lgkmcnt(0)
	s_mul_i32 s0, s0, s7
	s_lshl_b32 s22, s0, 3
	s_cmp_eq_u32 s18, 2
	s_cselect_b32 s23, s21, s17
	s_cmp_eq_u32 s18, 1
	v_cvt_f32_u32_e32 v0, s23
	s_cselect_b32 s24, s21, s16
	s_sub_i32 s25, 0, s23
	v_cvt_f32_u32_e32 v1, s24
	s_sub_i32 s0, 0, s24
	v_rcp_iflag_f32_e32 v0, v0
	v_rcp_iflag_f32_e32 v1, v1
	v_mul_f32_e32 v0, 0x4f7ffffe, v0
	v_mul_f32_e32 v1, 0x4f7ffffe, v1
	v_cvt_u32_f32_e32 v0, v0
	v_cvt_u32_f32_e32 v1, v1
	v_mul_lo_u32 v2, s25, v0
	v_mul_lo_u32 v3, s0, v1
	v_mul_hi_u32 v2, v0, v2
	v_mul_hi_u32 v3, v1, v3
	v_add_nc_u32_e32 v21, v0, v2
	v_add_nc_u32_e32 v22, v1, v3
.LBB131_3:                              ; =>This Inner Loop Header: Depth=1
	v_mul_hi_u32 v3, v21, v4
	v_mul_hi_u32 v1, v21, v15
	;; [unrolled: 1-line block ×4, first 2 shown]
	v_add_nc_u32_e32 v0, 1, v4
	v_add_nc_u32_e32 v7, 3, v4
	v_add_nc_u32_e32 v8, 4, v4
	v_lshlrev_b64 v[28:29], 1, v[4:5]
	v_not_b32_e32 v34, v3
	v_mad_u64_u32 v[30:31], null, s25, v3, v[4:5]
	v_mad_u64_u32 v[31:32], null, s25, v27, v[0:1]
	;; [unrolled: 1-line block ×3, first 2 shown]
	v_mul_hi_u32 v13, v21, v17
	v_mad_u64_u32 v[33:34], null, s23, v34, v[4:5]
	v_mul_hi_u32 v2, v21, v16
	v_add_co_u32 v28, vcc_lo, s14, v28
	v_add_nc_u32_e32 v9, 5, v4
	v_add_nc_u32_e32 v10, 6, v4
	v_add_co_ci_u32_e64 v29, null, s15, v29, vcc_lo
	v_cmp_le_u32_e32 vcc_lo, s23, v30
	v_add_nc_u32_e32 v11, 7, v4
	v_mul_hi_u32 v36, v0, v21
	v_not_b32_e32 v49, v27
	v_add_nc_u32_e32 v35, 1, v3
	v_cndmask_b32_e32 v51, v30, v33, vcc_lo
	v_mad_u64_u32 v[33:34], null, s25, v13, v[9:10]
	v_not_b32_e32 v44, v2
	v_cndmask_b32_e32 v50, v3, v35, vcc_lo
	v_mad_u64_u32 v[34:35], null, s25, v2, v[10:11]
	v_mad_u64_u32 v[2:3], null, s23, v49, v[0:1]
	v_mov_b32_e32 v12, v5
	v_add_nc_u32_e32 v0, 1, v36
	v_cmp_le_u32_e32 vcc_lo, s23, v31
	v_not_b32_e32 v43, v1
	v_not_b32_e32 v45, v13
	v_mul_hi_u32 v26, v21, v20
	v_add_nc_u32_e32 v6, 2, v4
	v_cndmask_b32_e32 v13, v36, v0, vcc_lo
	v_mad_u64_u32 v[35:36], null, s25, v1, v[11:12]
	v_cndmask_b32_e32 v31, v31, v2, vcc_lo
	global_load_dwordx4 v[0:3], v[28:29], off
	v_mul_hi_u32 v24, v21, v18
	v_mul_hi_u32 v37, v6, v21
	v_not_b32_e32 v48, v26
	v_mad_u64_u32 v[26:27], null, s25, v26, v[6:7]
	v_mul_hi_u32 v38, v7, v21
	v_not_b32_e32 v47, v25
	v_mad_u64_u32 v[27:28], null, s23, v48, v[6:7]
	v_not_b32_e32 v46, v24
	v_mad_u64_u32 v[24:25], null, s25, v24, v[8:9]
	v_add_nc_u32_e32 v25, 1, v37
	v_cmp_le_u32_e32 vcc_lo, s23, v26
	v_mul_hi_u32 v39, v8, v21
	v_mul_hi_u32 v41, v10, v21
	v_cmp_le_u32_e64 s1, s23, v34
	v_mul_hi_u32 v40, v9, v21
	v_cndmask_b32_e32 v36, v37, v25, vcc_lo
	v_cndmask_b32_e32 v37, v26, v27, vcc_lo
	v_add_nc_u32_e32 v27, 1, v38
	v_mad_u64_u32 v[25:26], null, s23, v47, v[7:8]
	v_cmp_le_u32_e32 vcc_lo, s23, v32
	v_add_nc_u32_e32 v29, 1, v39
	v_cmp_le_u32_e64 s0, s23, v33
	v_add_nc_u32_e32 v30, 1, v40
	v_mul_hi_u32 v42, v11, v21
	v_cndmask_b32_e32 v38, v38, v27, vcc_lo
	v_mad_u64_u32 v[26:27], null, s23, v46, v[8:9]
	v_cndmask_b32_e32 v25, v32, v25, vcc_lo
	v_add_nc_u32_e32 v32, 1, v41
	v_cmp_le_u32_e32 vcc_lo, s23, v24
	v_mad_u64_u32 v[27:28], null, s23, v45, v[9:10]
	v_cndmask_b32_e64 v40, v40, v30, s0
	v_cndmask_b32_e64 v32, v41, v32, s1
	v_cndmask_b32_e32 v39, v39, v29, vcc_lo
	v_add_nc_u32_e32 v41, 1, v50
	v_cndmask_b32_e32 v24, v24, v26, vcc_lo
	v_cmp_le_u32_e32 vcc_lo, s23, v51
	v_mad_u64_u32 v[28:29], null, s23, v44, v[10:11]
	v_cndmask_b32_e64 v26, v33, v27, s0
	v_add_nc_u32_e32 v33, 1, v36
	v_cndmask_b32_e32 v41, v50, v41, vcc_lo
	v_cmp_le_u32_e32 vcc_lo, s23, v37
	v_mad_u64_u32 v[29:30], null, s23, v43, v[11:12]
	v_cndmask_b32_e64 v27, v34, v28, s1
	v_cmp_le_u32_e64 s2, s23, v35
	v_cndmask_b32_e32 v37, v36, v33, vcc_lo
	v_add_nc_u32_e32 v44, 1, v42
	v_add_nc_u32_e32 v34, 1, v38
	v_cmp_le_u32_e64 s3, s23, v27
	v_cmp_le_u32_e64 s0, s23, v25
	v_mul_hi_u32 v27, v37, v22
	v_cndmask_b32_e64 v28, v35, v29, s2
	v_add_nc_u32_e32 v29, 1, v13
	v_add_nc_u32_e32 v35, 1, v39
	v_cmp_le_u32_e64 s1, s23, v24
	v_cmp_le_u32_e64 s5, s23, v31
	v_cndmask_b32_e64 v30, v42, v44, s2
	v_add_nc_u32_e32 v42, 1, v40
	v_add_nc_u32_e32 v43, 1, v32
	v_cmp_le_u32_e64 s2, s23, v26
	v_cndmask_b32_e64 v38, v38, v34, s0
	v_mul_lo_u32 v46, v27, s24
	v_cmp_le_u32_e64 s4, s23, v28
	v_cndmask_b32_e64 v28, v13, v29, s5
	v_cndmask_b32_e64 v39, v39, v35, s1
	v_mul_hi_u32 v13, v41, v22
	v_cndmask_b32_e64 v40, v40, v42, s2
	v_cndmask_b32_e64 v42, v32, v43, s3
	v_mul_hi_u32 v29, v38, v22
	v_mul_hi_u32 v31, v39, v22
	v_sub_nc_u32_e32 v46, v37, v46
	v_mad_u64_u32 v[24:25], null, s25, v41, v[4:5]
	v_mul_hi_u32 v33, v42, v22
	v_mul_lo_u32 v36, v13, s24
	v_add_nc_u32_e32 v47, 1, v27
	v_mul_lo_u32 v48, v29, s24
	v_cmp_le_u32_e64 s2, s24, v46
	v_mad_u64_u32 v[25:26], null, s25, v28, v[4:5]
	v_add_nc_u32_e32 v44, 1, v30
	v_mul_hi_u32 v26, v28, v22
	v_mul_lo_u32 v50, v31, s24
	v_add_nc_u32_e32 v4, s22, v4
	v_sub_nc_u32_e32 v36, v41, v36
	v_cndmask_b32_e64 v47, v27, v47, s2
	v_mul_lo_u32 v27, v33, s24
	v_cndmask_b32_e64 v30, v30, v44, s4
	v_mul_hi_u32 v32, v40, v22
	v_sub_nc_u32_e32 v48, v38, v48
	v_add_nc_u32_e32 v35, 8, v4
	v_add_nc_u32_e32 v43, 1, v13
	v_mul_lo_u32 v44, s10, v25
	v_mul_lo_u32 v25, v26, s24
	v_cmp_le_u32_e64 s0, s24, v36
	v_sub_nc_u32_e32 v50, v39, v50
	v_mul_hi_u32 v34, v30, v22
	v_add_nc_u32_e32 v49, 1, v29
	v_cmp_le_u32_e64 s3, s24, v48
	v_sub_nc_u32_e32 v27, v42, v27
	v_cmp_lt_u32_e32 vcc_lo, s20, v35
	v_add_nc_u32_e32 v35, 1, v31
	v_cndmask_b32_e64 v13, v13, v43, s0
	v_mul_lo_u32 v43, v32, s24
	v_cmp_le_u32_e64 s4, s24, v50
	v_sub_nc_u32_e32 v25, v28, v25
	v_cndmask_b32_e64 v29, v29, v49, s3
	v_add_nc_u32_e32 v49, 1, v33
	v_cmp_le_u32_e64 s6, s24, v27
	v_cndmask_b32_e64 v31, v31, v35, s4
	v_mul_lo_u32 v35, v34, s24
	v_add_nc_u32_e32 v45, 1, v26
	v_cmp_le_u32_e64 s1, s24, v25
	v_sub_nc_u32_e32 v43, v40, v43
	v_cndmask_b32_e64 v33, v33, v49, s6
	v_subrev_nc_u32_e32 v49, s24, v36
	v_mov_b32_e32 v14, v5
	v_cndmask_b32_e64 v26, v26, v45, s1
	v_add_nc_u32_e32 v45, 1, v32
	v_cmp_le_u32_e64 s5, s24, v43
	v_sub_nc_u32_e32 v35, v30, v35
	v_cndmask_b32_e64 v36, v36, v49, s0
	v_subrev_nc_u32_e32 v49, s24, v46
	s_or_b32 s26, vcc_lo, s26
	v_cndmask_b32_e64 v32, v32, v45, s5
	v_add_nc_u32_e32 v45, 1, v34
	v_cmp_le_u32_e64 s7, s24, v35
	v_cndmask_b32_e64 v46, v46, v49, s2
	v_subrev_nc_u32_e32 v49, s24, v50
	v_cmp_le_u32_e64 s0, s24, v36
	v_add_nc_u32_e32 v15, s22, v15
	v_cndmask_b32_e64 v34, v34, v45, s7
	v_subrev_nc_u32_e32 v45, s24, v25
	v_cndmask_b32_e64 v49, v50, v49, s4
	v_subrev_nc_u32_e32 v50, s24, v27
	v_add_nc_u32_e32 v16, s22, v16
	v_add_nc_u32_e32 v17, s22, v17
	v_cndmask_b32_e64 v45, v25, v45, s1
	v_subrev_nc_u32_e32 v25, s24, v48
	v_cndmask_b32_e64 v50, v27, v50, s6
	v_add_nc_u32_e32 v27, 1, v13
	v_add_nc_u32_e32 v18, s22, v18
	;; [unrolled: 1-line block ×3, first 2 shown]
	v_cndmask_b32_e64 v48, v48, v25, s3
	v_subrev_nc_u32_e32 v25, s24, v43
	v_cndmask_b32_e64 v36, v13, v27, s0
	v_add_nc_u32_e32 v13, 1, v26
	v_cmp_le_u32_e64 s0, s24, v45
	v_add_nc_u32_e32 v45, 1, v47
	v_cndmask_b32_e64 v43, v43, v25, s5
	v_subrev_nc_u32_e32 v25, s24, v35
	v_mov_b32_e32 v27, v5
	v_cndmask_b32_e64 v26, v26, v13, s0
	v_cmp_le_u32_e64 s0, s24, v46
	v_add_nc_u32_e32 v13, 1, v29
	v_add_nc_u32_e32 v46, 1, v31
	v_cndmask_b32_e64 v35, v35, v25, s7
	v_mov_b32_e32 v25, v5
	v_cndmask_b32_e64 v45, v47, v45, s0
	v_cmp_le_u32_e64 s0, s24, v48
	v_add_nc_u32_e32 v20, s22, v20
	v_add_nc_u32_e32 v23, s22, v23
	v_cndmask_b32_e64 v47, v29, v13, s0
	v_cmp_le_u32_e64 s0, s24, v49
	v_add_nc_u32_e32 v13, 1, v32
	v_mov_b32_e32 v29, v5
	v_cndmask_b32_e64 v46, v31, v46, s0
	v_cmp_le_u32_e64 s0, s24, v43
	v_add_nc_u32_e32 v43, 1, v33
	v_mov_b32_e32 v31, v5
	v_cndmask_b32_e64 v48, v32, v13, s0
	v_cmp_le_u32_e64 s0, s24, v50
	v_add_nc_u32_e32 v13, 1, v34
	v_cndmask_b32_e64 v43, v33, v43, s0
	v_cmp_le_u32_e64 s0, s24, v35
	v_cndmask_b32_e64 v49, v34, v13, s0
	v_mad_u64_u32 v[34:35], null, s25, v37, v[6:7]
	v_mad_u64_u32 v[6:7], null, s25, v38, v[7:8]
	;; [unrolled: 1-line block ×4, first 2 shown]
	v_mul_lo_u32 v13, v36, s8
	v_mul_lo_u32 v9, v36, s24
	v_mad_u64_u32 v[32:33], null, v24, s10, v[13:14]
	v_sub_nc_u32_e32 v24, v41, v9
	v_mul_lo_u32 v9, v26, s24
	v_mul_lo_u32 v13, v26, s8
	;; [unrolled: 1-line block ×3, first 2 shown]
	v_mov_b32_e32 v33, v5
	v_sub_nc_u32_e32 v26, v28, v9
	v_mul_lo_u32 v9, v45, s8
	v_add3_u32 v28, v44, s10, v13
	v_mul_lo_u32 v13, v47, s24
	v_sub_nc_u32_e32 v40, v40, v41
	v_mad_u64_u32 v[34:35], null, v34, s10, v[9:10]
	v_mul_lo_u32 v9, v47, s8
	v_sub_nc_u32_e32 v38, v38, v13
	v_mul_lo_u32 v13, v49, s8
	v_mad_u64_u32 v[35:36], null, v6, s10, v[9:10]
	v_mad_u64_u32 v[9:10], null, s25, v42, v[10:11]
	;; [unrolled: 1-line block ×3, first 2 shown]
	v_mul_lo_u32 v11, v45, s24
	v_mul_lo_u32 v6, v46, s8
	;; [unrolled: 1-line block ×3, first 2 shown]
	v_sub_nc_u32_e32 v44, v37, v11
	v_mul_lo_u32 v37, v43, s24
	v_mul_lo_u32 v11, v43, s8
	;; [unrolled: 1-line block ×3, first 2 shown]
	v_mad_u64_u32 v[6:7], null, v7, s10, v[6:7]
	v_mul_lo_u32 v7, v48, s8
	v_sub_nc_u32_e32 v39, v39, v36
	v_sub_nc_u32_e32 v41, v42, v37
	v_mad_u64_u32 v[36:37], null, v9, s10, v[11:12]
	v_mad_u64_u32 v[9:10], null, v10, s10, v[13:14]
	v_sub_nc_u32_e32 v11, v30, v43
	v_mul_lo_u32 v10, v24, s9
	v_mul_lo_u32 v13, v26, s9
	;; [unrolled: 1-line block ×3, first 2 shown]
	v_mad_u64_u32 v[7:8], null, v8, s10, v[7:8]
	v_mul_lo_u32 v30, v39, s9
	v_mul_lo_u32 v37, v40, s9
	;; [unrolled: 1-line block ×4, first 2 shown]
	v_add3_u32 v11, v32, v10, s11
	v_add3_u32 v13, v28, v13, s11
	v_mul_lo_u32 v38, v41, s9
	v_add3_u32 v24, v34, v24, s11
	v_add3_u32 v28, v6, v30, s11
	;; [unrolled: 1-line block ×4, first 2 shown]
	v_lshlrev_b64 v[9:10], 1, v[11:12]
	v_mov_b32_e32 v8, v5
	v_add3_u32 v26, v35, v26, s11
	v_lshlrev_b64 v[11:12], 1, v[13:14]
	v_lshlrev_b64 v[13:14], 1, v[24:25]
	v_add3_u32 v32, v36, v38, s11
	v_lshlrev_b64 v[6:7], 1, v[7:8]
	v_lshlrev_b64 v[24:25], 1, v[26:27]
	v_add_co_u32 v8, vcc_lo, s12, v9
	v_lshlrev_b64 v[26:27], 1, v[28:29]
	v_add_co_ci_u32_e64 v9, null, s13, v10, vcc_lo
	v_add_co_u32 v10, vcc_lo, s12, v11
	v_lshlrev_b64 v[28:29], 1, v[30:31]
	v_add_co_ci_u32_e64 v11, null, s13, v12, vcc_lo
	v_add_co_u32 v12, vcc_lo, s12, v13
	v_lshlrev_b64 v[30:31], 1, v[32:33]
	v_add_co_ci_u32_e64 v13, null, s13, v14, vcc_lo
	v_add_co_u32 v24, vcc_lo, s12, v24
	v_add_co_ci_u32_e64 v25, null, s13, v25, vcc_lo
	v_add_co_u32 v26, vcc_lo, s12, v26
	v_add_co_ci_u32_e64 v27, null, s13, v27, vcc_lo
	;; [unrolled: 2-line block ×5, first 2 shown]
	s_waitcnt vmcnt(0)
	global_store_short v[8:9], v0, off
	global_store_short_d16_hi v[10:11], v0, off
	global_store_short v[12:13], v1, off
	global_store_short_d16_hi v[24:25], v1, off
	;; [unrolled: 2-line block ×4, first 2 shown]
	s_andn2_b32 exec_lo, exec_lo, s26
	s_cbranch_execnz .LBB131_3
; %bb.4:
	s_or_b32 exec_lo, exec_lo, s26
.LBB131_5:
	s_or_b32 exec_lo, exec_lo, s19
	v_cmp_gt_u32_e32 vcc_lo, s20, v4
	s_and_b32 exec_lo, exec_lo, vcc_lo
	s_cbranch_execz .LBB131_8
; %bb.6:
	s_cmp_eq_u32 s18, 2
	s_mov_b32 s5, 0
	s_cselect_b32 s2, s21, s17
	s_cmp_eq_u32 s18, 1
	v_cvt_f32_u32_e32 v0, s2
	s_cselect_b32 s3, s21, s16
	s_sub_i32 s4, 0, s2
	v_cvt_f32_u32_e32 v1, s3
	s_sub_i32 s0, 0, s3
	v_rcp_iflag_f32_e32 v0, v0
	v_rcp_iflag_f32_e32 v1, v1
	v_mul_f32_e32 v0, 0x4f7ffffe, v0
	v_mul_f32_e32 v1, 0x4f7ffffe, v1
	v_cvt_u32_f32_e32 v0, v0
	v_cvt_u32_f32_e32 v2, v1
	v_mov_b32_e32 v1, 0
	v_mul_lo_u32 v3, s4, v0
	v_mul_lo_u32 v5, s0, v2
	v_mul_hi_u32 v3, v0, v3
	v_mul_hi_u32 v8, v2, v5
	v_mov_b32_e32 v5, v1
	v_add_nc_u32_e32 v7, v0, v3
	v_lshlrev_b64 v[5:6], 1, v[4:5]
	v_add_nc_u32_e32 v8, v2, v8
	v_mad_u64_u32 v[2:3], null, v4, v7, 0
	v_add_co_u32 v5, vcc_lo, s14, v5
	v_add_co_ci_u32_e64 v6, null, s15, v6, vcc_lo
.LBB131_7:                              ; =>This Inner Loop Header: Depth=1
	global_load_ushort v11, v[5:6], off
	v_mul_lo_u32 v0, s2, v3
	v_not_b32_e32 v9, v3
	v_add_nc_u32_e32 v12, 1, v3
	v_mad_u64_u32 v[9:10], null, s2, v9, v[4:5]
	v_sub_nc_u32_e32 v0, v4, v0
	v_cmp_le_u32_e32 vcc_lo, s2, v0
	v_cndmask_b32_e32 v10, v3, v12, vcc_lo
	v_cndmask_b32_e32 v0, v0, v9, vcc_lo
	v_add_nc_u32_e32 v9, 1, v10
	v_cmp_le_u32_e32 vcc_lo, s2, v0
	v_cndmask_b32_e32 v12, v10, v9, vcc_lo
	v_add_co_u32 v2, vcc_lo, v2, v7
	v_add_co_ci_u32_e64 v3, null, 0, v3, vcc_lo
	v_mul_hi_u32 v0, v12, v8
	v_mul_lo_u32 v9, v0, s3
	v_add_nc_u32_e32 v10, 1, v0
	v_sub_nc_u32_e32 v9, v12, v9
	v_subrev_nc_u32_e32 v13, s3, v9
	v_cmp_le_u32_e64 s0, s3, v9
	v_cndmask_b32_e64 v0, v0, v10, s0
	v_cndmask_b32_e64 v9, v9, v13, s0
	v_add_nc_u32_e32 v10, 1, v0
	v_cmp_le_u32_e64 s0, s3, v9
	v_cndmask_b32_e64 v0, v0, v10, s0
	v_mad_u64_u32 v[9:10], null, s4, v12, v[4:5]
	v_add_nc_u32_e32 v4, 1, v4
	v_add_co_u32 v5, s0, v5, 2
	v_mul_lo_u32 v10, v0, s3
	v_mul_lo_u32 v0, v0, s8
	v_add_co_ci_u32_e64 v6, null, 0, v6, s0
	v_cmp_le_u32_e64 s0, s20, v4
	v_sub_nc_u32_e32 v12, v12, v10
	v_mad_u64_u32 v[9:10], null, v9, s10, v[0:1]
	s_or_b32 s5, s0, s5
	v_mul_lo_u32 v0, v12, s9
	v_add3_u32 v0, v9, v0, s11
	v_lshlrev_b64 v[9:10], 1, v[0:1]
	v_add_co_u32 v9, s1, s12, v9
	v_add_co_ci_u32_e64 v10, null, s13, v10, s1
	s_waitcnt vmcnt(0)
	global_store_short v[9:10], v11, off
	s_andn2_b32 exec_lo, exec_lo, s5
	s_cbranch_execnz .LBB131_7
.LBB131_8:
	s_endpgm
	.section	.rodata,"a",@progbits
	.p2align	6, 0x0
	.amdhsa_kernel _ZN2at6native12_GLOBAL__N_135CatArrayBatchedCopy_alignedK_contigINS1_10OpaqueTypeILj2EEEjLi3ELi64ELi64ELi16EEEvPT_NS1_25CatArrInputTensorMetadataIS5_T0_XT2_EXT3_EEENS1_16TensorSizeStrideIS8_Lj4EEEiS8_
		.amdhsa_group_segment_fixed_size 0
		.amdhsa_private_segment_fixed_size 0
		.amdhsa_kernarg_size 3696
		.amdhsa_user_sgpr_count 6
		.amdhsa_user_sgpr_private_segment_buffer 1
		.amdhsa_user_sgpr_dispatch_ptr 0
		.amdhsa_user_sgpr_queue_ptr 0
		.amdhsa_user_sgpr_kernarg_segment_ptr 1
		.amdhsa_user_sgpr_dispatch_id 0
		.amdhsa_user_sgpr_flat_scratch_init 0
		.amdhsa_user_sgpr_private_segment_size 0
		.amdhsa_wavefront_size32 1
		.amdhsa_uses_dynamic_stack 0
		.amdhsa_system_sgpr_private_segment_wavefront_offset 0
		.amdhsa_system_sgpr_workgroup_id_x 1
		.amdhsa_system_sgpr_workgroup_id_y 1
		.amdhsa_system_sgpr_workgroup_id_z 0
		.amdhsa_system_sgpr_workgroup_info 0
		.amdhsa_system_vgpr_workitem_id 0
		.amdhsa_next_free_vgpr 52
		.amdhsa_next_free_sgpr 27
		.amdhsa_reserve_vcc 1
		.amdhsa_reserve_flat_scratch 0
		.amdhsa_float_round_mode_32 0
		.amdhsa_float_round_mode_16_64 0
		.amdhsa_float_denorm_mode_32 3
		.amdhsa_float_denorm_mode_16_64 3
		.amdhsa_dx10_clamp 1
		.amdhsa_ieee_mode 1
		.amdhsa_fp16_overflow 0
		.amdhsa_workgroup_processor_mode 1
		.amdhsa_memory_ordered 1
		.amdhsa_forward_progress 1
		.amdhsa_shared_vgpr_count 0
		.amdhsa_exception_fp_ieee_invalid_op 0
		.amdhsa_exception_fp_denorm_src 0
		.amdhsa_exception_fp_ieee_div_zero 0
		.amdhsa_exception_fp_ieee_overflow 0
		.amdhsa_exception_fp_ieee_underflow 0
		.amdhsa_exception_fp_ieee_inexact 0
		.amdhsa_exception_int_div_zero 0
	.end_amdhsa_kernel
	.section	.text._ZN2at6native12_GLOBAL__N_135CatArrayBatchedCopy_alignedK_contigINS1_10OpaqueTypeILj2EEEjLi3ELi64ELi64ELi16EEEvPT_NS1_25CatArrInputTensorMetadataIS5_T0_XT2_EXT3_EEENS1_16TensorSizeStrideIS8_Lj4EEEiS8_,"axG",@progbits,_ZN2at6native12_GLOBAL__N_135CatArrayBatchedCopy_alignedK_contigINS1_10OpaqueTypeILj2EEEjLi3ELi64ELi64ELi16EEEvPT_NS1_25CatArrInputTensorMetadataIS5_T0_XT2_EXT3_EEENS1_16TensorSizeStrideIS8_Lj4EEEiS8_,comdat
.Lfunc_end131:
	.size	_ZN2at6native12_GLOBAL__N_135CatArrayBatchedCopy_alignedK_contigINS1_10OpaqueTypeILj2EEEjLi3ELi64ELi64ELi16EEEvPT_NS1_25CatArrInputTensorMetadataIS5_T0_XT2_EXT3_EEENS1_16TensorSizeStrideIS8_Lj4EEEiS8_, .Lfunc_end131-_ZN2at6native12_GLOBAL__N_135CatArrayBatchedCopy_alignedK_contigINS1_10OpaqueTypeILj2EEEjLi3ELi64ELi64ELi16EEEvPT_NS1_25CatArrInputTensorMetadataIS5_T0_XT2_EXT3_EEENS1_16TensorSizeStrideIS8_Lj4EEEiS8_
                                        ; -- End function
	.set _ZN2at6native12_GLOBAL__N_135CatArrayBatchedCopy_alignedK_contigINS1_10OpaqueTypeILj2EEEjLi3ELi64ELi64ELi16EEEvPT_NS1_25CatArrInputTensorMetadataIS5_T0_XT2_EXT3_EEENS1_16TensorSizeStrideIS8_Lj4EEEiS8_.num_vgpr, 52
	.set _ZN2at6native12_GLOBAL__N_135CatArrayBatchedCopy_alignedK_contigINS1_10OpaqueTypeILj2EEEjLi3ELi64ELi64ELi16EEEvPT_NS1_25CatArrInputTensorMetadataIS5_T0_XT2_EXT3_EEENS1_16TensorSizeStrideIS8_Lj4EEEiS8_.num_agpr, 0
	.set _ZN2at6native12_GLOBAL__N_135CatArrayBatchedCopy_alignedK_contigINS1_10OpaqueTypeILj2EEEjLi3ELi64ELi64ELi16EEEvPT_NS1_25CatArrInputTensorMetadataIS5_T0_XT2_EXT3_EEENS1_16TensorSizeStrideIS8_Lj4EEEiS8_.numbered_sgpr, 27
	.set _ZN2at6native12_GLOBAL__N_135CatArrayBatchedCopy_alignedK_contigINS1_10OpaqueTypeILj2EEEjLi3ELi64ELi64ELi16EEEvPT_NS1_25CatArrInputTensorMetadataIS5_T0_XT2_EXT3_EEENS1_16TensorSizeStrideIS8_Lj4EEEiS8_.num_named_barrier, 0
	.set _ZN2at6native12_GLOBAL__N_135CatArrayBatchedCopy_alignedK_contigINS1_10OpaqueTypeILj2EEEjLi3ELi64ELi64ELi16EEEvPT_NS1_25CatArrInputTensorMetadataIS5_T0_XT2_EXT3_EEENS1_16TensorSizeStrideIS8_Lj4EEEiS8_.private_seg_size, 0
	.set _ZN2at6native12_GLOBAL__N_135CatArrayBatchedCopy_alignedK_contigINS1_10OpaqueTypeILj2EEEjLi3ELi64ELi64ELi16EEEvPT_NS1_25CatArrInputTensorMetadataIS5_T0_XT2_EXT3_EEENS1_16TensorSizeStrideIS8_Lj4EEEiS8_.uses_vcc, 1
	.set _ZN2at6native12_GLOBAL__N_135CatArrayBatchedCopy_alignedK_contigINS1_10OpaqueTypeILj2EEEjLi3ELi64ELi64ELi16EEEvPT_NS1_25CatArrInputTensorMetadataIS5_T0_XT2_EXT3_EEENS1_16TensorSizeStrideIS8_Lj4EEEiS8_.uses_flat_scratch, 0
	.set _ZN2at6native12_GLOBAL__N_135CatArrayBatchedCopy_alignedK_contigINS1_10OpaqueTypeILj2EEEjLi3ELi64ELi64ELi16EEEvPT_NS1_25CatArrInputTensorMetadataIS5_T0_XT2_EXT3_EEENS1_16TensorSizeStrideIS8_Lj4EEEiS8_.has_dyn_sized_stack, 0
	.set _ZN2at6native12_GLOBAL__N_135CatArrayBatchedCopy_alignedK_contigINS1_10OpaqueTypeILj2EEEjLi3ELi64ELi64ELi16EEEvPT_NS1_25CatArrInputTensorMetadataIS5_T0_XT2_EXT3_EEENS1_16TensorSizeStrideIS8_Lj4EEEiS8_.has_recursion, 0
	.set _ZN2at6native12_GLOBAL__N_135CatArrayBatchedCopy_alignedK_contigINS1_10OpaqueTypeILj2EEEjLi3ELi64ELi64ELi16EEEvPT_NS1_25CatArrInputTensorMetadataIS5_T0_XT2_EXT3_EEENS1_16TensorSizeStrideIS8_Lj4EEEiS8_.has_indirect_call, 0
	.section	.AMDGPU.csdata,"",@progbits
; Kernel info:
; codeLenInByte = 2820
; TotalNumSgprs: 29
; NumVgprs: 52
; ScratchSize: 0
; MemoryBound: 0
; FloatMode: 240
; IeeeMode: 1
; LDSByteSize: 0 bytes/workgroup (compile time only)
; SGPRBlocks: 0
; VGPRBlocks: 6
; NumSGPRsForWavesPerEU: 29
; NumVGPRsForWavesPerEU: 52
; Occupancy: 16
; WaveLimiterHint : 1
; COMPUTE_PGM_RSRC2:SCRATCH_EN: 0
; COMPUTE_PGM_RSRC2:USER_SGPR: 6
; COMPUTE_PGM_RSRC2:TRAP_HANDLER: 0
; COMPUTE_PGM_RSRC2:TGID_X_EN: 1
; COMPUTE_PGM_RSRC2:TGID_Y_EN: 1
; COMPUTE_PGM_RSRC2:TGID_Z_EN: 0
; COMPUTE_PGM_RSRC2:TIDIG_COMP_CNT: 0
	.section	.text._ZN2at6native12_GLOBAL__N_135CatArrayBatchedCopy_alignedK_contigINS1_10OpaqueTypeILj2EEEjLi3ELi64ELi64ELi8EEEvPT_NS1_25CatArrInputTensorMetadataIS5_T0_XT2_EXT3_EEENS1_16TensorSizeStrideIS8_Lj4EEEiS8_,"axG",@progbits,_ZN2at6native12_GLOBAL__N_135CatArrayBatchedCopy_alignedK_contigINS1_10OpaqueTypeILj2EEEjLi3ELi64ELi64ELi8EEEvPT_NS1_25CatArrInputTensorMetadataIS5_T0_XT2_EXT3_EEENS1_16TensorSizeStrideIS8_Lj4EEEiS8_,comdat
	.globl	_ZN2at6native12_GLOBAL__N_135CatArrayBatchedCopy_alignedK_contigINS1_10OpaqueTypeILj2EEEjLi3ELi64ELi64ELi8EEEvPT_NS1_25CatArrInputTensorMetadataIS5_T0_XT2_EXT3_EEENS1_16TensorSizeStrideIS8_Lj4EEEiS8_ ; -- Begin function _ZN2at6native12_GLOBAL__N_135CatArrayBatchedCopy_alignedK_contigINS1_10OpaqueTypeILj2EEEjLi3ELi64ELi64ELi8EEEvPT_NS1_25CatArrInputTensorMetadataIS5_T0_XT2_EXT3_EEENS1_16TensorSizeStrideIS8_Lj4EEEiS8_
	.p2align	8
	.type	_ZN2at6native12_GLOBAL__N_135CatArrayBatchedCopy_alignedK_contigINS1_10OpaqueTypeILj2EEEjLi3ELi64ELi64ELi8EEEvPT_NS1_25CatArrInputTensorMetadataIS5_T0_XT2_EXT3_EEENS1_16TensorSizeStrideIS8_Lj4EEEiS8_,@function
_ZN2at6native12_GLOBAL__N_135CatArrayBatchedCopy_alignedK_contigINS1_10OpaqueTypeILj2EEEjLi3ELi64ELi64ELi8EEEvPT_NS1_25CatArrInputTensorMetadataIS5_T0_XT2_EXT3_EEENS1_16TensorSizeStrideIS8_Lj4EEEiS8_: ; @_ZN2at6native12_GLOBAL__N_135CatArrayBatchedCopy_alignedK_contigINS1_10OpaqueTypeILj2EEEjLi3ELi64ELi64ELi8EEEvPT_NS1_25CatArrInputTensorMetadataIS5_T0_XT2_EXT3_EEENS1_16TensorSizeStrideIS8_Lj4EEEiS8_
; %bb.0:
	s_mov_b32 s2, s7
	s_load_dword s7, s[4:5], 0xd7c
	s_mov_b32 s3, 0
	s_add_u32 s0, s4, 0xd70
	s_addc_u32 s1, s5, 0
	s_lshl_b64 s[2:3], s[2:3], 2
	s_waitcnt lgkmcnt(0)
	s_and_b32 s18, s7, 0xffff
	s_add_u32 s8, s4, s2
	s_addc_u32 s9, s5, s3
	s_mul_i32 s6, s6, s18
	s_load_dword s16, s[8:9], 0x408
	v_add_lshl_u32 v0, s6, v0, 2
	s_add_u32 s6, s8, 8
	s_addc_u32 s7, s9, 0
	s_mov_b32 s8, exec_lo
	s_waitcnt lgkmcnt(0)
	v_cmpx_gt_u32_e64 s16, v0
	s_cbranch_execz .LBB132_8
; %bb.1:
	s_add_u32 s10, s6, s2
	s_addc_u32 s11, s7, s3
	s_sub_u32 s2, 0, s2
	s_subb_u32 s3, 0, s3
	s_add_u32 s2, s10, s2
	s_addc_u32 s3, s11, s3
	s_clause 0x3
	s_load_dwordx2 s[8:9], s[4:5], 0x0
	s_load_dwordx2 s[12:13], s[4:5], 0xd4c
	;; [unrolled: 1-line block ×3, first 2 shown]
	s_load_dwordx4 s[4:7], s[4:5], 0xd58
	s_waitcnt lgkmcnt(0)
	s_clause 0x2
	s_load_dword s7, s[2:3], 0x200
	s_load_dwordx2 s[10:11], s[10:11], 0x0
	s_load_dword s17, s[2:3], 0x300
	v_add_nc_u32_e32 v1, 4, v0
	s_waitcnt lgkmcnt(0)
	s_mul_i32 s7, s7, s15
	s_mov_b32 s15, exec_lo
	v_cmpx_ge_u32_e64 s16, v1
	s_cbranch_execz .LBB132_5
; %bb.2:
	s_load_dword s0, s[0:1], 0x0
	v_add_nc_u32_e32 v3, 2, v0
	s_mov_b32 s22, 0
	s_waitcnt lgkmcnt(0)
	s_mul_i32 s0, s0, s18
	s_lshl_b32 s18, s0, 2
	s_cmp_eq_u32 s14, 2
	s_cselect_b32 s19, s17, s13
	s_cmp_eq_u32 s14, 1
	v_cvt_f32_u32_e32 v1, s19
	s_cselect_b32 s20, s17, s12
	s_sub_i32 s21, 0, s19
	v_cvt_f32_u32_e32 v2, s20
	s_sub_i32 s0, 0, s20
	v_rcp_iflag_f32_e32 v1, v1
	v_rcp_iflag_f32_e32 v2, v2
	v_mul_f32_e32 v1, 0x4f7ffffe, v1
	v_mul_f32_e32 v2, 0x4f7ffffe, v2
	v_cvt_u32_f32_e32 v4, v1
	v_cvt_u32_f32_e32 v5, v2
	v_mul_lo_u32 v1, s21, v4
	v_mul_lo_u32 v2, s0, v5
	v_mul_hi_u32 v6, v4, v1
	v_mov_b32_e32 v1, 0
	v_mul_hi_u32 v7, v5, v2
	v_add_nc_u32_e32 v2, 3, v0
	v_add_nc_u32_e32 v4, v4, v6
	v_add_nc_u32_e32 v6, 1, v0
	v_add_nc_u32_e32 v5, v5, v7
.LBB132_3:                              ; =>This Inner Loop Header: Depth=1
	v_lshlrev_b64 v[7:8], 1, v[0:1]
	v_mul_hi_u32 v13, v4, v0
	v_mul_hi_u32 v21, v4, v6
	;; [unrolled: 1-line block ×4, first 2 shown]
	v_add_nc_u32_e32 v9, 1, v0
	v_add_co_u32 v7, vcc_lo, s10, v7
	v_add_co_ci_u32_e64 v8, null, s11, v8, vcc_lo
	v_add_nc_u32_e32 v10, 2, v0
	v_add_nc_u32_e32 v11, 3, v0
	v_mov_b32_e32 v12, v1
	global_load_dwordx2 v[7:8], v[7:8], off
	v_not_b32_e32 v24, v13
	v_mad_u64_u32 v[19:20], null, s21, v13, v[0:1]
	v_not_b32_e32 v25, v21
	v_mad_u64_u32 v[20:21], null, s21, v21, v[9:10]
	v_mad_u64_u32 v[21:22], null, s21, v17, v[10:11]
	;; [unrolled: 1-line block ×3, first 2 shown]
	v_mul_hi_u32 v28, v9, v4
	v_mad_u64_u32 v[23:24], null, s19, v24, v[0:1]
	v_add_nc_u32_e32 v31, 1, v13
	v_cmp_le_u32_e32 vcc_lo, s19, v19
	v_not_b32_e32 v26, v17
	v_mul_hi_u32 v30, v11, v4
	v_not_b32_e32 v27, v15
	v_mad_u64_u32 v[24:25], null, s19, v25, v[9:10]
	v_add_nc_u32_e32 v15, 1, v28
	v_cndmask_b32_e32 v13, v13, v31, vcc_lo
	v_cmp_le_u32_e64 s2, s19, v20
	v_cndmask_b32_e32 v19, v19, v23, vcc_lo
	v_mad_u64_u32 v[25:26], null, s19, v26, v[10:11]
	v_mul_hi_u32 v29, v10, v4
	v_mad_u64_u32 v[26:27], null, s19, v27, v[11:12]
	v_add_nc_u32_e32 v17, 1, v30
	v_cmp_le_u32_e64 s1, s19, v22
	v_cndmask_b32_e64 v15, v28, v15, s2
	v_add_nc_u32_e32 v23, 1, v13
	v_cndmask_b32_e64 v20, v20, v24, s2
	v_cmp_le_u32_e32 vcc_lo, s19, v19
	v_add_nc_u32_e32 v9, 1, v29
	v_cmp_le_u32_e64 s0, s19, v21
	v_cndmask_b32_e64 v17, v30, v17, s1
	v_cndmask_b32_e64 v22, v22, v26, s1
	v_add_nc_u32_e32 v24, 1, v15
	v_cndmask_b32_e32 v23, v13, v23, vcc_lo
	v_cmp_le_u32_e64 s1, s19, v20
	v_cndmask_b32_e64 v9, v29, v9, s0
	v_cndmask_b32_e64 v21, v21, v25, s0
	v_cmp_le_u32_e64 s0, s19, v22
	v_mul_hi_u32 v13, v23, v5
	v_cndmask_b32_e64 v22, v15, v24, s1
	v_add_nc_u32_e32 v26, 1, v17
	v_mad_u64_u32 v[19:20], null, s21, v23, v[0:1]
	v_add_nc_u32_e32 v25, 1, v9
	v_cmp_le_u32_e32 vcc_lo, s19, v21
	v_mad_u64_u32 v[20:21], null, s21, v22, v[0:1]
	v_mul_hi_u32 v15, v22, v5
	v_add_nc_u32_e32 v0, s18, v0
	v_cndmask_b32_e64 v17, v17, v26, s0
	v_mul_lo_u32 v26, v13, s20
	v_cndmask_b32_e32 v24, v9, v25, vcc_lo
	v_add_nc_u32_e32 v27, 1, v13
	v_add_nc_u32_e32 v25, 4, v0
	v_mul_lo_u32 v28, s6, v20
	v_mul_lo_u32 v20, v15, s20
	v_mul_hi_u32 v21, v24, v5
	v_mad_u64_u32 v[9:10], null, s21, v24, v[10:11]
	v_cmp_lt_u32_e32 vcc_lo, s16, v25
	v_sub_nc_u32_e32 v25, v23, v26
	v_mad_u64_u32 v[10:11], null, s21, v17, v[11:12]
	v_mul_hi_u32 v11, v17, v5
	v_sub_nc_u32_e32 v20, v22, v20
	v_cmp_le_u32_e64 s0, s20, v25
	v_mul_lo_u32 v30, v21, s20
	v_add_nc_u32_e32 v29, 1, v15
	v_add_nc_u32_e32 v32, 1, v21
	v_cmp_le_u32_e64 s1, s20, v20
	v_cndmask_b32_e64 v13, v13, v27, s0
	v_subrev_nc_u32_e32 v27, s20, v25
	v_mul_lo_u32 v31, v11, s20
	v_add_nc_u32_e32 v33, 1, v11
	v_sub_nc_u32_e32 v26, v24, v30
	v_cndmask_b32_e64 v15, v15, v29, s1
	v_subrev_nc_u32_e32 v29, s20, v20
	v_cndmask_b32_e64 v25, v25, v27, s0
	v_add_nc_u32_e32 v27, 1, v13
	v_cmp_le_u32_e64 s2, s20, v26
	v_sub_nc_u32_e32 v30, v17, v31
	v_subrev_nc_u32_e32 v31, s20, v26
	v_cndmask_b32_e64 v20, v20, v29, s1
	v_cmp_le_u32_e64 s0, s20, v25
	v_cndmask_b32_e64 v21, v21, v32, s2
	v_cmp_le_u32_e64 s3, s20, v30
	v_subrev_nc_u32_e32 v32, s20, v30
	v_add_nc_u32_e32 v29, 1, v15
	v_cndmask_b32_e64 v26, v26, v31, s2
	v_cndmask_b32_e64 v13, v13, v27, s0
	v_cmp_le_u32_e64 s0, s20, v20
	v_cndmask_b32_e64 v11, v11, v33, s3
	v_add_nc_u32_e32 v31, 1, v21
	v_cndmask_b32_e64 v30, v30, v32, s3
	v_mul_lo_u32 v25, v13, s20
	v_cndmask_b32_e64 v15, v15, v29, s0
	v_cmp_le_u32_e64 s0, s20, v26
	v_add_nc_u32_e32 v32, 1, v11
	v_mov_b32_e32 v14, v1
	v_mov_b32_e32 v16, v1
	v_mul_lo_u32 v26, v15, s20
	v_cndmask_b32_e64 v20, v21, v31, s0
	v_cmp_le_u32_e64 s0, s20, v30
	v_mul_lo_u32 v27, v15, s4
	v_sub_nc_u32_e32 v23, v23, v25
	v_mov_b32_e32 v18, v1
	v_mul_lo_u32 v29, v20, s20
	v_cndmask_b32_e64 v21, v11, v32, s0
	v_mul_lo_u32 v11, v13, s4
	v_mul_lo_u32 v13, v20, s4
	v_add_nc_u32_e32 v2, s18, v2
	v_add_nc_u32_e32 v3, s18, v3
	v_mul_lo_u32 v15, v21, s4
	v_mul_lo_u32 v30, v21, s20
	v_sub_nc_u32_e32 v24, v24, v29
	v_add_nc_u32_e32 v6, s18, v6
	v_mad_u64_u32 v[19:20], null, v19, s6, v[11:12]
	v_sub_nc_u32_e32 v11, v22, v26
	v_mad_u64_u32 v[20:21], null, v9, s6, v[13:14]
	v_mad_u64_u32 v[9:10], null, v10, s6, v[15:16]
	v_sub_nc_u32_e32 v13, v17, v30
	v_mul_lo_u32 v10, v23, s5
	v_mul_lo_u32 v15, v11, s5
	;; [unrolled: 1-line block ×3, first 2 shown]
	v_add3_u32 v22, v28, s6, v27
	v_mul_lo_u32 v21, v13, s5
	s_or_b32 s22, vcc_lo, s22
	v_add3_u32 v11, v19, v10, s7
	v_add3_u32 v13, v22, v15, s7
	;; [unrolled: 1-line block ×4, first 2 shown]
	v_lshlrev_b64 v[9:10], 1, v[11:12]
	v_lshlrev_b64 v[11:12], 1, v[13:14]
	;; [unrolled: 1-line block ×4, first 2 shown]
	v_add_co_u32 v9, s0, s8, v9
	v_add_co_ci_u32_e64 v10, null, s9, v10, s0
	v_add_co_u32 v11, s0, s8, v11
	v_add_co_ci_u32_e64 v12, null, s9, v12, s0
	;; [unrolled: 2-line block ×4, first 2 shown]
	s_waitcnt vmcnt(0)
	global_store_short v[9:10], v7, off
	global_store_short_d16_hi v[11:12], v7, off
	global_store_short v[13:14], v8, off
	global_store_short_d16_hi v[15:16], v8, off
	s_andn2_b32 exec_lo, exec_lo, s22
	s_cbranch_execnz .LBB132_3
; %bb.4:
	s_or_b32 exec_lo, exec_lo, s22
.LBB132_5:
	s_or_b32 exec_lo, exec_lo, s15
	v_cmp_gt_u32_e32 vcc_lo, s16, v0
	s_and_b32 exec_lo, exec_lo, vcc_lo
	s_cbranch_execz .LBB132_8
; %bb.6:
	s_cmp_eq_u32 s14, 2
	s_cselect_b32 s2, s17, s13
	s_cmp_eq_u32 s14, 1
	v_cvt_f32_u32_e32 v1, s2
	s_cselect_b32 s3, s17, s12
	s_sub_i32 s12, 0, s2
	v_cvt_f32_u32_e32 v2, s3
	s_sub_i32 s0, 0, s3
	v_rcp_iflag_f32_e32 v1, v1
	v_rcp_iflag_f32_e32 v2, v2
	v_mul_f32_e32 v1, 0x4f7ffffe, v1
	v_mul_f32_e32 v2, 0x4f7ffffe, v2
	v_cvt_u32_f32_e32 v3, v1
	v_cvt_u32_f32_e32 v4, v2
	v_mov_b32_e32 v2, 0
	v_mul_lo_u32 v1, s12, v3
	v_mul_lo_u32 v5, s0, v4
	v_mul_hi_u32 v6, v3, v1
	v_mov_b32_e32 v1, v2
	v_mul_hi_u32 v8, v4, v5
	v_add_nc_u32_e32 v7, v3, v6
	v_lshlrev_b64 v[5:6], 1, v[0:1]
	v_add_nc_u32_e32 v8, v4, v8
	v_mad_u64_u32 v[3:4], null, v0, v7, 0
	v_add_co_u32 v5, vcc_lo, s10, v5
	v_add_co_ci_u32_e64 v6, null, s11, v6, vcc_lo
	s_mov_b32 s10, 0
.LBB132_7:                              ; =>This Inner Loop Header: Depth=1
	global_load_ushort v11, v[5:6], off
	v_mul_lo_u32 v1, s2, v4
	v_not_b32_e32 v9, v4
	v_add_nc_u32_e32 v12, 1, v4
	v_mad_u64_u32 v[9:10], null, s2, v9, v[0:1]
	v_sub_nc_u32_e32 v1, v0, v1
	v_cmp_le_u32_e32 vcc_lo, s2, v1
	v_cndmask_b32_e32 v10, v4, v12, vcc_lo
	v_cndmask_b32_e32 v1, v1, v9, vcc_lo
	v_add_nc_u32_e32 v9, 1, v10
	v_cmp_le_u32_e32 vcc_lo, s2, v1
	v_cndmask_b32_e32 v12, v10, v9, vcc_lo
	v_add_co_u32 v3, vcc_lo, v3, v7
	v_add_co_ci_u32_e64 v4, null, 0, v4, vcc_lo
	v_mul_hi_u32 v1, v12, v8
	v_mul_lo_u32 v9, v1, s3
	v_add_nc_u32_e32 v10, 1, v1
	v_sub_nc_u32_e32 v9, v12, v9
	v_subrev_nc_u32_e32 v13, s3, v9
	v_cmp_le_u32_e64 s0, s3, v9
	v_cndmask_b32_e64 v1, v1, v10, s0
	v_cndmask_b32_e64 v9, v9, v13, s0
	v_add_nc_u32_e32 v10, 1, v1
	v_cmp_le_u32_e64 s0, s3, v9
	v_cndmask_b32_e64 v1, v1, v10, s0
	v_add_co_u32 v5, s0, v5, 2
	v_add_co_ci_u32_e64 v6, null, 0, v6, s0
	v_mad_u64_u32 v[9:10], null, s12, v12, v[0:1]
	v_mul_lo_u32 v10, v1, s3
	v_mul_lo_u32 v1, v1, s4
	v_add_nc_u32_e32 v0, 1, v0
	v_cmp_le_u32_e64 s0, s16, v0
	v_sub_nc_u32_e32 v12, v12, v10
	v_mad_u64_u32 v[9:10], null, v9, s6, v[1:2]
	s_or_b32 s10, s0, s10
	v_mul_lo_u32 v1, v12, s5
	v_add3_u32 v1, v9, v1, s7
	v_lshlrev_b64 v[9:10], 1, v[1:2]
	v_add_co_u32 v9, s1, s8, v9
	v_add_co_ci_u32_e64 v10, null, s9, v10, s1
	s_waitcnt vmcnt(0)
	global_store_short v[9:10], v11, off
	s_andn2_b32 exec_lo, exec_lo, s10
	s_cbranch_execnz .LBB132_7
.LBB132_8:
	s_endpgm
	.section	.rodata,"a",@progbits
	.p2align	6, 0x0
	.amdhsa_kernel _ZN2at6native12_GLOBAL__N_135CatArrayBatchedCopy_alignedK_contigINS1_10OpaqueTypeILj2EEEjLi3ELi64ELi64ELi8EEEvPT_NS1_25CatArrInputTensorMetadataIS5_T0_XT2_EXT3_EEENS1_16TensorSizeStrideIS8_Lj4EEEiS8_
		.amdhsa_group_segment_fixed_size 0
		.amdhsa_private_segment_fixed_size 0
		.amdhsa_kernarg_size 3696
		.amdhsa_user_sgpr_count 6
		.amdhsa_user_sgpr_private_segment_buffer 1
		.amdhsa_user_sgpr_dispatch_ptr 0
		.amdhsa_user_sgpr_queue_ptr 0
		.amdhsa_user_sgpr_kernarg_segment_ptr 1
		.amdhsa_user_sgpr_dispatch_id 0
		.amdhsa_user_sgpr_flat_scratch_init 0
		.amdhsa_user_sgpr_private_segment_size 0
		.amdhsa_wavefront_size32 1
		.amdhsa_uses_dynamic_stack 0
		.amdhsa_system_sgpr_private_segment_wavefront_offset 0
		.amdhsa_system_sgpr_workgroup_id_x 1
		.amdhsa_system_sgpr_workgroup_id_y 1
		.amdhsa_system_sgpr_workgroup_id_z 0
		.amdhsa_system_sgpr_workgroup_info 0
		.amdhsa_system_vgpr_workitem_id 0
		.amdhsa_next_free_vgpr 34
		.amdhsa_next_free_sgpr 23
		.amdhsa_reserve_vcc 1
		.amdhsa_reserve_flat_scratch 0
		.amdhsa_float_round_mode_32 0
		.amdhsa_float_round_mode_16_64 0
		.amdhsa_float_denorm_mode_32 3
		.amdhsa_float_denorm_mode_16_64 3
		.amdhsa_dx10_clamp 1
		.amdhsa_ieee_mode 1
		.amdhsa_fp16_overflow 0
		.amdhsa_workgroup_processor_mode 1
		.amdhsa_memory_ordered 1
		.amdhsa_forward_progress 1
		.amdhsa_shared_vgpr_count 0
		.amdhsa_exception_fp_ieee_invalid_op 0
		.amdhsa_exception_fp_denorm_src 0
		.amdhsa_exception_fp_ieee_div_zero 0
		.amdhsa_exception_fp_ieee_overflow 0
		.amdhsa_exception_fp_ieee_underflow 0
		.amdhsa_exception_fp_ieee_inexact 0
		.amdhsa_exception_int_div_zero 0
	.end_amdhsa_kernel
	.section	.text._ZN2at6native12_GLOBAL__N_135CatArrayBatchedCopy_alignedK_contigINS1_10OpaqueTypeILj2EEEjLi3ELi64ELi64ELi8EEEvPT_NS1_25CatArrInputTensorMetadataIS5_T0_XT2_EXT3_EEENS1_16TensorSizeStrideIS8_Lj4EEEiS8_,"axG",@progbits,_ZN2at6native12_GLOBAL__N_135CatArrayBatchedCopy_alignedK_contigINS1_10OpaqueTypeILj2EEEjLi3ELi64ELi64ELi8EEEvPT_NS1_25CatArrInputTensorMetadataIS5_T0_XT2_EXT3_EEENS1_16TensorSizeStrideIS8_Lj4EEEiS8_,comdat
.Lfunc_end132:
	.size	_ZN2at6native12_GLOBAL__N_135CatArrayBatchedCopy_alignedK_contigINS1_10OpaqueTypeILj2EEEjLi3ELi64ELi64ELi8EEEvPT_NS1_25CatArrInputTensorMetadataIS5_T0_XT2_EXT3_EEENS1_16TensorSizeStrideIS8_Lj4EEEiS8_, .Lfunc_end132-_ZN2at6native12_GLOBAL__N_135CatArrayBatchedCopy_alignedK_contigINS1_10OpaqueTypeILj2EEEjLi3ELi64ELi64ELi8EEEvPT_NS1_25CatArrInputTensorMetadataIS5_T0_XT2_EXT3_EEENS1_16TensorSizeStrideIS8_Lj4EEEiS8_
                                        ; -- End function
	.set _ZN2at6native12_GLOBAL__N_135CatArrayBatchedCopy_alignedK_contigINS1_10OpaqueTypeILj2EEEjLi3ELi64ELi64ELi8EEEvPT_NS1_25CatArrInputTensorMetadataIS5_T0_XT2_EXT3_EEENS1_16TensorSizeStrideIS8_Lj4EEEiS8_.num_vgpr, 34
	.set _ZN2at6native12_GLOBAL__N_135CatArrayBatchedCopy_alignedK_contigINS1_10OpaqueTypeILj2EEEjLi3ELi64ELi64ELi8EEEvPT_NS1_25CatArrInputTensorMetadataIS5_T0_XT2_EXT3_EEENS1_16TensorSizeStrideIS8_Lj4EEEiS8_.num_agpr, 0
	.set _ZN2at6native12_GLOBAL__N_135CatArrayBatchedCopy_alignedK_contigINS1_10OpaqueTypeILj2EEEjLi3ELi64ELi64ELi8EEEvPT_NS1_25CatArrInputTensorMetadataIS5_T0_XT2_EXT3_EEENS1_16TensorSizeStrideIS8_Lj4EEEiS8_.numbered_sgpr, 23
	.set _ZN2at6native12_GLOBAL__N_135CatArrayBatchedCopy_alignedK_contigINS1_10OpaqueTypeILj2EEEjLi3ELi64ELi64ELi8EEEvPT_NS1_25CatArrInputTensorMetadataIS5_T0_XT2_EXT3_EEENS1_16TensorSizeStrideIS8_Lj4EEEiS8_.num_named_barrier, 0
	.set _ZN2at6native12_GLOBAL__N_135CatArrayBatchedCopy_alignedK_contigINS1_10OpaqueTypeILj2EEEjLi3ELi64ELi64ELi8EEEvPT_NS1_25CatArrInputTensorMetadataIS5_T0_XT2_EXT3_EEENS1_16TensorSizeStrideIS8_Lj4EEEiS8_.private_seg_size, 0
	.set _ZN2at6native12_GLOBAL__N_135CatArrayBatchedCopy_alignedK_contigINS1_10OpaqueTypeILj2EEEjLi3ELi64ELi64ELi8EEEvPT_NS1_25CatArrInputTensorMetadataIS5_T0_XT2_EXT3_EEENS1_16TensorSizeStrideIS8_Lj4EEEiS8_.uses_vcc, 1
	.set _ZN2at6native12_GLOBAL__N_135CatArrayBatchedCopy_alignedK_contigINS1_10OpaqueTypeILj2EEEjLi3ELi64ELi64ELi8EEEvPT_NS1_25CatArrInputTensorMetadataIS5_T0_XT2_EXT3_EEENS1_16TensorSizeStrideIS8_Lj4EEEiS8_.uses_flat_scratch, 0
	.set _ZN2at6native12_GLOBAL__N_135CatArrayBatchedCopy_alignedK_contigINS1_10OpaqueTypeILj2EEEjLi3ELi64ELi64ELi8EEEvPT_NS1_25CatArrInputTensorMetadataIS5_T0_XT2_EXT3_EEENS1_16TensorSizeStrideIS8_Lj4EEEiS8_.has_dyn_sized_stack, 0
	.set _ZN2at6native12_GLOBAL__N_135CatArrayBatchedCopy_alignedK_contigINS1_10OpaqueTypeILj2EEEjLi3ELi64ELi64ELi8EEEvPT_NS1_25CatArrInputTensorMetadataIS5_T0_XT2_EXT3_EEENS1_16TensorSizeStrideIS8_Lj4EEEiS8_.has_recursion, 0
	.set _ZN2at6native12_GLOBAL__N_135CatArrayBatchedCopy_alignedK_contigINS1_10OpaqueTypeILj2EEEjLi3ELi64ELi64ELi8EEEvPT_NS1_25CatArrInputTensorMetadataIS5_T0_XT2_EXT3_EEENS1_16TensorSizeStrideIS8_Lj4EEEiS8_.has_indirect_call, 0
	.section	.AMDGPU.csdata,"",@progbits
; Kernel info:
; codeLenInByte = 1844
; TotalNumSgprs: 25
; NumVgprs: 34
; ScratchSize: 0
; MemoryBound: 0
; FloatMode: 240
; IeeeMode: 1
; LDSByteSize: 0 bytes/workgroup (compile time only)
; SGPRBlocks: 0
; VGPRBlocks: 4
; NumSGPRsForWavesPerEU: 25
; NumVGPRsForWavesPerEU: 34
; Occupancy: 16
; WaveLimiterHint : 1
; COMPUTE_PGM_RSRC2:SCRATCH_EN: 0
; COMPUTE_PGM_RSRC2:USER_SGPR: 6
; COMPUTE_PGM_RSRC2:TRAP_HANDLER: 0
; COMPUTE_PGM_RSRC2:TGID_X_EN: 1
; COMPUTE_PGM_RSRC2:TGID_Y_EN: 1
; COMPUTE_PGM_RSRC2:TGID_Z_EN: 0
; COMPUTE_PGM_RSRC2:TIDIG_COMP_CNT: 0
	.section	.text._ZN2at6native12_GLOBAL__N_126CatArrayBatchedCopy_contigINS1_10OpaqueTypeILj2EEEjLi3ELi64ELi64EEEvPT_NS1_25CatArrInputTensorMetadataIS5_T0_XT2_EXT3_EEENS1_16TensorSizeStrideIS8_Lj4EEEiS8_,"axG",@progbits,_ZN2at6native12_GLOBAL__N_126CatArrayBatchedCopy_contigINS1_10OpaqueTypeILj2EEEjLi3ELi64ELi64EEEvPT_NS1_25CatArrInputTensorMetadataIS5_T0_XT2_EXT3_EEENS1_16TensorSizeStrideIS8_Lj4EEEiS8_,comdat
	.globl	_ZN2at6native12_GLOBAL__N_126CatArrayBatchedCopy_contigINS1_10OpaqueTypeILj2EEEjLi3ELi64ELi64EEEvPT_NS1_25CatArrInputTensorMetadataIS5_T0_XT2_EXT3_EEENS1_16TensorSizeStrideIS8_Lj4EEEiS8_ ; -- Begin function _ZN2at6native12_GLOBAL__N_126CatArrayBatchedCopy_contigINS1_10OpaqueTypeILj2EEEjLi3ELi64ELi64EEEvPT_NS1_25CatArrInputTensorMetadataIS5_T0_XT2_EXT3_EEENS1_16TensorSizeStrideIS8_Lj4EEEiS8_
	.p2align	8
	.type	_ZN2at6native12_GLOBAL__N_126CatArrayBatchedCopy_contigINS1_10OpaqueTypeILj2EEEjLi3ELi64ELi64EEEvPT_NS1_25CatArrInputTensorMetadataIS5_T0_XT2_EXT3_EEENS1_16TensorSizeStrideIS8_Lj4EEEiS8_,@function
_ZN2at6native12_GLOBAL__N_126CatArrayBatchedCopy_contigINS1_10OpaqueTypeILj2EEEjLi3ELi64ELi64EEEvPT_NS1_25CatArrInputTensorMetadataIS5_T0_XT2_EXT3_EEENS1_16TensorSizeStrideIS8_Lj4EEEiS8_: ; @_ZN2at6native12_GLOBAL__N_126CatArrayBatchedCopy_contigINS1_10OpaqueTypeILj2EEEjLi3ELi64ELi64EEEvPT_NS1_25CatArrInputTensorMetadataIS5_T0_XT2_EXT3_EEENS1_16TensorSizeStrideIS8_Lj4EEEiS8_
; %bb.0:
	s_mov_b32 s0, s7
	s_load_dword s7, s[4:5], 0xd7c
	s_mov_b32 s1, 0
	s_add_u32 s12, s4, 0xd70
	s_addc_u32 s13, s5, 0
	s_lshl_b64 s[2:3], s[0:1], 2
	s_waitcnt lgkmcnt(0)
	s_and_b32 s0, s7, 0xffff
	s_add_u32 s8, s4, s2
	s_addc_u32 s9, s5, s3
	v_mad_u64_u32 v[0:1], null, s6, s0, v[0:1]
	s_load_dword s7, s[8:9], 0x408
	s_add_u32 s6, s8, 8
	s_addc_u32 s8, s9, 0
	s_mov_b32 s9, exec_lo
	s_waitcnt lgkmcnt(0)
	v_cmpx_gt_u32_e64 s7, v0
	s_cbranch_execz .LBB133_3
; %bb.1:
	s_add_u32 s18, s6, s2
	s_addc_u32 s19, s8, s3
	s_sub_u32 s2, 0, s2
	s_load_dwordx2 s[16:17], s[4:5], 0xd68
	s_subb_u32 s3, 0, s3
	s_add_u32 s20, s18, s2
	s_addc_u32 s21, s19, s3
	s_clause 0x2
	s_load_dwordx2 s[2:3], s[4:5], 0xd4c
	s_load_dword s6, s[20:21], 0x300
	s_load_dwordx4 s[8:11], s[4:5], 0xd58
	s_load_dword s12, s[12:13], 0x0
	s_waitcnt lgkmcnt(0)
	s_cmp_eq_u32 s16, 2
	s_cselect_b32 s11, s6, s3
	s_cmp_eq_u32 s16, 1
	v_cvt_f32_u32_e32 v1, s11
	s_cselect_b32 s14, s6, s2
	s_load_dwordx2 s[2:3], s[4:5], 0x0
	v_cvt_f32_u32_e32 v2, s14
	s_sub_i32 s15, 0, s11
	v_rcp_iflag_f32_e32 v1, v1
	s_sub_i32 s4, 0, s14
	s_load_dword s6, s[20:21], 0x200
	v_rcp_iflag_f32_e32 v2, v2
	s_mul_i32 s12, s12, s0
	v_mul_f32_e32 v1, 0x4f7ffffe, v1
	v_mul_f32_e32 v2, 0x4f7ffffe, v2
	v_cvt_u32_f32_e32 v1, v1
	v_cvt_u32_f32_e32 v3, v2
	v_mul_lo_u32 v2, s15, v1
	v_mul_lo_u32 v4, s4, v3
	s_load_dwordx2 s[4:5], s[18:19], 0x0
	s_waitcnt lgkmcnt(0)
	s_mul_i32 s6, s6, s17
	v_mul_hi_u32 v2, v1, v2
	v_mul_hi_u32 v4, v3, v4
	v_add_nc_u32_e32 v2, v1, v2
	v_mov_b32_e32 v1, 0
	v_add_nc_u32_e32 v3, v3, v4
.LBB133_2:                              ; =>This Inner Loop Header: Depth=1
	v_lshlrev_b64 v[4:5], 1, v[0:1]
	v_mul_hi_u32 v7, v2, v0
	v_add_co_u32 v4, vcc_lo, s4, v4
	v_add_co_ci_u32_e64 v5, null, s5, v5, vcc_lo
	v_mul_lo_u32 v8, s11, v7
	v_add_nc_u32_e32 v9, 1, v7
	global_load_ushort v6, v[4:5], off
	v_not_b32_e32 v4, v7
	v_mad_u64_u32 v[4:5], null, s11, v4, v[0:1]
	v_sub_nc_u32_e32 v5, v0, v8
	v_cmp_le_u32_e32 vcc_lo, s11, v5
	v_cndmask_b32_e32 v7, v7, v9, vcc_lo
	v_cndmask_b32_e32 v4, v5, v4, vcc_lo
	v_add_nc_u32_e32 v5, 1, v7
	v_cmp_le_u32_e32 vcc_lo, s11, v4
	v_cndmask_b32_e32 v7, v7, v5, vcc_lo
	v_mul_hi_u32 v4, v7, v3
	v_mul_lo_u32 v5, v4, s14
	v_add_nc_u32_e32 v8, 1, v4
	v_sub_nc_u32_e32 v5, v7, v5
	v_subrev_nc_u32_e32 v9, s14, v5
	v_cmp_le_u32_e32 vcc_lo, s14, v5
	v_cndmask_b32_e32 v4, v4, v8, vcc_lo
	v_cndmask_b32_e32 v5, v5, v9, vcc_lo
	v_add_nc_u32_e32 v8, 1, v4
	v_cmp_le_u32_e32 vcc_lo, s14, v5
	v_cndmask_b32_e32 v8, v4, v8, vcc_lo
	v_mad_u64_u32 v[4:5], null, s15, v7, v[0:1]
	v_add_nc_u32_e32 v0, s12, v0
	v_mul_lo_u32 v9, v8, s14
	v_cmp_le_u32_e32 vcc_lo, s7, v0
	v_mul_lo_u32 v10, v4, s10
	v_mad_u64_u32 v[4:5], null, v8, s8, s[6:7]
	v_mov_b32_e32 v5, v1
	v_sub_nc_u32_e32 v7, v7, v9
	s_or_b32 s1, vcc_lo, s1
	v_mul_lo_u32 v7, v7, s9
	v_add3_u32 v4, v4, v10, v7
	v_lshlrev_b64 v[4:5], 1, v[4:5]
	v_add_co_u32 v4, s0, s2, v4
	v_add_co_ci_u32_e64 v5, null, s3, v5, s0
	s_waitcnt vmcnt(0)
	global_store_short v[4:5], v6, off
	s_andn2_b32 exec_lo, exec_lo, s1
	s_cbranch_execnz .LBB133_2
.LBB133_3:
	s_endpgm
	.section	.rodata,"a",@progbits
	.p2align	6, 0x0
	.amdhsa_kernel _ZN2at6native12_GLOBAL__N_126CatArrayBatchedCopy_contigINS1_10OpaqueTypeILj2EEEjLi3ELi64ELi64EEEvPT_NS1_25CatArrInputTensorMetadataIS5_T0_XT2_EXT3_EEENS1_16TensorSizeStrideIS8_Lj4EEEiS8_
		.amdhsa_group_segment_fixed_size 0
		.amdhsa_private_segment_fixed_size 0
		.amdhsa_kernarg_size 3696
		.amdhsa_user_sgpr_count 6
		.amdhsa_user_sgpr_private_segment_buffer 1
		.amdhsa_user_sgpr_dispatch_ptr 0
		.amdhsa_user_sgpr_queue_ptr 0
		.amdhsa_user_sgpr_kernarg_segment_ptr 1
		.amdhsa_user_sgpr_dispatch_id 0
		.amdhsa_user_sgpr_flat_scratch_init 0
		.amdhsa_user_sgpr_private_segment_size 0
		.amdhsa_wavefront_size32 1
		.amdhsa_uses_dynamic_stack 0
		.amdhsa_system_sgpr_private_segment_wavefront_offset 0
		.amdhsa_system_sgpr_workgroup_id_x 1
		.amdhsa_system_sgpr_workgroup_id_y 1
		.amdhsa_system_sgpr_workgroup_id_z 0
		.amdhsa_system_sgpr_workgroup_info 0
		.amdhsa_system_vgpr_workitem_id 0
		.amdhsa_next_free_vgpr 11
		.amdhsa_next_free_sgpr 22
		.amdhsa_reserve_vcc 1
		.amdhsa_reserve_flat_scratch 0
		.amdhsa_float_round_mode_32 0
		.amdhsa_float_round_mode_16_64 0
		.amdhsa_float_denorm_mode_32 3
		.amdhsa_float_denorm_mode_16_64 3
		.amdhsa_dx10_clamp 1
		.amdhsa_ieee_mode 1
		.amdhsa_fp16_overflow 0
		.amdhsa_workgroup_processor_mode 1
		.amdhsa_memory_ordered 1
		.amdhsa_forward_progress 1
		.amdhsa_shared_vgpr_count 0
		.amdhsa_exception_fp_ieee_invalid_op 0
		.amdhsa_exception_fp_denorm_src 0
		.amdhsa_exception_fp_ieee_div_zero 0
		.amdhsa_exception_fp_ieee_overflow 0
		.amdhsa_exception_fp_ieee_underflow 0
		.amdhsa_exception_fp_ieee_inexact 0
		.amdhsa_exception_int_div_zero 0
	.end_amdhsa_kernel
	.section	.text._ZN2at6native12_GLOBAL__N_126CatArrayBatchedCopy_contigINS1_10OpaqueTypeILj2EEEjLi3ELi64ELi64EEEvPT_NS1_25CatArrInputTensorMetadataIS5_T0_XT2_EXT3_EEENS1_16TensorSizeStrideIS8_Lj4EEEiS8_,"axG",@progbits,_ZN2at6native12_GLOBAL__N_126CatArrayBatchedCopy_contigINS1_10OpaqueTypeILj2EEEjLi3ELi64ELi64EEEvPT_NS1_25CatArrInputTensorMetadataIS5_T0_XT2_EXT3_EEENS1_16TensorSizeStrideIS8_Lj4EEEiS8_,comdat
.Lfunc_end133:
	.size	_ZN2at6native12_GLOBAL__N_126CatArrayBatchedCopy_contigINS1_10OpaqueTypeILj2EEEjLi3ELi64ELi64EEEvPT_NS1_25CatArrInputTensorMetadataIS5_T0_XT2_EXT3_EEENS1_16TensorSizeStrideIS8_Lj4EEEiS8_, .Lfunc_end133-_ZN2at6native12_GLOBAL__N_126CatArrayBatchedCopy_contigINS1_10OpaqueTypeILj2EEEjLi3ELi64ELi64EEEvPT_NS1_25CatArrInputTensorMetadataIS5_T0_XT2_EXT3_EEENS1_16TensorSizeStrideIS8_Lj4EEEiS8_
                                        ; -- End function
	.set _ZN2at6native12_GLOBAL__N_126CatArrayBatchedCopy_contigINS1_10OpaqueTypeILj2EEEjLi3ELi64ELi64EEEvPT_NS1_25CatArrInputTensorMetadataIS5_T0_XT2_EXT3_EEENS1_16TensorSizeStrideIS8_Lj4EEEiS8_.num_vgpr, 11
	.set _ZN2at6native12_GLOBAL__N_126CatArrayBatchedCopy_contigINS1_10OpaqueTypeILj2EEEjLi3ELi64ELi64EEEvPT_NS1_25CatArrInputTensorMetadataIS5_T0_XT2_EXT3_EEENS1_16TensorSizeStrideIS8_Lj4EEEiS8_.num_agpr, 0
	.set _ZN2at6native12_GLOBAL__N_126CatArrayBatchedCopy_contigINS1_10OpaqueTypeILj2EEEjLi3ELi64ELi64EEEvPT_NS1_25CatArrInputTensorMetadataIS5_T0_XT2_EXT3_EEENS1_16TensorSizeStrideIS8_Lj4EEEiS8_.numbered_sgpr, 22
	.set _ZN2at6native12_GLOBAL__N_126CatArrayBatchedCopy_contigINS1_10OpaqueTypeILj2EEEjLi3ELi64ELi64EEEvPT_NS1_25CatArrInputTensorMetadataIS5_T0_XT2_EXT3_EEENS1_16TensorSizeStrideIS8_Lj4EEEiS8_.num_named_barrier, 0
	.set _ZN2at6native12_GLOBAL__N_126CatArrayBatchedCopy_contigINS1_10OpaqueTypeILj2EEEjLi3ELi64ELi64EEEvPT_NS1_25CatArrInputTensorMetadataIS5_T0_XT2_EXT3_EEENS1_16TensorSizeStrideIS8_Lj4EEEiS8_.private_seg_size, 0
	.set _ZN2at6native12_GLOBAL__N_126CatArrayBatchedCopy_contigINS1_10OpaqueTypeILj2EEEjLi3ELi64ELi64EEEvPT_NS1_25CatArrInputTensorMetadataIS5_T0_XT2_EXT3_EEENS1_16TensorSizeStrideIS8_Lj4EEEiS8_.uses_vcc, 1
	.set _ZN2at6native12_GLOBAL__N_126CatArrayBatchedCopy_contigINS1_10OpaqueTypeILj2EEEjLi3ELi64ELi64EEEvPT_NS1_25CatArrInputTensorMetadataIS5_T0_XT2_EXT3_EEENS1_16TensorSizeStrideIS8_Lj4EEEiS8_.uses_flat_scratch, 0
	.set _ZN2at6native12_GLOBAL__N_126CatArrayBatchedCopy_contigINS1_10OpaqueTypeILj2EEEjLi3ELi64ELi64EEEvPT_NS1_25CatArrInputTensorMetadataIS5_T0_XT2_EXT3_EEENS1_16TensorSizeStrideIS8_Lj4EEEiS8_.has_dyn_sized_stack, 0
	.set _ZN2at6native12_GLOBAL__N_126CatArrayBatchedCopy_contigINS1_10OpaqueTypeILj2EEEjLi3ELi64ELi64EEEvPT_NS1_25CatArrInputTensorMetadataIS5_T0_XT2_EXT3_EEENS1_16TensorSizeStrideIS8_Lj4EEEiS8_.has_recursion, 0
	.set _ZN2at6native12_GLOBAL__N_126CatArrayBatchedCopy_contigINS1_10OpaqueTypeILj2EEEjLi3ELi64ELi64EEEvPT_NS1_25CatArrInputTensorMetadataIS5_T0_XT2_EXT3_EEENS1_16TensorSizeStrideIS8_Lj4EEEiS8_.has_indirect_call, 0
	.section	.AMDGPU.csdata,"",@progbits
; Kernel info:
; codeLenInByte = 572
; TotalNumSgprs: 24
; NumVgprs: 11
; ScratchSize: 0
; MemoryBound: 0
; FloatMode: 240
; IeeeMode: 1
; LDSByteSize: 0 bytes/workgroup (compile time only)
; SGPRBlocks: 0
; VGPRBlocks: 1
; NumSGPRsForWavesPerEU: 24
; NumVGPRsForWavesPerEU: 11
; Occupancy: 16
; WaveLimiterHint : 1
; COMPUTE_PGM_RSRC2:SCRATCH_EN: 0
; COMPUTE_PGM_RSRC2:USER_SGPR: 6
; COMPUTE_PGM_RSRC2:TRAP_HANDLER: 0
; COMPUTE_PGM_RSRC2:TGID_X_EN: 1
; COMPUTE_PGM_RSRC2:TGID_Y_EN: 1
; COMPUTE_PGM_RSRC2:TGID_Z_EN: 0
; COMPUTE_PGM_RSRC2:TIDIG_COMP_CNT: 0
	.section	.text._ZN2at6native12_GLOBAL__N_119CatArrayBatchedCopyINS1_10OpaqueTypeILj2EEEjLi3ELi64ELi64EEEvPT_NS1_25CatArrInputTensorMetadataIS5_T0_XT2_EXT3_EEENS1_16TensorSizeStrideIS8_Lj4EEEiS8_,"axG",@progbits,_ZN2at6native12_GLOBAL__N_119CatArrayBatchedCopyINS1_10OpaqueTypeILj2EEEjLi3ELi64ELi64EEEvPT_NS1_25CatArrInputTensorMetadataIS5_T0_XT2_EXT3_EEENS1_16TensorSizeStrideIS8_Lj4EEEiS8_,comdat
	.globl	_ZN2at6native12_GLOBAL__N_119CatArrayBatchedCopyINS1_10OpaqueTypeILj2EEEjLi3ELi64ELi64EEEvPT_NS1_25CatArrInputTensorMetadataIS5_T0_XT2_EXT3_EEENS1_16TensorSizeStrideIS8_Lj4EEEiS8_ ; -- Begin function _ZN2at6native12_GLOBAL__N_119CatArrayBatchedCopyINS1_10OpaqueTypeILj2EEEjLi3ELi64ELi64EEEvPT_NS1_25CatArrInputTensorMetadataIS5_T0_XT2_EXT3_EEENS1_16TensorSizeStrideIS8_Lj4EEEiS8_
	.p2align	8
	.type	_ZN2at6native12_GLOBAL__N_119CatArrayBatchedCopyINS1_10OpaqueTypeILj2EEEjLi3ELi64ELi64EEEvPT_NS1_25CatArrInputTensorMetadataIS5_T0_XT2_EXT3_EEENS1_16TensorSizeStrideIS8_Lj4EEEiS8_,@function
_ZN2at6native12_GLOBAL__N_119CatArrayBatchedCopyINS1_10OpaqueTypeILj2EEEjLi3ELi64ELi64EEEvPT_NS1_25CatArrInputTensorMetadataIS5_T0_XT2_EXT3_EEENS1_16TensorSizeStrideIS8_Lj4EEEiS8_: ; @_ZN2at6native12_GLOBAL__N_119CatArrayBatchedCopyINS1_10OpaqueTypeILj2EEEjLi3ELi64ELi64EEEvPT_NS1_25CatArrInputTensorMetadataIS5_T0_XT2_EXT3_EEENS1_16TensorSizeStrideIS8_Lj4EEEiS8_
; %bb.0:
	s_mov_b32 s0, s7
	s_load_dword s7, s[4:5], 0xd7c
	s_or_b32 s12, s4, 8
	s_mov_b32 s1, 0
	s_add_u32 s2, s4, 0xd70
	s_addc_u32 s3, s5, 0
	s_lshl_b64 s[8:9], s[0:1], 2
	s_mov_b32 s13, exec_lo
	s_waitcnt lgkmcnt(0)
	s_and_b32 s21, s7, 0xffff
	s_add_u32 s10, s12, s8
	s_addc_u32 s11, s5, s9
	v_mad_u64_u32 v[0:1], null, s6, s21, v[0:1]
	s_load_dword s7, s[10:11], 0x400
	s_waitcnt lgkmcnt(0)
	v_cmpx_gt_u32_e64 s7, v0
	s_cbranch_execz .LBB134_5
; %bb.1:
	s_mul_i32 s13, s0, 28
	s_mul_hi_u32 s15, s0, 28
	s_add_u32 s14, s10, s13
	v_mov_b32_e32 v1, 0
	s_addc_u32 s15, s11, s15
	s_add_u32 s10, s12, s0
	s_addc_u32 s11, s5, 0
	s_load_dwordx2 s[22:23], s[4:5], 0xd68
	global_load_ubyte v2, v1, s[10:11] offset:1280
	s_mul_hi_u32 s12, s0, 7
	s_mul_i32 s0, s0, 7
	s_waitcnt vmcnt(0)
	v_and_b32_e32 v2, 1, v2
	v_cmp_eq_u32_e32 vcc_lo, 1, v2
	s_xor_b32 s6, vcc_lo, -1
	s_add_u32 s24, s10, s0
	s_addc_u32 s25, s11, s12
	s_sub_u32 s0, 0, s8
	s_subb_u32 s8, 0, s9
	s_add_u32 s18, s24, s0
	s_addc_u32 s19, s25, s8
	s_clause 0x3
	s_load_dwordx2 s[16:17], s[4:5], 0xd4c
	s_load_dword s0, s[18:19], 0x300
	s_load_dwordx2 s[26:27], s[14:15], 0x544
	s_load_dwordx4 s[8:11], s[4:5], 0xd58
	s_waitcnt lgkmcnt(0)
	s_cmp_eq_u32 s22, 2
	s_load_dwordx4 s[12:15], s[14:15], 0x550
	s_cselect_b32 s11, s0, s17
	s_waitcnt lgkmcnt(0)
	s_cselect_b32 s15, s0, s27
	s_cmp_eq_u32 s22, 1
	v_cvt_f32_u32_e32 v2, s11
	s_cselect_b32 s16, s0, s16
	s_cselect_b32 s17, s0, s26
	v_cvt_f32_u32_e32 v3, s15
	v_cvt_f32_u32_e32 v4, s16
	;; [unrolled: 1-line block ×3, first 2 shown]
	v_rcp_iflag_f32_e32 v2, v2
	s_load_dword s20, s[18:19], 0x200
	s_load_dword s0, s[2:3], 0x0
	v_rcp_iflag_f32_e32 v3, v3
	v_rcp_iflag_f32_e32 v4, v4
	v_rcp_iflag_f32_e32 v5, v5
	s_sub_i32 s18, 0, s11
	s_sub_i32 s19, 0, s15
	s_sub_i32 s2, 0, s16
	s_sub_i32 s3, 0, s17
	v_mul_f32_e32 v2, 0x4f7ffffe, v2
	v_mul_f32_e32 v3, 0x4f7ffffe, v3
	v_mul_f32_e32 v4, 0x4f7ffffe, v4
	v_mul_f32_e32 v5, 0x4f7ffffe, v5
	v_cvt_u32_f32_e32 v2, v2
	v_cvt_u32_f32_e32 v3, v3
	;; [unrolled: 1-line block ×4, first 2 shown]
	v_mul_lo_u32 v4, s18, v2
	s_waitcnt lgkmcnt(0)
	s_mul_i32 s20, s20, s23
	v_mul_lo_u32 v5, s19, v3
	v_mul_lo_u32 v8, s2, v6
	;; [unrolled: 1-line block ×3, first 2 shown]
	s_clause 0x1
	s_load_dwordx2 s[2:3], s[4:5], 0x0
	s_load_dwordx2 s[4:5], s[24:25], 0x0
	s_mul_i32 s21, s0, s21
	v_mul_hi_u32 v4, v2, v4
	v_mul_hi_u32 v5, v3, v5
	;; [unrolled: 1-line block ×4, first 2 shown]
	v_add_nc_u32_e32 v4, v2, v4
	v_add_nc_u32_e32 v5, v3, v5
	;; [unrolled: 1-line block ×4, first 2 shown]
	s_branch .LBB134_3
.LBB134_2:                              ;   in Loop: Header=BB134_3 Depth=1
	v_lshlrev_b64 v[2:3], 1, v[2:3]
	v_mul_hi_u32 v11, v4, v0
	s_waitcnt lgkmcnt(0)
	v_add_co_u32 v2, vcc_lo, s4, v2
	v_add_co_ci_u32_e64 v3, null, s5, v3, vcc_lo
	v_not_b32_e32 v8, v11
	global_load_ushort v10, v[2:3], off
	v_mad_u64_u32 v[2:3], null, s18, v11, v[0:1]
	v_mad_u64_u32 v[8:9], null, s11, v8, v[0:1]
	v_add_nc_u32_e32 v3, 1, v11
	v_cmp_le_u32_e32 vcc_lo, s11, v2
	v_cndmask_b32_e32 v3, v11, v3, vcc_lo
	v_cndmask_b32_e32 v2, v2, v8, vcc_lo
	v_add_nc_u32_e32 v8, 1, v3
	v_cmp_le_u32_e32 vcc_lo, s11, v2
	v_cndmask_b32_e32 v8, v3, v8, vcc_lo
	v_mul_hi_u32 v2, v8, v6
	v_mul_lo_u32 v3, v2, s16
	v_add_nc_u32_e32 v9, 1, v2
	v_sub_nc_u32_e32 v3, v8, v3
	v_subrev_nc_u32_e32 v11, s16, v3
	v_cmp_le_u32_e32 vcc_lo, s16, v3
	v_cndmask_b32_e32 v2, v2, v9, vcc_lo
	v_cndmask_b32_e32 v3, v3, v11, vcc_lo
	v_add_nc_u32_e32 v9, 1, v2
	v_cmp_le_u32_e32 vcc_lo, s16, v3
	v_cndmask_b32_e32 v9, v2, v9, vcc_lo
	v_mad_u64_u32 v[2:3], null, s18, v8, v[0:1]
	v_add_nc_u32_e32 v0, s21, v0
	v_mul_lo_u32 v11, v9, s16
	v_mul_lo_u32 v3, v9, s8
	v_cmp_le_u32_e32 vcc_lo, s7, v0
	v_sub_nc_u32_e32 v8, v8, v11
	v_mad_u64_u32 v[2:3], null, v2, s10, v[3:4]
	v_mov_b32_e32 v3, v1
	s_or_b32 s1, vcc_lo, s1
	v_mul_lo_u32 v8, v8, s9
	v_add3_u32 v2, v2, v8, s20
	v_lshlrev_b64 v[2:3], 1, v[2:3]
	v_add_co_u32 v2, s0, s2, v2
	v_add_co_ci_u32_e64 v3, null, s3, v3, s0
	s_waitcnt vmcnt(0)
	global_store_short v[2:3], v10, off
	s_andn2_b32 exec_lo, exec_lo, s1
	s_cbranch_execz .LBB134_5
.LBB134_3:                              ; =>This Inner Loop Header: Depth=1
	v_mov_b32_e32 v3, v1
	v_mov_b32_e32 v2, v0
	s_andn2_b32 vcc_lo, exec_lo, s6
	s_cbranch_vccnz .LBB134_2
; %bb.4:                                ;   in Loop: Header=BB134_3 Depth=1
	v_mul_hi_u32 v10, v5, v0
	v_not_b32_e32 v8, v10
	v_mad_u64_u32 v[2:3], null, s19, v10, v[0:1]
	v_add_nc_u32_e32 v3, 1, v10
	v_mad_u64_u32 v[8:9], null, s15, v8, v[0:1]
	v_cmp_le_u32_e32 vcc_lo, s15, v2
	v_cndmask_b32_e32 v3, v10, v3, vcc_lo
	v_cndmask_b32_e32 v2, v2, v8, vcc_lo
	v_add_nc_u32_e32 v8, 1, v3
	v_cmp_le_u32_e32 vcc_lo, s15, v2
	v_cndmask_b32_e32 v8, v3, v8, vcc_lo
	v_mul_hi_u32 v2, v8, v7
	v_mul_lo_u32 v3, v2, s17
	v_add_nc_u32_e32 v9, 1, v2
	v_sub_nc_u32_e32 v3, v8, v3
	v_subrev_nc_u32_e32 v10, s17, v3
	v_cmp_le_u32_e32 vcc_lo, s17, v3
	v_cndmask_b32_e32 v2, v2, v9, vcc_lo
	v_cndmask_b32_e32 v3, v3, v10, vcc_lo
	v_add_nc_u32_e32 v9, 1, v2
	v_cmp_le_u32_e32 vcc_lo, s17, v3
	v_cndmask_b32_e32 v9, v2, v9, vcc_lo
	v_mad_u64_u32 v[2:3], null, s19, v8, v[0:1]
	v_mul_lo_u32 v10, v9, s17
	v_mul_lo_u32 v2, v2, s14
	v_sub_nc_u32_e32 v3, v8, v10
	v_mul_lo_u32 v8, v9, s12
	v_mul_lo_u32 v3, v3, s13
	v_add3_u32 v2, v2, v8, v3
	v_mov_b32_e32 v3, v1
	s_branch .LBB134_2
.LBB134_5:
	s_endpgm
	.section	.rodata,"a",@progbits
	.p2align	6, 0x0
	.amdhsa_kernel _ZN2at6native12_GLOBAL__N_119CatArrayBatchedCopyINS1_10OpaqueTypeILj2EEEjLi3ELi64ELi64EEEvPT_NS1_25CatArrInputTensorMetadataIS5_T0_XT2_EXT3_EEENS1_16TensorSizeStrideIS8_Lj4EEEiS8_
		.amdhsa_group_segment_fixed_size 0
		.amdhsa_private_segment_fixed_size 0
		.amdhsa_kernarg_size 3696
		.amdhsa_user_sgpr_count 6
		.amdhsa_user_sgpr_private_segment_buffer 1
		.amdhsa_user_sgpr_dispatch_ptr 0
		.amdhsa_user_sgpr_queue_ptr 0
		.amdhsa_user_sgpr_kernarg_segment_ptr 1
		.amdhsa_user_sgpr_dispatch_id 0
		.amdhsa_user_sgpr_flat_scratch_init 0
		.amdhsa_user_sgpr_private_segment_size 0
		.amdhsa_wavefront_size32 1
		.amdhsa_uses_dynamic_stack 0
		.amdhsa_system_sgpr_private_segment_wavefront_offset 0
		.amdhsa_system_sgpr_workgroup_id_x 1
		.amdhsa_system_sgpr_workgroup_id_y 1
		.amdhsa_system_sgpr_workgroup_id_z 0
		.amdhsa_system_sgpr_workgroup_info 0
		.amdhsa_system_vgpr_workitem_id 0
		.amdhsa_next_free_vgpr 12
		.amdhsa_next_free_sgpr 28
		.amdhsa_reserve_vcc 1
		.amdhsa_reserve_flat_scratch 0
		.amdhsa_float_round_mode_32 0
		.amdhsa_float_round_mode_16_64 0
		.amdhsa_float_denorm_mode_32 3
		.amdhsa_float_denorm_mode_16_64 3
		.amdhsa_dx10_clamp 1
		.amdhsa_ieee_mode 1
		.amdhsa_fp16_overflow 0
		.amdhsa_workgroup_processor_mode 1
		.amdhsa_memory_ordered 1
		.amdhsa_forward_progress 1
		.amdhsa_shared_vgpr_count 0
		.amdhsa_exception_fp_ieee_invalid_op 0
		.amdhsa_exception_fp_denorm_src 0
		.amdhsa_exception_fp_ieee_div_zero 0
		.amdhsa_exception_fp_ieee_overflow 0
		.amdhsa_exception_fp_ieee_underflow 0
		.amdhsa_exception_fp_ieee_inexact 0
		.amdhsa_exception_int_div_zero 0
	.end_amdhsa_kernel
	.section	.text._ZN2at6native12_GLOBAL__N_119CatArrayBatchedCopyINS1_10OpaqueTypeILj2EEEjLi3ELi64ELi64EEEvPT_NS1_25CatArrInputTensorMetadataIS5_T0_XT2_EXT3_EEENS1_16TensorSizeStrideIS8_Lj4EEEiS8_,"axG",@progbits,_ZN2at6native12_GLOBAL__N_119CatArrayBatchedCopyINS1_10OpaqueTypeILj2EEEjLi3ELi64ELi64EEEvPT_NS1_25CatArrInputTensorMetadataIS5_T0_XT2_EXT3_EEENS1_16TensorSizeStrideIS8_Lj4EEEiS8_,comdat
.Lfunc_end134:
	.size	_ZN2at6native12_GLOBAL__N_119CatArrayBatchedCopyINS1_10OpaqueTypeILj2EEEjLi3ELi64ELi64EEEvPT_NS1_25CatArrInputTensorMetadataIS5_T0_XT2_EXT3_EEENS1_16TensorSizeStrideIS8_Lj4EEEiS8_, .Lfunc_end134-_ZN2at6native12_GLOBAL__N_119CatArrayBatchedCopyINS1_10OpaqueTypeILj2EEEjLi3ELi64ELi64EEEvPT_NS1_25CatArrInputTensorMetadataIS5_T0_XT2_EXT3_EEENS1_16TensorSizeStrideIS8_Lj4EEEiS8_
                                        ; -- End function
	.set _ZN2at6native12_GLOBAL__N_119CatArrayBatchedCopyINS1_10OpaqueTypeILj2EEEjLi3ELi64ELi64EEEvPT_NS1_25CatArrInputTensorMetadataIS5_T0_XT2_EXT3_EEENS1_16TensorSizeStrideIS8_Lj4EEEiS8_.num_vgpr, 12
	.set _ZN2at6native12_GLOBAL__N_119CatArrayBatchedCopyINS1_10OpaqueTypeILj2EEEjLi3ELi64ELi64EEEvPT_NS1_25CatArrInputTensorMetadataIS5_T0_XT2_EXT3_EEENS1_16TensorSizeStrideIS8_Lj4EEEiS8_.num_agpr, 0
	.set _ZN2at6native12_GLOBAL__N_119CatArrayBatchedCopyINS1_10OpaqueTypeILj2EEEjLi3ELi64ELi64EEEvPT_NS1_25CatArrInputTensorMetadataIS5_T0_XT2_EXT3_EEENS1_16TensorSizeStrideIS8_Lj4EEEiS8_.numbered_sgpr, 28
	.set _ZN2at6native12_GLOBAL__N_119CatArrayBatchedCopyINS1_10OpaqueTypeILj2EEEjLi3ELi64ELi64EEEvPT_NS1_25CatArrInputTensorMetadataIS5_T0_XT2_EXT3_EEENS1_16TensorSizeStrideIS8_Lj4EEEiS8_.num_named_barrier, 0
	.set _ZN2at6native12_GLOBAL__N_119CatArrayBatchedCopyINS1_10OpaqueTypeILj2EEEjLi3ELi64ELi64EEEvPT_NS1_25CatArrInputTensorMetadataIS5_T0_XT2_EXT3_EEENS1_16TensorSizeStrideIS8_Lj4EEEiS8_.private_seg_size, 0
	.set _ZN2at6native12_GLOBAL__N_119CatArrayBatchedCopyINS1_10OpaqueTypeILj2EEEjLi3ELi64ELi64EEEvPT_NS1_25CatArrInputTensorMetadataIS5_T0_XT2_EXT3_EEENS1_16TensorSizeStrideIS8_Lj4EEEiS8_.uses_vcc, 1
	.set _ZN2at6native12_GLOBAL__N_119CatArrayBatchedCopyINS1_10OpaqueTypeILj2EEEjLi3ELi64ELi64EEEvPT_NS1_25CatArrInputTensorMetadataIS5_T0_XT2_EXT3_EEENS1_16TensorSizeStrideIS8_Lj4EEEiS8_.uses_flat_scratch, 0
	.set _ZN2at6native12_GLOBAL__N_119CatArrayBatchedCopyINS1_10OpaqueTypeILj2EEEjLi3ELi64ELi64EEEvPT_NS1_25CatArrInputTensorMetadataIS5_T0_XT2_EXT3_EEENS1_16TensorSizeStrideIS8_Lj4EEEiS8_.has_dyn_sized_stack, 0
	.set _ZN2at6native12_GLOBAL__N_119CatArrayBatchedCopyINS1_10OpaqueTypeILj2EEEjLi3ELi64ELi64EEEvPT_NS1_25CatArrInputTensorMetadataIS5_T0_XT2_EXT3_EEENS1_16TensorSizeStrideIS8_Lj4EEEiS8_.has_recursion, 0
	.set _ZN2at6native12_GLOBAL__N_119CatArrayBatchedCopyINS1_10OpaqueTypeILj2EEEjLi3ELi64ELi64EEEvPT_NS1_25CatArrInputTensorMetadataIS5_T0_XT2_EXT3_EEENS1_16TensorSizeStrideIS8_Lj4EEEiS8_.has_indirect_call, 0
	.section	.AMDGPU.csdata,"",@progbits
; Kernel info:
; codeLenInByte = 932
; TotalNumSgprs: 30
; NumVgprs: 12
; ScratchSize: 0
; MemoryBound: 0
; FloatMode: 240
; IeeeMode: 1
; LDSByteSize: 0 bytes/workgroup (compile time only)
; SGPRBlocks: 0
; VGPRBlocks: 1
; NumSGPRsForWavesPerEU: 30
; NumVGPRsForWavesPerEU: 12
; Occupancy: 16
; WaveLimiterHint : 1
; COMPUTE_PGM_RSRC2:SCRATCH_EN: 0
; COMPUTE_PGM_RSRC2:USER_SGPR: 6
; COMPUTE_PGM_RSRC2:TRAP_HANDLER: 0
; COMPUTE_PGM_RSRC2:TGID_X_EN: 1
; COMPUTE_PGM_RSRC2:TGID_Y_EN: 1
; COMPUTE_PGM_RSRC2:TGID_Z_EN: 0
; COMPUTE_PGM_RSRC2:TIDIG_COMP_CNT: 0
	.section	.text._ZN2at6native12_GLOBAL__N_130CatArrayBatchedCopy_vectorizedINS1_10OpaqueTypeILj2EEEjLi4ELi64ELi64ELi16ELi8EEEvPcNS1_25CatArrInputTensorMetadataIT_T0_XT2_EXT3_EEENS1_16TensorSizeStrideIS8_Lj4EEEiS8_,"axG",@progbits,_ZN2at6native12_GLOBAL__N_130CatArrayBatchedCopy_vectorizedINS1_10OpaqueTypeILj2EEEjLi4ELi64ELi64ELi16ELi8EEEvPcNS1_25CatArrInputTensorMetadataIT_T0_XT2_EXT3_EEENS1_16TensorSizeStrideIS8_Lj4EEEiS8_,comdat
	.globl	_ZN2at6native12_GLOBAL__N_130CatArrayBatchedCopy_vectorizedINS1_10OpaqueTypeILj2EEEjLi4ELi64ELi64ELi16ELi8EEEvPcNS1_25CatArrInputTensorMetadataIT_T0_XT2_EXT3_EEENS1_16TensorSizeStrideIS8_Lj4EEEiS8_ ; -- Begin function _ZN2at6native12_GLOBAL__N_130CatArrayBatchedCopy_vectorizedINS1_10OpaqueTypeILj2EEEjLi4ELi64ELi64ELi16ELi8EEEvPcNS1_25CatArrInputTensorMetadataIT_T0_XT2_EXT3_EEENS1_16TensorSizeStrideIS8_Lj4EEEiS8_
	.p2align	8
	.type	_ZN2at6native12_GLOBAL__N_130CatArrayBatchedCopy_vectorizedINS1_10OpaqueTypeILj2EEEjLi4ELi64ELi64ELi16ELi8EEEvPcNS1_25CatArrInputTensorMetadataIT_T0_XT2_EXT3_EEENS1_16TensorSizeStrideIS8_Lj4EEEiS8_,@function
_ZN2at6native12_GLOBAL__N_130CatArrayBatchedCopy_vectorizedINS1_10OpaqueTypeILj2EEEjLi4ELi64ELi64ELi16ELi8EEEvPcNS1_25CatArrInputTensorMetadataIT_T0_XT2_EXT3_EEENS1_16TensorSizeStrideIS8_Lj4EEEiS8_: ; @_ZN2at6native12_GLOBAL__N_130CatArrayBatchedCopy_vectorizedINS1_10OpaqueTypeILj2EEEjLi4ELi64ELi64ELi16ELi8EEEvPcNS1_25CatArrInputTensorMetadataIT_T0_XT2_EXT3_EEENS1_16TensorSizeStrideIS8_Lj4EEEiS8_
; %bb.0:
	s_mov_b32 s0, s7
	s_load_dword s7, s[4:5], 0xd7c
	s_mov_b32 s1, 0
	s_add_u32 s2, s4, 0xd70
	s_addc_u32 s3, s5, 0
	s_lshl_b64 s[8:9], s[0:1], 2
	s_waitcnt lgkmcnt(0)
	s_and_b32 s15, s7, 0xffff
	s_add_u32 s10, s4, s8
	s_addc_u32 s11, s5, s9
	v_mad_u64_u32 v[0:1], null, s6, s15, v[0:1]
	s_load_dword s7, s[10:11], 0x408
	s_add_u32 s0, s10, 8
	s_addc_u32 s6, s11, 0
	s_waitcnt lgkmcnt(0)
	s_lshr_b32 s10, s7, 3
	s_mov_b32 s7, exec_lo
	v_cmpx_gt_u32_e64 s10, v0
	s_cbranch_execz .LBB135_3
; %bb.1:
	s_add_u32 s20, s0, s8
	s_addc_u32 s21, s6, s9
	s_sub_u32 s0, 0, s8
	s_subb_u32 s7, 0, s9
	s_add_u32 s6, s20, s0
	s_addc_u32 s7, s21, s7
	s_clause 0x3
	s_load_dwordx2 s[12:13], s[4:5], 0xd68
	s_load_dword s0, s[6:7], 0x200
	s_load_dword s6, s[6:7], 0x300
	s_load_dwordx4 s[16:19], s[4:5], 0xd4c
	s_waitcnt lgkmcnt(0)
	s_mul_i32 s0, s0, s13
	s_mul_i32 s6, s6, s13
	s_lshr_b32 s0, s0, 3
	s_lshr_b32 s6, s6, 3
	s_lshl_b64 s[22:23], s[0:1], 4
	s_cmp_eq_u32 s12, 3
	s_load_dword s0, s[2:3], 0x0
	s_cselect_b32 s8, s6, s18
	s_cmp_eq_u32 s12, 2
	v_cvt_f32_u32_e32 v1, s8
	s_cselect_b32 s9, s6, s17
	s_cmp_eq_u32 s12, 1
	v_cvt_f32_u32_e32 v2, s9
	s_cselect_b32 s11, s6, s16
	s_load_dwordx2 s[18:19], s[4:5], 0x0
	v_cvt_f32_u32_e32 v3, s11
	v_rcp_iflag_f32_e32 v1, v1
	v_rcp_iflag_f32_e32 v2, v2
	s_load_dwordx4 s[4:7], s[4:5], 0xd58
	v_rcp_iflag_f32_e32 v3, v3
	v_mul_f32_e32 v1, 0x4f7ffffe, v1
	v_mul_f32_e32 v2, 0x4f7ffffe, v2
	s_waitcnt lgkmcnt(0)
	s_mul_i32 s15, s0, s15
	v_mul_f32_e32 v3, 0x4f7ffffe, v3
	v_cvt_u32_f32_e32 v1, v1
	v_cvt_u32_f32_e32 v4, v2
	s_add_u32 s12, s18, s22
	v_cvt_u32_f32_e32 v5, v3
	s_addc_u32 s13, s19, s23
	s_sub_i32 s14, 0, s8
	s_sub_i32 s2, 0, s9
	;; [unrolled: 1-line block ×3, first 2 shown]
	v_mul_lo_u32 v2, s14, v1
	v_mul_lo_u32 v3, s2, v4
	;; [unrolled: 1-line block ×3, first 2 shown]
	s_load_dwordx2 s[2:3], s[20:21], 0x0
	v_mul_hi_u32 v2, v1, v2
	v_mul_hi_u32 v3, v4, v3
	;; [unrolled: 1-line block ×3, first 2 shown]
	v_add_nc_u32_e32 v2, v1, v2
	v_mov_b32_e32 v1, 0
	v_add_nc_u32_e32 v3, v4, v3
	v_add_nc_u32_e32 v4, v5, v6
.LBB135_2:                              ; =>This Inner Loop Header: Depth=1
	v_lshlrev_b64 v[5:6], 4, v[0:1]
	v_mul_hi_u32 v11, v2, v0
	s_waitcnt lgkmcnt(0)
	v_add_co_u32 v5, vcc_lo, s2, v5
	v_add_co_ci_u32_e64 v6, null, s3, v6, vcc_lo
	v_mul_lo_u32 v12, s8, v11
	v_not_b32_e32 v9, v11
	v_add_nc_u32_e32 v13, 1, v11
	global_load_dwordx4 v[5:8], v[5:6], off
	v_mad_u64_u32 v[9:10], null, s8, v9, v[0:1]
	v_sub_nc_u32_e32 v10, v0, v12
	v_cmp_le_u32_e32 vcc_lo, s8, v10
	v_cndmask_b32_e32 v11, v11, v13, vcc_lo
	v_cndmask_b32_e32 v9, v10, v9, vcc_lo
	v_add_nc_u32_e32 v10, 1, v11
	v_cmp_le_u32_e32 vcc_lo, s8, v9
	v_cndmask_b32_e32 v11, v11, v10, vcc_lo
	v_mul_hi_u32 v12, v11, v3
	v_mad_u64_u32 v[9:10], null, s14, v11, v[0:1]
	v_add_nc_u32_e32 v0, s15, v0
	v_mul_lo_u32 v10, v12, s9
	v_add_nc_u32_e32 v13, 1, v12
	v_mul_lo_u32 v9, v9, s7
	v_sub_nc_u32_e32 v10, v11, v10
	v_subrev_nc_u32_e32 v14, s9, v10
	v_cmp_le_u32_e32 vcc_lo, s9, v10
	v_cndmask_b32_e32 v12, v12, v13, vcc_lo
	v_cndmask_b32_e32 v10, v10, v14, vcc_lo
	v_add_nc_u32_e32 v13, 1, v12
	v_cmp_le_u32_e32 vcc_lo, s9, v10
	v_cndmask_b32_e32 v10, v12, v13, vcc_lo
	v_mul_hi_u32 v12, v10, v4
	v_mul_lo_u32 v13, v12, s11
	v_add_nc_u32_e32 v14, 1, v12
	v_sub_nc_u32_e32 v13, v10, v13
	v_subrev_nc_u32_e32 v15, s11, v13
	v_cmp_le_u32_e32 vcc_lo, s11, v13
	v_cndmask_b32_e32 v12, v12, v14, vcc_lo
	v_cndmask_b32_e32 v13, v13, v15, vcc_lo
	v_add_nc_u32_e32 v14, 1, v12
	v_cmp_le_u32_e32 vcc_lo, s11, v13
	v_mul_lo_u32 v13, v10, s9
	v_cndmask_b32_e32 v12, v12, v14, vcc_lo
	v_cmp_le_u32_e32 vcc_lo, s10, v0
	v_sub_nc_u32_e32 v11, v11, v13
	v_mul_lo_u32 v14, v12, s11
	s_or_b32 s1, vcc_lo, s1
	v_mul_lo_u32 v11, v11, s6
	v_sub_nc_u32_e32 v13, v10, v14
	v_mad_u64_u32 v[9:10], null, v12, s4, v[9:10]
	v_mov_b32_e32 v10, v1
	v_mul_lo_u32 v12, v13, s5
	v_add3_u32 v9, v9, v11, v12
	v_lshlrev_b64 v[9:10], 4, v[9:10]
	v_add_co_u32 v9, s0, s12, v9
	v_add_co_ci_u32_e64 v10, null, s13, v10, s0
	s_waitcnt vmcnt(0)
	global_store_dwordx4 v[9:10], v[5:8], off
	s_andn2_b32 exec_lo, exec_lo, s1
	s_cbranch_execnz .LBB135_2
.LBB135_3:
	s_endpgm
	.section	.rodata,"a",@progbits
	.p2align	6, 0x0
	.amdhsa_kernel _ZN2at6native12_GLOBAL__N_130CatArrayBatchedCopy_vectorizedINS1_10OpaqueTypeILj2EEEjLi4ELi64ELi64ELi16ELi8EEEvPcNS1_25CatArrInputTensorMetadataIT_T0_XT2_EXT3_EEENS1_16TensorSizeStrideIS8_Lj4EEEiS8_
		.amdhsa_group_segment_fixed_size 0
		.amdhsa_private_segment_fixed_size 0
		.amdhsa_kernarg_size 3696
		.amdhsa_user_sgpr_count 6
		.amdhsa_user_sgpr_private_segment_buffer 1
		.amdhsa_user_sgpr_dispatch_ptr 0
		.amdhsa_user_sgpr_queue_ptr 0
		.amdhsa_user_sgpr_kernarg_segment_ptr 1
		.amdhsa_user_sgpr_dispatch_id 0
		.amdhsa_user_sgpr_flat_scratch_init 0
		.amdhsa_user_sgpr_private_segment_size 0
		.amdhsa_wavefront_size32 1
		.amdhsa_uses_dynamic_stack 0
		.amdhsa_system_sgpr_private_segment_wavefront_offset 0
		.amdhsa_system_sgpr_workgroup_id_x 1
		.amdhsa_system_sgpr_workgroup_id_y 1
		.amdhsa_system_sgpr_workgroup_id_z 0
		.amdhsa_system_sgpr_workgroup_info 0
		.amdhsa_system_vgpr_workitem_id 0
		.amdhsa_next_free_vgpr 16
		.amdhsa_next_free_sgpr 24
		.amdhsa_reserve_vcc 1
		.amdhsa_reserve_flat_scratch 0
		.amdhsa_float_round_mode_32 0
		.amdhsa_float_round_mode_16_64 0
		.amdhsa_float_denorm_mode_32 3
		.amdhsa_float_denorm_mode_16_64 3
		.amdhsa_dx10_clamp 1
		.amdhsa_ieee_mode 1
		.amdhsa_fp16_overflow 0
		.amdhsa_workgroup_processor_mode 1
		.amdhsa_memory_ordered 1
		.amdhsa_forward_progress 1
		.amdhsa_shared_vgpr_count 0
		.amdhsa_exception_fp_ieee_invalid_op 0
		.amdhsa_exception_fp_denorm_src 0
		.amdhsa_exception_fp_ieee_div_zero 0
		.amdhsa_exception_fp_ieee_overflow 0
		.amdhsa_exception_fp_ieee_underflow 0
		.amdhsa_exception_fp_ieee_inexact 0
		.amdhsa_exception_int_div_zero 0
	.end_amdhsa_kernel
	.section	.text._ZN2at6native12_GLOBAL__N_130CatArrayBatchedCopy_vectorizedINS1_10OpaqueTypeILj2EEEjLi4ELi64ELi64ELi16ELi8EEEvPcNS1_25CatArrInputTensorMetadataIT_T0_XT2_EXT3_EEENS1_16TensorSizeStrideIS8_Lj4EEEiS8_,"axG",@progbits,_ZN2at6native12_GLOBAL__N_130CatArrayBatchedCopy_vectorizedINS1_10OpaqueTypeILj2EEEjLi4ELi64ELi64ELi16ELi8EEEvPcNS1_25CatArrInputTensorMetadataIT_T0_XT2_EXT3_EEENS1_16TensorSizeStrideIS8_Lj4EEEiS8_,comdat
.Lfunc_end135:
	.size	_ZN2at6native12_GLOBAL__N_130CatArrayBatchedCopy_vectorizedINS1_10OpaqueTypeILj2EEEjLi4ELi64ELi64ELi16ELi8EEEvPcNS1_25CatArrInputTensorMetadataIT_T0_XT2_EXT3_EEENS1_16TensorSizeStrideIS8_Lj4EEEiS8_, .Lfunc_end135-_ZN2at6native12_GLOBAL__N_130CatArrayBatchedCopy_vectorizedINS1_10OpaqueTypeILj2EEEjLi4ELi64ELi64ELi16ELi8EEEvPcNS1_25CatArrInputTensorMetadataIT_T0_XT2_EXT3_EEENS1_16TensorSizeStrideIS8_Lj4EEEiS8_
                                        ; -- End function
	.set _ZN2at6native12_GLOBAL__N_130CatArrayBatchedCopy_vectorizedINS1_10OpaqueTypeILj2EEEjLi4ELi64ELi64ELi16ELi8EEEvPcNS1_25CatArrInputTensorMetadataIT_T0_XT2_EXT3_EEENS1_16TensorSizeStrideIS8_Lj4EEEiS8_.num_vgpr, 16
	.set _ZN2at6native12_GLOBAL__N_130CatArrayBatchedCopy_vectorizedINS1_10OpaqueTypeILj2EEEjLi4ELi64ELi64ELi16ELi8EEEvPcNS1_25CatArrInputTensorMetadataIT_T0_XT2_EXT3_EEENS1_16TensorSizeStrideIS8_Lj4EEEiS8_.num_agpr, 0
	.set _ZN2at6native12_GLOBAL__N_130CatArrayBatchedCopy_vectorizedINS1_10OpaqueTypeILj2EEEjLi4ELi64ELi64ELi16ELi8EEEvPcNS1_25CatArrInputTensorMetadataIT_T0_XT2_EXT3_EEENS1_16TensorSizeStrideIS8_Lj4EEEiS8_.numbered_sgpr, 24
	.set _ZN2at6native12_GLOBAL__N_130CatArrayBatchedCopy_vectorizedINS1_10OpaqueTypeILj2EEEjLi4ELi64ELi64ELi16ELi8EEEvPcNS1_25CatArrInputTensorMetadataIT_T0_XT2_EXT3_EEENS1_16TensorSizeStrideIS8_Lj4EEEiS8_.num_named_barrier, 0
	.set _ZN2at6native12_GLOBAL__N_130CatArrayBatchedCopy_vectorizedINS1_10OpaqueTypeILj2EEEjLi4ELi64ELi64ELi16ELi8EEEvPcNS1_25CatArrInputTensorMetadataIT_T0_XT2_EXT3_EEENS1_16TensorSizeStrideIS8_Lj4EEEiS8_.private_seg_size, 0
	.set _ZN2at6native12_GLOBAL__N_130CatArrayBatchedCopy_vectorizedINS1_10OpaqueTypeILj2EEEjLi4ELi64ELi64ELi16ELi8EEEvPcNS1_25CatArrInputTensorMetadataIT_T0_XT2_EXT3_EEENS1_16TensorSizeStrideIS8_Lj4EEEiS8_.uses_vcc, 1
	.set _ZN2at6native12_GLOBAL__N_130CatArrayBatchedCopy_vectorizedINS1_10OpaqueTypeILj2EEEjLi4ELi64ELi64ELi16ELi8EEEvPcNS1_25CatArrInputTensorMetadataIT_T0_XT2_EXT3_EEENS1_16TensorSizeStrideIS8_Lj4EEEiS8_.uses_flat_scratch, 0
	.set _ZN2at6native12_GLOBAL__N_130CatArrayBatchedCopy_vectorizedINS1_10OpaqueTypeILj2EEEjLi4ELi64ELi64ELi16ELi8EEEvPcNS1_25CatArrInputTensorMetadataIT_T0_XT2_EXT3_EEENS1_16TensorSizeStrideIS8_Lj4EEEiS8_.has_dyn_sized_stack, 0
	.set _ZN2at6native12_GLOBAL__N_130CatArrayBatchedCopy_vectorizedINS1_10OpaqueTypeILj2EEEjLi4ELi64ELi64ELi16ELi8EEEvPcNS1_25CatArrInputTensorMetadataIT_T0_XT2_EXT3_EEENS1_16TensorSizeStrideIS8_Lj4EEEiS8_.has_recursion, 0
	.set _ZN2at6native12_GLOBAL__N_130CatArrayBatchedCopy_vectorizedINS1_10OpaqueTypeILj2EEEjLi4ELi64ELi64ELi16ELi8EEEvPcNS1_25CatArrInputTensorMetadataIT_T0_XT2_EXT3_EEENS1_16TensorSizeStrideIS8_Lj4EEEiS8_.has_indirect_call, 0
	.section	.AMDGPU.csdata,"",@progbits
; Kernel info:
; codeLenInByte = 728
; TotalNumSgprs: 26
; NumVgprs: 16
; ScratchSize: 0
; MemoryBound: 0
; FloatMode: 240
; IeeeMode: 1
; LDSByteSize: 0 bytes/workgroup (compile time only)
; SGPRBlocks: 0
; VGPRBlocks: 1
; NumSGPRsForWavesPerEU: 26
; NumVGPRsForWavesPerEU: 16
; Occupancy: 16
; WaveLimiterHint : 1
; COMPUTE_PGM_RSRC2:SCRATCH_EN: 0
; COMPUTE_PGM_RSRC2:USER_SGPR: 6
; COMPUTE_PGM_RSRC2:TRAP_HANDLER: 0
; COMPUTE_PGM_RSRC2:TGID_X_EN: 1
; COMPUTE_PGM_RSRC2:TGID_Y_EN: 1
; COMPUTE_PGM_RSRC2:TGID_Z_EN: 0
; COMPUTE_PGM_RSRC2:TIDIG_COMP_CNT: 0
	.section	.text._ZN2at6native12_GLOBAL__N_135CatArrayBatchedCopy_alignedK_contigINS1_10OpaqueTypeILj2EEEjLi4ELi64ELi64ELi16EEEvPT_NS1_25CatArrInputTensorMetadataIS5_T0_XT2_EXT3_EEENS1_16TensorSizeStrideIS8_Lj4EEEiS8_,"axG",@progbits,_ZN2at6native12_GLOBAL__N_135CatArrayBatchedCopy_alignedK_contigINS1_10OpaqueTypeILj2EEEjLi4ELi64ELi64ELi16EEEvPT_NS1_25CatArrInputTensorMetadataIS5_T0_XT2_EXT3_EEENS1_16TensorSizeStrideIS8_Lj4EEEiS8_,comdat
	.globl	_ZN2at6native12_GLOBAL__N_135CatArrayBatchedCopy_alignedK_contigINS1_10OpaqueTypeILj2EEEjLi4ELi64ELi64ELi16EEEvPT_NS1_25CatArrInputTensorMetadataIS5_T0_XT2_EXT3_EEENS1_16TensorSizeStrideIS8_Lj4EEEiS8_ ; -- Begin function _ZN2at6native12_GLOBAL__N_135CatArrayBatchedCopy_alignedK_contigINS1_10OpaqueTypeILj2EEEjLi4ELi64ELi64ELi16EEEvPT_NS1_25CatArrInputTensorMetadataIS5_T0_XT2_EXT3_EEENS1_16TensorSizeStrideIS8_Lj4EEEiS8_
	.p2align	8
	.type	_ZN2at6native12_GLOBAL__N_135CatArrayBatchedCopy_alignedK_contigINS1_10OpaqueTypeILj2EEEjLi4ELi64ELi64ELi16EEEvPT_NS1_25CatArrInputTensorMetadataIS5_T0_XT2_EXT3_EEENS1_16TensorSizeStrideIS8_Lj4EEEiS8_,@function
_ZN2at6native12_GLOBAL__N_135CatArrayBatchedCopy_alignedK_contigINS1_10OpaqueTypeILj2EEEjLi4ELi64ELi64ELi16EEEvPT_NS1_25CatArrInputTensorMetadataIS5_T0_XT2_EXT3_EEENS1_16TensorSizeStrideIS8_Lj4EEEiS8_: ; @_ZN2at6native12_GLOBAL__N_135CatArrayBatchedCopy_alignedK_contigINS1_10OpaqueTypeILj2EEEjLi4ELi64ELi64ELi16EEEvPT_NS1_25CatArrInputTensorMetadataIS5_T0_XT2_EXT3_EEENS1_16TensorSizeStrideIS8_Lj4EEEiS8_
; %bb.0:
	s_mov_b32 s2, s7
	s_load_dword s7, s[4:5], 0xd7c
	s_mov_b32 s3, 0
	s_add_u32 s0, s4, 0xd70
	s_addc_u32 s1, s5, 0
	s_lshl_b64 s[16:17], s[2:3], 2
	s_waitcnt lgkmcnt(0)
	s_and_b32 s7, s7, 0xffff
	s_add_u32 s2, s4, s16
	s_addc_u32 s3, s5, s17
	s_mul_i32 s6, s6, s7
	s_load_dword s18, s[2:3], 0x408
	v_add_lshl_u32 v10, s6, v0, 3
	s_add_u32 s6, s2, 8
	s_addc_u32 s19, s3, 0
	s_mov_b32 s2, exec_lo
	s_waitcnt lgkmcnt(0)
	v_cmpx_gt_u32_e64 s18, v10
	s_cbranch_execz .LBB136_10
; %bb.1:
	s_add_u32 s20, s6, s16
	s_addc_u32 s21, s19, s17
	s_sub_u32 s6, 0, s16
	s_subb_u32 s17, 0, s17
	s_add_u32 s16, s20, s6
	s_addc_u32 s17, s21, s17
	s_clause 0x5
	s_load_dwordx2 s[2:3], s[4:5], 0x0
	s_load_dwordx8 s[8:15], s[4:5], 0xd4c
	s_load_dword s6, s[4:5], 0xd6c
	s_load_dword s19, s[16:17], 0x200
	s_load_dwordx2 s[4:5], s[20:21], 0x0
	s_load_dword s17, s[16:17], 0x300
	v_add_nc_u32_e32 v0, 8, v10
	s_waitcnt lgkmcnt(0)
	s_mul_i32 s16, s19, s6
	s_mov_b32 s19, exec_lo
	v_cmpx_ge_u32_e64 s18, v0
	s_cbranch_execz .LBB136_7
; %bb.2:
	s_load_dword s0, s[0:1], 0x0
	v_add_nc_u32_e32 v11, 1, v10
	s_mov_b32 s24, 0
	s_waitcnt lgkmcnt(0)
	s_mul_i32 s0, s0, s7
	s_lshl_b32 s1, s0, 3
	s_cmp_eq_u32 s15, 3
	s_cselect_b32 s20, s17, s10
	s_cmp_eq_u32 s15, 2
	v_cvt_f32_u32_e32 v0, s20
	s_cselect_b32 s21, s17, s9
	s_cmp_eq_u32 s15, 1
	v_cvt_f32_u32_e32 v1, s21
	s_cselect_b32 s22, s17, s8
	v_rcp_iflag_f32_e32 v0, v0
	v_cvt_f32_u32_e32 v2, s22
	s_sub_i32 s23, 0, s20
	v_rcp_iflag_f32_e32 v1, v1
	s_sub_i32 s0, 0, s21
	s_sub_i32 s6, 0, s22
	v_rcp_iflag_f32_e32 v2, v2
	v_mul_f32_e32 v0, 0x4f7ffffe, v0
	v_mul_f32_e32 v3, 0x4f7ffffe, v1
	v_mov_b32_e32 v1, 0
	v_cvt_u32_f32_e32 v8, v0
	v_mul_f32_e32 v2, 0x4f7ffffe, v2
	v_cvt_u32_f32_e32 v9, v3
	v_mov_b32_e32 v7, v1
	v_mul_lo_u32 v4, s23, v8
	v_cvt_u32_f32_e32 v15, v2
	v_mov_b32_e32 v0, v1
	v_mul_lo_u32 v5, s0, v9
	v_mov_b32_e32 v2, v1
	v_mov_b32_e32 v3, v1
	v_mul_lo_u32 v6, s6, v15
	v_mov_b32_e32 v12, v1
	v_mul_hi_u32 v13, v8, v4
	v_mov_b32_e32 v4, v1
	v_mul_hi_u32 v14, v9, v5
	;; [unrolled: 2-line block ×3, first 2 shown]
	v_mov_b32_e32 v6, v1
	v_add_nc_u32_e32 v13, v8, v13
	v_add_nc_u32_e32 v14, v9, v14
	v_mov_b32_e32 v9, v7
	v_mov_b32_e32 v8, v6
	v_add_nc_u32_e32 v15, v15, v16
	v_mov_b32_e32 v7, v5
	v_mov_b32_e32 v6, v4
	;; [unrolled: 1-line block ×6, first 2 shown]
.LBB136_3:                              ; =>This Loop Header: Depth=1
                                        ;     Child Loop BB136_4 Depth 2
	v_mov_b32_e32 v0, v10
	v_mov_b32_e32 v16, v11
	s_mov_b64 s[6:7], 0
.LBB136_4:                              ;   Parent Loop BB136_3 Depth=1
                                        ; =>  This Inner Loop Header: Depth=2
	v_mul_hi_u32 v18, v13, v0
	v_mul_hi_u32 v20, v13, v16
	v_add_nc_u32_e32 v17, s6, v10
	s_mov_b32 m0, s6
	v_add_nc_u32_e32 v16, 2, v16
	v_add_nc_u32_e32 v0, 2, v0
	v_mul_hi_u32 v21, v17, v13
	v_not_b32_e32 v24, v18
	v_mad_u64_u32 v[18:19], null, s23, v18, v[17:18]
	v_mul_lo_u32 v23, s20, v20
	v_add_nc_u32_e32 v22, 1, v17
	v_not_b32_e32 v25, v20
	v_add_nc_u32_e32 v26, 1, v21
	v_mad_u64_u32 v[19:20], null, s20, v24, v[17:18]
	v_sub_nc_u32_e32 v23, v11, v23
	v_cmp_le_u32_e32 vcc_lo, s20, v18
	v_mul_hi_u32 v22, v22, v13
	v_mul_lo_u32 v20, s20, v25
	v_add_nc_u32_e32 v23, s6, v23
	v_cndmask_b32_e32 v21, v21, v26, vcc_lo
	v_cndmask_b32_e32 v18, v18, v19, vcc_lo
	v_add_nc_u32_e32 v24, 1, v22
	v_add3_u32 v19, v11, v20, s6
	v_add_nc_u32_e32 v20, 1, v21
	v_cmp_le_u32_e32 vcc_lo, s20, v23
	v_cmp_le_u32_e64 s0, s20, v18
	v_cndmask_b32_e32 v22, v22, v24, vcc_lo
	v_cndmask_b32_e64 v21, v21, v20, s0
	v_cndmask_b32_e32 v20, v23, v19, vcc_lo
	v_add_nc_u32_e32 v23, 1, v22
	v_mul_hi_u32 v24, v21, v14
	v_cmp_le_u32_e32 vcc_lo, s20, v20
	v_mad_u64_u32 v[18:19], null, s23, v21, v[17:18]
	v_cndmask_b32_e32 v22, v22, v23, vcc_lo
	v_mul_lo_u32 v23, v24, s21
	v_mul_hi_u32 v25, v22, v14
	v_mad_u64_u32 v[19:20], null, s23, v22, v[17:18]
	v_mul_lo_u32 v17, v18, s14
	v_add_nc_u32_e32 v20, 1, v24
	v_sub_nc_u32_e32 v18, v21, v23
	v_mul_lo_u32 v23, v25, s21
	v_add_nc_u32_e32 v26, 1, v25
	v_subrev_nc_u32_e32 v27, s21, v18
	v_cmp_le_u32_e32 vcc_lo, s21, v18
	v_mul_lo_u32 v19, s14, v19
	v_sub_nc_u32_e32 v23, v22, v23
	v_cndmask_b32_e32 v20, v24, v20, vcc_lo
	v_cndmask_b32_e32 v18, v18, v27, vcc_lo
	v_cmp_le_u32_e32 vcc_lo, s21, v23
	v_add_nc_u32_e32 v24, 1, v20
	v_cmp_le_u32_e64 s0, s21, v18
	v_cndmask_b32_e32 v25, v25, v26, vcc_lo
	v_subrev_nc_u32_e32 v26, s21, v23
	v_cndmask_b32_e64 v18, v20, v24, s0
	v_cndmask_b32_e32 v20, v23, v26, vcc_lo
	v_add_nc_u32_e32 v23, 1, v25
	v_mul_hi_u32 v24, v18, v15
	v_mul_lo_u32 v26, v18, s21
	v_cmp_le_u32_e32 vcc_lo, s21, v20
	v_cndmask_b32_e32 v20, v25, v23, vcc_lo
	v_mul_lo_u32 v23, v24, s22
	v_add_nc_u32_e32 v27, 1, v24
	v_sub_nc_u32_e32 v21, v21, v26
	v_mul_hi_u32 v25, v20, v15
	v_mul_lo_u32 v28, v20, s21
	v_mul_lo_u32 v21, v21, s13
	v_sub_nc_u32_e32 v23, v18, v23
	v_mul_lo_u32 v29, v25, s22
	v_subrev_nc_u32_e32 v31, s22, v23
	v_cmp_le_u32_e32 vcc_lo, s22, v23
	v_add_nc_u32_e32 v30, 1, v25
	v_sub_nc_u32_e32 v22, v22, v28
	v_cndmask_b32_e32 v24, v24, v27, vcc_lo
	v_sub_nc_u32_e32 v27, v20, v29
	v_cndmask_b32_e32 v23, v23, v31, vcc_lo
	v_mul_lo_u32 v22, v22, s13
	v_add_nc_u32_e32 v29, 1, v24
	v_subrev_nc_u32_e32 v31, s22, v27
	v_cmp_le_u32_e32 vcc_lo, s22, v27
	v_cmp_le_u32_e64 s0, s22, v23
	v_cndmask_b32_e32 v25, v25, v30, vcc_lo
	v_cndmask_b32_e64 v23, v24, v29, s0
	v_cndmask_b32_e32 v24, v27, v31, vcc_lo
	v_add_nc_u32_e32 v27, 1, v25
	v_mul_lo_u32 v29, v23, s22
	v_cmp_le_u32_e32 vcc_lo, s22, v24
	v_cndmask_b32_e32 v24, v25, v27, vcc_lo
	v_sub_nc_u32_e32 v26, v18, v29
	v_mad_u64_u32 v[17:18], null, v23, s11, v[17:18]
	v_mul_lo_u32 v25, v24, s22
	v_mul_lo_u32 v18, v24, s11
	v_mul_lo_u32 v23, v26, s12
	v_sub_nc_u32_e32 v20, v20, v25
	v_add3_u32 v18, v19, s14, v18
	v_add3_u32 v17, v17, v21, v23
	v_mul_lo_u32 v20, v20, s12
	v_movreld_b32_e32 v2, v17
	s_add_i32 m0, s6, 1
	s_add_u32 s6, s6, 2
	s_addc_u32 s7, s7, 0
	s_cmp_eq_u32 s6, 8
	v_add3_u32 v17, v18, v22, v20
	v_movreld_b32_e32 v2, v17
	s_cbranch_scc0 .LBB136_4
; %bb.5:                                ;   in Loop: Header=BB136_3 Depth=1
	v_mov_b32_e32 v0, v10
	v_add_nc_u32_e32 v11, s1, v11
	v_lshlrev_b64 v[16:17], 1, v[0:1]
	v_add_nc_u32_e32 v0, s16, v2
	v_lshlrev_b64 v[20:21], 1, v[0:1]
	v_add_co_u32 v16, vcc_lo, s4, v16
	v_add_co_ci_u32_e64 v17, null, s5, v17, vcc_lo
	v_add_co_u32 v10, vcc_lo, v10, s1
	v_add_nc_u32_e32 v0, s16, v3
	global_load_dwordx4 v[16:19], v[16:17], off
	v_add_co_ci_u32_e64 v12, null, 0, v12, vcc_lo
	v_add_nc_u32_e32 v22, 8, v10
	v_cmp_lt_u32_e32 vcc_lo, s18, v22
	v_lshlrev_b64 v[22:23], 1, v[0:1]
	v_add_nc_u32_e32 v0, s16, v4
	s_or_b32 s24, vcc_lo, s24
	v_add_co_u32 v20, vcc_lo, s2, v20
	v_lshlrev_b64 v[24:25], 1, v[0:1]
	v_add_nc_u32_e32 v0, s16, v5
	v_add_co_ci_u32_e64 v21, null, s3, v21, vcc_lo
	v_add_co_u32 v22, vcc_lo, s2, v22
	v_lshlrev_b64 v[26:27], 1, v[0:1]
	v_add_nc_u32_e32 v0, s16, v6
	v_add_co_ci_u32_e64 v23, null, s3, v23, vcc_lo
	;; [unrolled: 4-line block ×5, first 2 shown]
	v_add_co_u32 v30, vcc_lo, s2, v30
	v_lshlrev_b64 v[34:35], 1, v[0:1]
	v_add_co_ci_u32_e64 v31, null, s3, v31, vcc_lo
	v_add_co_u32 v32, vcc_lo, s2, v32
	v_add_co_ci_u32_e64 v33, null, s3, v33, vcc_lo
	v_add_co_u32 v34, vcc_lo, s2, v34
	v_add_co_ci_u32_e64 v35, null, s3, v35, vcc_lo
	s_waitcnt vmcnt(0)
	global_store_short v[20:21], v16, off
	global_store_short_d16_hi v[22:23], v16, off
	global_store_short v[24:25], v17, off
	global_store_short_d16_hi v[26:27], v17, off
	;; [unrolled: 2-line block ×4, first 2 shown]
	s_andn2_b32 exec_lo, exec_lo, s24
	s_cbranch_execnz .LBB136_3
; %bb.6:
	s_or_b32 exec_lo, exec_lo, s24
.LBB136_7:
	s_or_b32 exec_lo, exec_lo, s19
	v_cmp_gt_u32_e32 vcc_lo, s18, v10
	s_and_b32 exec_lo, exec_lo, vcc_lo
	s_cbranch_execz .LBB136_10
; %bb.8:
	s_cmp_eq_u32 s15, 3
	s_cselect_b32 s6, s17, s10
	s_cmp_eq_u32 s15, 2
	v_cvt_f32_u32_e32 v0, s6
	s_cselect_b32 s7, s17, s9
	s_cmp_eq_u32 s15, 1
	v_cvt_f32_u32_e32 v1, s7
	s_cselect_b32 s8, s17, s8
	v_rcp_iflag_f32_e32 v0, v0
	v_cvt_f32_u32_e32 v2, s8
	s_sub_i32 s9, 0, s6
	v_rcp_iflag_f32_e32 v1, v1
	s_sub_i32 s0, 0, s7
	s_sub_i32 s1, 0, s8
	v_rcp_iflag_f32_e32 v2, v2
	v_mul_f32_e32 v0, 0x4f7ffffe, v0
	v_mul_f32_e32 v1, 0x4f7ffffe, v1
	v_cvt_u32_f32_e32 v0, v0
	v_mul_f32_e32 v2, 0x4f7ffffe, v2
	v_cvt_u32_f32_e32 v3, v1
	v_mov_b32_e32 v1, 0
	v_mul_lo_u32 v4, s9, v0
	v_cvt_u32_f32_e32 v2, v2
	v_mul_lo_u32 v5, s0, v3
	v_mov_b32_e32 v11, v1
	v_mul_lo_u32 v6, s1, v2
	v_mul_hi_u32 v4, v0, v4
	v_mul_hi_u32 v7, v3, v5
	;; [unrolled: 1-line block ×3, first 2 shown]
	v_add_nc_u32_e32 v6, v0, v4
	v_lshlrev_b64 v[4:5], 1, v[10:11]
	v_add_nc_u32_e32 v7, v3, v7
	v_add_nc_u32_e32 v8, v2, v8
	v_mad_u64_u32 v[2:3], null, v10, v6, 0
	v_add_co_u32 v4, vcc_lo, s4, v4
	v_add_co_ci_u32_e64 v5, null, s5, v5, vcc_lo
	s_mov_b32 s4, 0
.LBB136_9:                              ; =>This Inner Loop Header: Depth=1
	global_load_ushort v9, v[4:5], off
	v_mul_lo_u32 v0, s6, v3
	v_not_b32_e32 v11, v3
	v_add_nc_u32_e32 v13, 1, v3
	v_add_co_u32 v2, vcc_lo, v2, v6
	v_mad_u64_u32 v[11:12], null, s6, v11, v[10:11]
	v_sub_nc_u32_e32 v0, v10, v0
	v_cmp_le_u32_e64 s0, s6, v0
	v_cndmask_b32_e64 v12, v3, v13, s0
	v_cndmask_b32_e64 v0, v0, v11, s0
	v_add_co_ci_u32_e64 v3, null, 0, v3, vcc_lo
	v_add_nc_u32_e32 v11, 1, v12
	v_cmp_le_u32_e64 s0, s6, v0
	v_cndmask_b32_e64 v0, v12, v11, s0
	v_mul_hi_u32 v11, v0, v7
	v_mul_lo_u32 v12, v11, s7
	v_add_nc_u32_e32 v13, 1, v11
	v_sub_nc_u32_e32 v12, v0, v12
	v_subrev_nc_u32_e32 v14, s7, v12
	v_cmp_le_u32_e64 s0, s7, v12
	v_cndmask_b32_e64 v11, v11, v13, s0
	v_cndmask_b32_e64 v12, v12, v14, s0
	v_add_nc_u32_e32 v13, 1, v11
	v_cmp_le_u32_e64 s0, s7, v12
	v_cndmask_b32_e64 v13, v11, v13, s0
	v_mad_u64_u32 v[11:12], null, s9, v0, v[10:11]
	v_add_nc_u32_e32 v10, 1, v10
	v_mul_hi_u32 v14, v13, v8
	v_mul_lo_u32 v15, v13, s7
	v_mul_lo_u32 v11, v11, s14
	;; [unrolled: 1-line block ×3, first 2 shown]
	v_add_nc_u32_e32 v16, 1, v14
	v_sub_nc_u32_e32 v0, v0, v15
	v_mul_lo_u32 v0, v0, s13
	v_sub_nc_u32_e32 v12, v13, v12
	v_subrev_nc_u32_e32 v17, s8, v12
	v_cmp_le_u32_e64 s0, s8, v12
	v_cndmask_b32_e64 v14, v14, v16, s0
	v_cndmask_b32_e64 v12, v12, v17, s0
	v_add_nc_u32_e32 v16, 1, v14
	v_cmp_le_u32_e64 s0, s8, v12
	v_cndmask_b32_e64 v12, v14, v16, s0
	v_add_co_u32 v4, s0, v4, 2
	v_add_co_ci_u32_e64 v5, null, 0, v5, s0
	v_mul_lo_u32 v14, v12, s8
	v_mul_lo_u32 v12, v12, s11
	v_cmp_le_u32_e64 s0, s18, v10
	s_or_b32 s4, s0, s4
	v_sub_nc_u32_e32 v13, v13, v14
	v_add3_u32 v0, v12, v11, v0
	v_mul_lo_u32 v13, v13, s12
	v_add3_u32 v0, v0, v13, s16
	v_lshlrev_b64 v[11:12], 1, v[0:1]
	v_add_co_u32 v11, s1, s2, v11
	v_add_co_ci_u32_e64 v12, null, s3, v12, s1
	s_waitcnt vmcnt(0)
	global_store_short v[11:12], v9, off
	s_andn2_b32 exec_lo, exec_lo, s4
	s_cbranch_execnz .LBB136_9
.LBB136_10:
	s_endpgm
	.section	.rodata,"a",@progbits
	.p2align	6, 0x0
	.amdhsa_kernel _ZN2at6native12_GLOBAL__N_135CatArrayBatchedCopy_alignedK_contigINS1_10OpaqueTypeILj2EEEjLi4ELi64ELi64ELi16EEEvPT_NS1_25CatArrInputTensorMetadataIS5_T0_XT2_EXT3_EEENS1_16TensorSizeStrideIS8_Lj4EEEiS8_
		.amdhsa_group_segment_fixed_size 0
		.amdhsa_private_segment_fixed_size 0
		.amdhsa_kernarg_size 3696
		.amdhsa_user_sgpr_count 6
		.amdhsa_user_sgpr_private_segment_buffer 1
		.amdhsa_user_sgpr_dispatch_ptr 0
		.amdhsa_user_sgpr_queue_ptr 0
		.amdhsa_user_sgpr_kernarg_segment_ptr 1
		.amdhsa_user_sgpr_dispatch_id 0
		.amdhsa_user_sgpr_flat_scratch_init 0
		.amdhsa_user_sgpr_private_segment_size 0
		.amdhsa_wavefront_size32 1
		.amdhsa_uses_dynamic_stack 0
		.amdhsa_system_sgpr_private_segment_wavefront_offset 0
		.amdhsa_system_sgpr_workgroup_id_x 1
		.amdhsa_system_sgpr_workgroup_id_y 1
		.amdhsa_system_sgpr_workgroup_id_z 0
		.amdhsa_system_sgpr_workgroup_info 0
		.amdhsa_system_vgpr_workitem_id 0
		.amdhsa_next_free_vgpr 36
		.amdhsa_next_free_sgpr 25
		.amdhsa_reserve_vcc 1
		.amdhsa_reserve_flat_scratch 0
		.amdhsa_float_round_mode_32 0
		.amdhsa_float_round_mode_16_64 0
		.amdhsa_float_denorm_mode_32 3
		.amdhsa_float_denorm_mode_16_64 3
		.amdhsa_dx10_clamp 1
		.amdhsa_ieee_mode 1
		.amdhsa_fp16_overflow 0
		.amdhsa_workgroup_processor_mode 1
		.amdhsa_memory_ordered 1
		.amdhsa_forward_progress 1
		.amdhsa_shared_vgpr_count 0
		.amdhsa_exception_fp_ieee_invalid_op 0
		.amdhsa_exception_fp_denorm_src 0
		.amdhsa_exception_fp_ieee_div_zero 0
		.amdhsa_exception_fp_ieee_overflow 0
		.amdhsa_exception_fp_ieee_underflow 0
		.amdhsa_exception_fp_ieee_inexact 0
		.amdhsa_exception_int_div_zero 0
	.end_amdhsa_kernel
	.section	.text._ZN2at6native12_GLOBAL__N_135CatArrayBatchedCopy_alignedK_contigINS1_10OpaqueTypeILj2EEEjLi4ELi64ELi64ELi16EEEvPT_NS1_25CatArrInputTensorMetadataIS5_T0_XT2_EXT3_EEENS1_16TensorSizeStrideIS8_Lj4EEEiS8_,"axG",@progbits,_ZN2at6native12_GLOBAL__N_135CatArrayBatchedCopy_alignedK_contigINS1_10OpaqueTypeILj2EEEjLi4ELi64ELi64ELi16EEEvPT_NS1_25CatArrInputTensorMetadataIS5_T0_XT2_EXT3_EEENS1_16TensorSizeStrideIS8_Lj4EEEiS8_,comdat
.Lfunc_end136:
	.size	_ZN2at6native12_GLOBAL__N_135CatArrayBatchedCopy_alignedK_contigINS1_10OpaqueTypeILj2EEEjLi4ELi64ELi64ELi16EEEvPT_NS1_25CatArrInputTensorMetadataIS5_T0_XT2_EXT3_EEENS1_16TensorSizeStrideIS8_Lj4EEEiS8_, .Lfunc_end136-_ZN2at6native12_GLOBAL__N_135CatArrayBatchedCopy_alignedK_contigINS1_10OpaqueTypeILj2EEEjLi4ELi64ELi64ELi16EEEvPT_NS1_25CatArrInputTensorMetadataIS5_T0_XT2_EXT3_EEENS1_16TensorSizeStrideIS8_Lj4EEEiS8_
                                        ; -- End function
	.set _ZN2at6native12_GLOBAL__N_135CatArrayBatchedCopy_alignedK_contigINS1_10OpaqueTypeILj2EEEjLi4ELi64ELi64ELi16EEEvPT_NS1_25CatArrInputTensorMetadataIS5_T0_XT2_EXT3_EEENS1_16TensorSizeStrideIS8_Lj4EEEiS8_.num_vgpr, 36
	.set _ZN2at6native12_GLOBAL__N_135CatArrayBatchedCopy_alignedK_contigINS1_10OpaqueTypeILj2EEEjLi4ELi64ELi64ELi16EEEvPT_NS1_25CatArrInputTensorMetadataIS5_T0_XT2_EXT3_EEENS1_16TensorSizeStrideIS8_Lj4EEEiS8_.num_agpr, 0
	.set _ZN2at6native12_GLOBAL__N_135CatArrayBatchedCopy_alignedK_contigINS1_10OpaqueTypeILj2EEEjLi4ELi64ELi64ELi16EEEvPT_NS1_25CatArrInputTensorMetadataIS5_T0_XT2_EXT3_EEENS1_16TensorSizeStrideIS8_Lj4EEEiS8_.numbered_sgpr, 25
	.set _ZN2at6native12_GLOBAL__N_135CatArrayBatchedCopy_alignedK_contigINS1_10OpaqueTypeILj2EEEjLi4ELi64ELi64ELi16EEEvPT_NS1_25CatArrInputTensorMetadataIS5_T0_XT2_EXT3_EEENS1_16TensorSizeStrideIS8_Lj4EEEiS8_.num_named_barrier, 0
	.set _ZN2at6native12_GLOBAL__N_135CatArrayBatchedCopy_alignedK_contigINS1_10OpaqueTypeILj2EEEjLi4ELi64ELi64ELi16EEEvPT_NS1_25CatArrInputTensorMetadataIS5_T0_XT2_EXT3_EEENS1_16TensorSizeStrideIS8_Lj4EEEiS8_.private_seg_size, 0
	.set _ZN2at6native12_GLOBAL__N_135CatArrayBatchedCopy_alignedK_contigINS1_10OpaqueTypeILj2EEEjLi4ELi64ELi64ELi16EEEvPT_NS1_25CatArrInputTensorMetadataIS5_T0_XT2_EXT3_EEENS1_16TensorSizeStrideIS8_Lj4EEEiS8_.uses_vcc, 1
	.set _ZN2at6native12_GLOBAL__N_135CatArrayBatchedCopy_alignedK_contigINS1_10OpaqueTypeILj2EEEjLi4ELi64ELi64ELi16EEEvPT_NS1_25CatArrInputTensorMetadataIS5_T0_XT2_EXT3_EEENS1_16TensorSizeStrideIS8_Lj4EEEiS8_.uses_flat_scratch, 0
	.set _ZN2at6native12_GLOBAL__N_135CatArrayBatchedCopy_alignedK_contigINS1_10OpaqueTypeILj2EEEjLi4ELi64ELi64ELi16EEEvPT_NS1_25CatArrInputTensorMetadataIS5_T0_XT2_EXT3_EEENS1_16TensorSizeStrideIS8_Lj4EEEiS8_.has_dyn_sized_stack, 0
	.set _ZN2at6native12_GLOBAL__N_135CatArrayBatchedCopy_alignedK_contigINS1_10OpaqueTypeILj2EEEjLi4ELi64ELi64ELi16EEEvPT_NS1_25CatArrInputTensorMetadataIS5_T0_XT2_EXT3_EEENS1_16TensorSizeStrideIS8_Lj4EEEiS8_.has_recursion, 0
	.set _ZN2at6native12_GLOBAL__N_135CatArrayBatchedCopy_alignedK_contigINS1_10OpaqueTypeILj2EEEjLi4ELi64ELi64ELi16EEEvPT_NS1_25CatArrInputTensorMetadataIS5_T0_XT2_EXT3_EEENS1_16TensorSizeStrideIS8_Lj4EEEiS8_.has_indirect_call, 0
	.section	.AMDGPU.csdata,"",@progbits
; Kernel info:
; codeLenInByte = 2032
; TotalNumSgprs: 27
; NumVgprs: 36
; ScratchSize: 0
; MemoryBound: 0
; FloatMode: 240
; IeeeMode: 1
; LDSByteSize: 0 bytes/workgroup (compile time only)
; SGPRBlocks: 0
; VGPRBlocks: 4
; NumSGPRsForWavesPerEU: 27
; NumVGPRsForWavesPerEU: 36
; Occupancy: 16
; WaveLimiterHint : 1
; COMPUTE_PGM_RSRC2:SCRATCH_EN: 0
; COMPUTE_PGM_RSRC2:USER_SGPR: 6
; COMPUTE_PGM_RSRC2:TRAP_HANDLER: 0
; COMPUTE_PGM_RSRC2:TGID_X_EN: 1
; COMPUTE_PGM_RSRC2:TGID_Y_EN: 1
; COMPUTE_PGM_RSRC2:TGID_Z_EN: 0
; COMPUTE_PGM_RSRC2:TIDIG_COMP_CNT: 0
	.section	.text._ZN2at6native12_GLOBAL__N_135CatArrayBatchedCopy_alignedK_contigINS1_10OpaqueTypeILj2EEEjLi4ELi64ELi64ELi8EEEvPT_NS1_25CatArrInputTensorMetadataIS5_T0_XT2_EXT3_EEENS1_16TensorSizeStrideIS8_Lj4EEEiS8_,"axG",@progbits,_ZN2at6native12_GLOBAL__N_135CatArrayBatchedCopy_alignedK_contigINS1_10OpaqueTypeILj2EEEjLi4ELi64ELi64ELi8EEEvPT_NS1_25CatArrInputTensorMetadataIS5_T0_XT2_EXT3_EEENS1_16TensorSizeStrideIS8_Lj4EEEiS8_,comdat
	.globl	_ZN2at6native12_GLOBAL__N_135CatArrayBatchedCopy_alignedK_contigINS1_10OpaqueTypeILj2EEEjLi4ELi64ELi64ELi8EEEvPT_NS1_25CatArrInputTensorMetadataIS5_T0_XT2_EXT3_EEENS1_16TensorSizeStrideIS8_Lj4EEEiS8_ ; -- Begin function _ZN2at6native12_GLOBAL__N_135CatArrayBatchedCopy_alignedK_contigINS1_10OpaqueTypeILj2EEEjLi4ELi64ELi64ELi8EEEvPT_NS1_25CatArrInputTensorMetadataIS5_T0_XT2_EXT3_EEENS1_16TensorSizeStrideIS8_Lj4EEEiS8_
	.p2align	8
	.type	_ZN2at6native12_GLOBAL__N_135CatArrayBatchedCopy_alignedK_contigINS1_10OpaqueTypeILj2EEEjLi4ELi64ELi64ELi8EEEvPT_NS1_25CatArrInputTensorMetadataIS5_T0_XT2_EXT3_EEENS1_16TensorSizeStrideIS8_Lj4EEEiS8_,@function
_ZN2at6native12_GLOBAL__N_135CatArrayBatchedCopy_alignedK_contigINS1_10OpaqueTypeILj2EEEjLi4ELi64ELi64ELi8EEEvPT_NS1_25CatArrInputTensorMetadataIS5_T0_XT2_EXT3_EEENS1_16TensorSizeStrideIS8_Lj4EEEiS8_: ; @_ZN2at6native12_GLOBAL__N_135CatArrayBatchedCopy_alignedK_contigINS1_10OpaqueTypeILj2EEEjLi4ELi64ELi64ELi8EEEvPT_NS1_25CatArrInputTensorMetadataIS5_T0_XT2_EXT3_EEENS1_16TensorSizeStrideIS8_Lj4EEEiS8_
; %bb.0:
	s_mov_b32 s2, s7
	s_load_dword s7, s[4:5], 0xd7c
	s_mov_b32 s3, 0
	s_add_u32 s0, s4, 0xd70
	s_addc_u32 s1, s5, 0
	s_lshl_b64 s[2:3], s[2:3], 2
	s_waitcnt lgkmcnt(0)
	s_and_b32 s20, s7, 0xffff
	s_add_u32 s8, s4, s2
	s_addc_u32 s9, s5, s3
	s_mul_i32 s6, s6, s20
	s_load_dword s16, s[8:9], 0x408
	v_add_lshl_u32 v0, s6, v0, 2
	s_add_u32 s17, s8, 8
	s_addc_u32 s18, s9, 0
	s_mov_b32 s6, exec_lo
	s_waitcnt lgkmcnt(0)
	v_cmpx_gt_u32_e64 s16, v0
	s_cbranch_execz .LBB137_8
; %bb.1:
	s_add_u32 s22, s17, s2
	s_addc_u32 s23, s18, s3
	s_sub_u32 s2, 0, s2
	s_subb_u32 s3, 0, s3
	s_add_u32 s2, s22, s2
	s_addc_u32 s3, s23, s3
	s_clause 0x5
	s_load_dwordx2 s[6:7], s[4:5], 0x0
	s_load_dwordx8 s[8:15], s[4:5], 0xd4c
	s_load_dword s17, s[4:5], 0xd6c
	s_load_dword s19, s[2:3], 0x200
	s_load_dwordx2 s[4:5], s[22:23], 0x0
	s_load_dword s18, s[2:3], 0x300
	v_add_nc_u32_e32 v1, 4, v0
	s_waitcnt lgkmcnt(0)
	s_mul_i32 s17, s19, s17
	s_mov_b32 s19, exec_lo
	v_cmpx_ge_u32_e64 s16, v1
	s_cbranch_execz .LBB137_5
; %bb.2:
	s_load_dword s0, s[0:1], 0x0
	s_mov_b32 s25, 0
	s_waitcnt lgkmcnt(0)
	s_mul_i32 s0, s0, s20
	s_lshl_b32 s20, s0, 2
	s_cmp_eq_u32 s15, 3
	s_cselect_b32 s21, s18, s10
	s_cmp_eq_u32 s15, 2
	v_cvt_f32_u32_e32 v1, s21
	s_cselect_b32 s22, s18, s9
	s_cmp_eq_u32 s15, 1
	v_cvt_f32_u32_e32 v2, s22
	s_cselect_b32 s23, s18, s8
	v_rcp_iflag_f32_e32 v1, v1
	v_cvt_f32_u32_e32 v3, s23
	s_sub_i32 s24, 0, s21
	v_rcp_iflag_f32_e32 v2, v2
	s_sub_i32 s0, 0, s22
	s_sub_i32 s1, 0, s23
	v_rcp_iflag_f32_e32 v3, v3
	v_mul_f32_e32 v1, 0x4f7ffffe, v1
	v_mul_f32_e32 v2, 0x4f7ffffe, v2
	v_cvt_u32_f32_e32 v4, v1
	v_mul_f32_e32 v3, 0x4f7ffffe, v3
	v_cvt_u32_f32_e32 v5, v2
	v_mul_lo_u32 v1, s24, v4
	v_cvt_u32_f32_e32 v6, v3
	v_mul_lo_u32 v2, s0, v5
	v_mul_lo_u32 v3, s1, v6
	v_mul_hi_u32 v7, v4, v1
	v_mov_b32_e32 v1, 0
	v_mul_hi_u32 v8, v5, v2
	v_add_nc_u32_e32 v2, 3, v0
	v_mul_hi_u32 v9, v6, v3
	v_add_nc_u32_e32 v3, 2, v0
	v_add_nc_u32_e32 v4, v4, v7
	;; [unrolled: 1-line block ×5, first 2 shown]
.LBB137_3:                              ; =>This Inner Loop Header: Depth=1
	v_lshlrev_b64 v[8:9], 1, v[0:1]
	v_mul_hi_u32 v14, v4, v0
	v_mul_hi_u32 v22, v4, v7
	;; [unrolled: 1-line block ×4, first 2 shown]
	v_add_nc_u32_e32 v10, 1, v0
	v_add_co_u32 v8, vcc_lo, s4, v8
	v_add_co_ci_u32_e64 v9, null, s5, v9, vcc_lo
	v_add_nc_u32_e32 v11, 2, v0
	v_add_nc_u32_e32 v12, 3, v0
	v_mov_b32_e32 v13, v1
	global_load_dwordx2 v[8:9], v[8:9], off
	v_not_b32_e32 v25, v14
	v_mad_u64_u32 v[20:21], null, s24, v14, v[0:1]
	v_not_b32_e32 v26, v22
	v_mad_u64_u32 v[21:22], null, s24, v22, v[10:11]
	v_mad_u64_u32 v[22:23], null, s24, v18, v[11:12]
	;; [unrolled: 1-line block ×3, first 2 shown]
	v_mul_hi_u32 v29, v10, v4
	v_mad_u64_u32 v[24:25], null, s21, v25, v[0:1]
	v_add_nc_u32_e32 v32, 1, v14
	v_cmp_le_u32_e32 vcc_lo, s21, v20
	v_mul_hi_u32 v30, v11, v4
	v_not_b32_e32 v27, v18
	v_mul_hi_u32 v31, v12, v4
	v_not_b32_e32 v28, v16
	v_mad_u64_u32 v[25:26], null, s21, v26, v[10:11]
	v_add_nc_u32_e32 v16, 1, v29
	v_cndmask_b32_e32 v14, v14, v32, vcc_lo
	v_cmp_le_u32_e64 s2, s21, v21
	v_cndmask_b32_e32 v20, v20, v24, vcc_lo
	v_mad_u64_u32 v[26:27], null, s21, v27, v[11:12]
	v_mad_u64_u32 v[27:28], null, s21, v28, v[12:13]
	v_add_nc_u32_e32 v10, 1, v30
	v_cmp_le_u32_e64 s0, s21, v22
	v_add_nc_u32_e32 v18, 1, v31
	v_cmp_le_u32_e64 s1, s21, v23
	v_cndmask_b32_e64 v16, v29, v16, s2
	v_add_nc_u32_e32 v24, 1, v14
	v_cndmask_b32_e64 v21, v21, v25, s2
	v_cmp_le_u32_e32 vcc_lo, s21, v20
	v_cndmask_b32_e64 v10, v30, v10, s0
	v_cndmask_b32_e64 v22, v22, v26, s0
	;; [unrolled: 1-line block ×4, first 2 shown]
	v_add_nc_u32_e32 v25, 1, v16
	v_cndmask_b32_e32 v14, v14, v24, vcc_lo
	v_cmp_le_u32_e64 s1, s21, v21
	v_add_nc_u32_e32 v26, 1, v10
	v_cmp_le_u32_e32 vcc_lo, s21, v22
	v_add_nc_u32_e32 v27, 1, v18
	v_cmp_le_u32_e64 s0, s21, v23
	v_cndmask_b32_e64 v16, v16, v25, s1
	v_mul_hi_u32 v24, v14, v5
	v_cndmask_b32_e32 v23, v10, v26, vcc_lo
	v_mad_u64_u32 v[20:21], null, s24, v14, v[0:1]
	v_cndmask_b32_e64 v18, v18, v27, s0
	v_mul_hi_u32 v25, v16, v5
	v_mad_u64_u32 v[21:22], null, s24, v16, v[0:1]
	v_add_nc_u32_e32 v0, s20, v0
	v_mul_lo_u32 v27, v24, s22
	v_mad_u64_u32 v[10:11], null, s24, v23, v[11:12]
	v_mul_hi_u32 v22, v23, v5
	v_mad_u64_u32 v[11:12], null, s24, v18, v[12:13]
	v_add_nc_u32_e32 v12, 4, v0
	v_mul_lo_u32 v30, v25, s22
	v_mul_lo_u32 v29, v20, s14
	v_mad_u64_u32 v[20:21], null, s14, v21, s[14:15]
	v_cmp_lt_u32_e32 vcc_lo, s16, v12
	v_sub_nc_u32_e32 v12, v14, v27
	v_mul_lo_u32 v21, v22, s22
	v_mul_hi_u32 v26, v18, v5
	v_add_nc_u32_e32 v28, 1, v24
	v_sub_nc_u32_e32 v27, v16, v30
	v_cmp_le_u32_e64 s0, s22, v12
	v_add_nc_u32_e32 v31, 1, v25
	v_add_nc_u32_e32 v32, 1, v22
	v_mul_lo_u32 v11, v11, s14
	v_sub_nc_u32_e32 v21, v23, v21
	v_cndmask_b32_e64 v24, v24, v28, s0
	v_subrev_nc_u32_e32 v28, s22, v12
	v_cmp_le_u32_e64 s1, s22, v27
	v_mul_lo_u32 v33, v26, s22
	v_cmp_le_u32_e64 s2, s22, v21
	v_add_nc_u32_e32 v34, 1, v26
	v_cndmask_b32_e64 v12, v12, v28, s0
	v_cndmask_b32_e64 v25, v25, v31, s1
	v_subrev_nc_u32_e32 v31, s22, v27
	v_cndmask_b32_e64 v22, v22, v32, s2
	v_subrev_nc_u32_e32 v32, s22, v21
	v_sub_nc_u32_e32 v30, v18, v33
	v_add_nc_u32_e32 v28, 1, v24
	v_cndmask_b32_e64 v27, v27, v31, s1
	v_cmp_le_u32_e64 s0, s22, v12
	v_add_nc_u32_e32 v31, 1, v25
	v_cmp_le_u32_e64 s3, s22, v30
	v_subrev_nc_u32_e32 v33, s22, v30
	v_cndmask_b32_e64 v21, v21, v32, s2
	v_cndmask_b32_e64 v12, v24, v28, s0
	v_cmp_le_u32_e64 s0, s22, v27
	v_cndmask_b32_e64 v26, v26, v34, s3
	v_add_nc_u32_e32 v32, 1, v22
	v_cndmask_b32_e64 v30, v30, v33, s3
	v_mul_lo_u32 v10, v10, s14
	v_cndmask_b32_e64 v24, v25, v31, s0
	v_cmp_le_u32_e64 s0, s22, v21
	v_add_nc_u32_e32 v33, 1, v26
	v_mul_lo_u32 v25, v12, s22
	v_mov_b32_e32 v15, v1
	v_mul_lo_u32 v27, v24, s22
	v_cndmask_b32_e64 v21, v22, v32, s0
	v_cmp_le_u32_e64 s0, s22, v30
	v_mul_hi_u32 v28, v24, v6
	v_mov_b32_e32 v17, v1
	v_mov_b32_e32 v19, v1
	v_sub_nc_u32_e32 v14, v14, v25
	v_cndmask_b32_e64 v22, v26, v33, s0
	v_mul_hi_u32 v26, v12, v6
	v_mul_lo_u32 v30, v21, s22
	v_mul_hi_u32 v31, v21, v6
	v_sub_nc_u32_e32 v16, v16, v27
	v_mul_lo_u32 v27, v28, s23
	v_mul_lo_u32 v32, v22, s22
	v_mul_hi_u32 v33, v22, v6
	v_add_nc_u32_e32 v35, 1, v28
	v_mul_lo_u32 v25, v26, s23
	v_sub_nc_u32_e32 v23, v23, v30
	v_mul_lo_u32 v30, v31, s23
	v_add_nc_u32_e32 v34, 1, v26
	v_sub_nc_u32_e32 v27, v24, v27
	v_sub_nc_u32_e32 v18, v18, v32
	v_mul_lo_u32 v32, v33, s23
	v_add_nc_u32_e32 v36, 1, v31
	v_sub_nc_u32_e32 v25, v12, v25
	v_cmp_le_u32_e64 s1, s23, v27
	v_sub_nc_u32_e32 v30, v21, v30
	v_add_nc_u32_e32 v37, 1, v33
	v_mul_lo_u32 v16, v16, s13
	v_cmp_le_u32_e64 s0, s23, v25
	v_sub_nc_u32_e32 v32, v22, v32
	v_cndmask_b32_e64 v28, v28, v35, s1
	v_subrev_nc_u32_e32 v35, s23, v27
	v_cmp_le_u32_e64 s2, s23, v30
	v_cndmask_b32_e64 v26, v26, v34, s0
	v_subrev_nc_u32_e32 v34, s23, v25
	v_cmp_le_u32_e64 s3, s23, v32
	v_cndmask_b32_e64 v27, v27, v35, s1
	v_cndmask_b32_e64 v31, v31, v36, s2
	v_subrev_nc_u32_e32 v36, s23, v30
	v_cndmask_b32_e64 v25, v25, v34, s0
	v_add_nc_u32_e32 v34, 1, v26
	v_cndmask_b32_e64 v33, v33, v37, s3
	v_subrev_nc_u32_e32 v37, s23, v32
	v_add_nc_u32_e32 v35, 1, v28
	v_cmp_le_u32_e64 s0, s23, v25
	v_cndmask_b32_e64 v30, v30, v36, s2
	v_add_nc_u32_e32 v36, 1, v31
	v_cndmask_b32_e64 v32, v32, v37, s3
	v_add_nc_u32_e32 v37, 1, v33
	v_cndmask_b32_e64 v25, v26, v34, s0
	v_cmp_le_u32_e64 s0, s23, v27
	v_mul_lo_u32 v18, v18, s13
	v_mul_lo_u32 v14, v14, s13
	;; [unrolled: 1-line block ×3, first 2 shown]
	v_add_nc_u32_e32 v2, s20, v2
	v_cndmask_b32_e64 v26, v28, v35, s0
	v_cmp_le_u32_e64 s0, s23, v30
	v_mul_lo_u32 v30, v25, s23
	v_mul_lo_u32 v25, v25, s11
	v_add_nc_u32_e32 v3, s20, v3
	v_add_nc_u32_e32 v7, s20, v7
	v_cndmask_b32_e64 v27, v31, v36, s0
	v_cmp_le_u32_e64 s0, s23, v32
	v_mul_lo_u32 v31, v26, s23
	v_mul_lo_u32 v26, v26, s11
	v_sub_nc_u32_e32 v12, v12, v30
	v_mul_lo_u32 v32, v27, s23
	v_cndmask_b32_e64 v28, v33, v37, s0
	v_mul_lo_u32 v27, v27, s11
	v_add3_u32 v14, v25, v29, v14
	v_mul_lo_u32 v12, v12, s12
	v_sub_nc_u32_e32 v24, v24, v31
	v_mul_lo_u32 v33, v28, s23
	v_mul_lo_u32 v28, v28, s11
	v_add3_u32 v16, v26, v20, v16
	v_sub_nc_u32_e32 v20, v21, v32
	v_add3_u32 v10, v27, v10, v23
	s_or_b32 s25, vcc_lo, s25
	v_add3_u32 v12, v14, v12, s17
	v_sub_nc_u32_e32 v21, v22, v33
	v_add3_u32 v11, v28, v11, v18
	v_mul_lo_u32 v18, v24, s12
	v_mul_lo_u32 v20, v20, s12
	;; [unrolled: 1-line block ×3, first 2 shown]
	v_add3_u32 v14, v16, v18, s17
	v_add3_u32 v16, v10, v20, s17
	v_add3_u32 v18, v11, v21, s17
	v_lshlrev_b64 v[10:11], 1, v[12:13]
	v_lshlrev_b64 v[12:13], 1, v[14:15]
	;; [unrolled: 1-line block ×4, first 2 shown]
	v_add_co_u32 v10, s0, s6, v10
	v_add_co_ci_u32_e64 v11, null, s7, v11, s0
	v_add_co_u32 v12, s0, s6, v12
	v_add_co_ci_u32_e64 v13, null, s7, v13, s0
	;; [unrolled: 2-line block ×4, first 2 shown]
	s_waitcnt vmcnt(0)
	global_store_short v[10:11], v8, off
	global_store_short_d16_hi v[12:13], v8, off
	global_store_short v[14:15], v9, off
	global_store_short_d16_hi v[16:17], v9, off
	s_andn2_b32 exec_lo, exec_lo, s25
	s_cbranch_execnz .LBB137_3
; %bb.4:
	s_or_b32 exec_lo, exec_lo, s25
.LBB137_5:
	s_or_b32 exec_lo, exec_lo, s19
	v_cmp_gt_u32_e32 vcc_lo, s16, v0
	s_and_b32 exec_lo, exec_lo, vcc_lo
	s_cbranch_execz .LBB137_8
; %bb.6:
	s_cmp_eq_u32 s15, 3
	s_cselect_b32 s2, s18, s10
	s_cmp_eq_u32 s15, 2
	v_cvt_f32_u32_e32 v1, s2
	s_cselect_b32 s3, s18, s9
	s_cmp_eq_u32 s15, 1
	v_cvt_f32_u32_e32 v2, s3
	s_cselect_b32 s8, s18, s8
	v_rcp_iflag_f32_e32 v1, v1
	v_cvt_f32_u32_e32 v3, s8
	s_sub_i32 s9, 0, s2
	v_rcp_iflag_f32_e32 v2, v2
	s_sub_i32 s0, 0, s3
	s_sub_i32 s1, 0, s8
	v_rcp_iflag_f32_e32 v3, v3
	v_mul_f32_e32 v1, 0x4f7ffffe, v1
	v_mul_f32_e32 v2, 0x4f7ffffe, v2
	v_cvt_u32_f32_e32 v4, v1
	v_mul_f32_e32 v3, 0x4f7ffffe, v3
	v_cvt_u32_f32_e32 v8, v2
	v_mov_b32_e32 v2, 0
	v_mul_lo_u32 v1, s9, v4
	v_cvt_u32_f32_e32 v3, v3
	v_mul_lo_u32 v5, s0, v8
	v_mul_lo_u32 v6, s1, v3
	v_mul_hi_u32 v7, v4, v1
	v_mov_b32_e32 v1, v2
	v_mul_hi_u32 v9, v8, v5
	v_mul_hi_u32 v10, v3, v6
	v_lshlrev_b64 v[5:6], 1, v[0:1]
	v_add_nc_u32_e32 v7, v4, v7
	v_add_nc_u32_e32 v8, v8, v9
	v_add_co_u32 v5, vcc_lo, s4, v5
	v_add_nc_u32_e32 v9, v3, v10
	v_mad_u64_u32 v[3:4], null, v0, v7, 0
	v_add_co_ci_u32_e64 v6, null, s5, v6, vcc_lo
	s_mov_b32 s4, 0
.LBB137_7:                              ; =>This Inner Loop Header: Depth=1
	global_load_ushort v12, v[5:6], off
	v_mul_lo_u32 v1, s2, v4
	v_not_b32_e32 v10, v4
	v_add_nc_u32_e32 v13, 1, v4
	v_add_co_u32 v3, vcc_lo, v3, v7
	v_mad_u64_u32 v[10:11], null, s2, v10, v[0:1]
	v_sub_nc_u32_e32 v1, v0, v1
	v_cmp_le_u32_e64 s0, s2, v1
	v_cndmask_b32_e64 v11, v4, v13, s0
	v_cndmask_b32_e64 v1, v1, v10, s0
	v_add_co_ci_u32_e64 v4, null, 0, v4, vcc_lo
	v_add_nc_u32_e32 v10, 1, v11
	v_cmp_le_u32_e64 s0, s2, v1
	v_cndmask_b32_e64 v1, v11, v10, s0
	v_mul_hi_u32 v10, v1, v8
	v_mul_lo_u32 v11, v10, s3
	v_add_nc_u32_e32 v13, 1, v10
	v_sub_nc_u32_e32 v11, v1, v11
	v_subrev_nc_u32_e32 v14, s3, v11
	v_cmp_le_u32_e64 s0, s3, v11
	v_cndmask_b32_e64 v10, v10, v13, s0
	v_cndmask_b32_e64 v11, v11, v14, s0
	v_add_nc_u32_e32 v13, 1, v10
	v_cmp_le_u32_e64 s0, s3, v11
	v_cndmask_b32_e64 v13, v10, v13, s0
	v_mad_u64_u32 v[10:11], null, s9, v1, v[0:1]
	v_add_nc_u32_e32 v0, 1, v0
	v_mul_hi_u32 v14, v13, v9
	v_mul_lo_u32 v15, v13, s3
	v_mul_lo_u32 v10, v10, s14
	;; [unrolled: 1-line block ×3, first 2 shown]
	v_add_nc_u32_e32 v16, 1, v14
	v_sub_nc_u32_e32 v1, v1, v15
	v_mul_lo_u32 v1, v1, s13
	v_sub_nc_u32_e32 v11, v13, v11
	v_subrev_nc_u32_e32 v17, s8, v11
	v_cmp_le_u32_e64 s0, s8, v11
	v_cndmask_b32_e64 v14, v14, v16, s0
	v_cndmask_b32_e64 v11, v11, v17, s0
	v_add_nc_u32_e32 v16, 1, v14
	v_cmp_le_u32_e64 s0, s8, v11
	v_cndmask_b32_e64 v11, v14, v16, s0
	v_add_co_u32 v5, s0, v5, 2
	v_add_co_ci_u32_e64 v6, null, 0, v6, s0
	v_mul_lo_u32 v14, v11, s8
	v_mul_lo_u32 v11, v11, s11
	v_cmp_le_u32_e64 s0, s16, v0
	s_or_b32 s4, s0, s4
	v_sub_nc_u32_e32 v13, v13, v14
	v_add3_u32 v1, v11, v10, v1
	v_mul_lo_u32 v13, v13, s12
	v_add3_u32 v1, v1, v13, s17
	v_lshlrev_b64 v[10:11], 1, v[1:2]
	v_add_co_u32 v10, s1, s6, v10
	v_add_co_ci_u32_e64 v11, null, s7, v11, s1
	s_waitcnt vmcnt(0)
	global_store_short v[10:11], v12, off
	s_andn2_b32 exec_lo, exec_lo, s4
	s_cbranch_execnz .LBB137_7
.LBB137_8:
	s_endpgm
	.section	.rodata,"a",@progbits
	.p2align	6, 0x0
	.amdhsa_kernel _ZN2at6native12_GLOBAL__N_135CatArrayBatchedCopy_alignedK_contigINS1_10OpaqueTypeILj2EEEjLi4ELi64ELi64ELi8EEEvPT_NS1_25CatArrInputTensorMetadataIS5_T0_XT2_EXT3_EEENS1_16TensorSizeStrideIS8_Lj4EEEiS8_
		.amdhsa_group_segment_fixed_size 0
		.amdhsa_private_segment_fixed_size 0
		.amdhsa_kernarg_size 3696
		.amdhsa_user_sgpr_count 6
		.amdhsa_user_sgpr_private_segment_buffer 1
		.amdhsa_user_sgpr_dispatch_ptr 0
		.amdhsa_user_sgpr_queue_ptr 0
		.amdhsa_user_sgpr_kernarg_segment_ptr 1
		.amdhsa_user_sgpr_dispatch_id 0
		.amdhsa_user_sgpr_flat_scratch_init 0
		.amdhsa_user_sgpr_private_segment_size 0
		.amdhsa_wavefront_size32 1
		.amdhsa_uses_dynamic_stack 0
		.amdhsa_system_sgpr_private_segment_wavefront_offset 0
		.amdhsa_system_sgpr_workgroup_id_x 1
		.amdhsa_system_sgpr_workgroup_id_y 1
		.amdhsa_system_sgpr_workgroup_id_z 0
		.amdhsa_system_sgpr_workgroup_info 0
		.amdhsa_system_vgpr_workitem_id 0
		.amdhsa_next_free_vgpr 38
		.amdhsa_next_free_sgpr 26
		.amdhsa_reserve_vcc 1
		.amdhsa_reserve_flat_scratch 0
		.amdhsa_float_round_mode_32 0
		.amdhsa_float_round_mode_16_64 0
		.amdhsa_float_denorm_mode_32 3
		.amdhsa_float_denorm_mode_16_64 3
		.amdhsa_dx10_clamp 1
		.amdhsa_ieee_mode 1
		.amdhsa_fp16_overflow 0
		.amdhsa_workgroup_processor_mode 1
		.amdhsa_memory_ordered 1
		.amdhsa_forward_progress 1
		.amdhsa_shared_vgpr_count 0
		.amdhsa_exception_fp_ieee_invalid_op 0
		.amdhsa_exception_fp_denorm_src 0
		.amdhsa_exception_fp_ieee_div_zero 0
		.amdhsa_exception_fp_ieee_overflow 0
		.amdhsa_exception_fp_ieee_underflow 0
		.amdhsa_exception_fp_ieee_inexact 0
		.amdhsa_exception_int_div_zero 0
	.end_amdhsa_kernel
	.section	.text._ZN2at6native12_GLOBAL__N_135CatArrayBatchedCopy_alignedK_contigINS1_10OpaqueTypeILj2EEEjLi4ELi64ELi64ELi8EEEvPT_NS1_25CatArrInputTensorMetadataIS5_T0_XT2_EXT3_EEENS1_16TensorSizeStrideIS8_Lj4EEEiS8_,"axG",@progbits,_ZN2at6native12_GLOBAL__N_135CatArrayBatchedCopy_alignedK_contigINS1_10OpaqueTypeILj2EEEjLi4ELi64ELi64ELi8EEEvPT_NS1_25CatArrInputTensorMetadataIS5_T0_XT2_EXT3_EEENS1_16TensorSizeStrideIS8_Lj4EEEiS8_,comdat
.Lfunc_end137:
	.size	_ZN2at6native12_GLOBAL__N_135CatArrayBatchedCopy_alignedK_contigINS1_10OpaqueTypeILj2EEEjLi4ELi64ELi64ELi8EEEvPT_NS1_25CatArrInputTensorMetadataIS5_T0_XT2_EXT3_EEENS1_16TensorSizeStrideIS8_Lj4EEEiS8_, .Lfunc_end137-_ZN2at6native12_GLOBAL__N_135CatArrayBatchedCopy_alignedK_contigINS1_10OpaqueTypeILj2EEEjLi4ELi64ELi64ELi8EEEvPT_NS1_25CatArrInputTensorMetadataIS5_T0_XT2_EXT3_EEENS1_16TensorSizeStrideIS8_Lj4EEEiS8_
                                        ; -- End function
	.set _ZN2at6native12_GLOBAL__N_135CatArrayBatchedCopy_alignedK_contigINS1_10OpaqueTypeILj2EEEjLi4ELi64ELi64ELi8EEEvPT_NS1_25CatArrInputTensorMetadataIS5_T0_XT2_EXT3_EEENS1_16TensorSizeStrideIS8_Lj4EEEiS8_.num_vgpr, 38
	.set _ZN2at6native12_GLOBAL__N_135CatArrayBatchedCopy_alignedK_contigINS1_10OpaqueTypeILj2EEEjLi4ELi64ELi64ELi8EEEvPT_NS1_25CatArrInputTensorMetadataIS5_T0_XT2_EXT3_EEENS1_16TensorSizeStrideIS8_Lj4EEEiS8_.num_agpr, 0
	.set _ZN2at6native12_GLOBAL__N_135CatArrayBatchedCopy_alignedK_contigINS1_10OpaqueTypeILj2EEEjLi4ELi64ELi64ELi8EEEvPT_NS1_25CatArrInputTensorMetadataIS5_T0_XT2_EXT3_EEENS1_16TensorSizeStrideIS8_Lj4EEEiS8_.numbered_sgpr, 26
	.set _ZN2at6native12_GLOBAL__N_135CatArrayBatchedCopy_alignedK_contigINS1_10OpaqueTypeILj2EEEjLi4ELi64ELi64ELi8EEEvPT_NS1_25CatArrInputTensorMetadataIS5_T0_XT2_EXT3_EEENS1_16TensorSizeStrideIS8_Lj4EEEiS8_.num_named_barrier, 0
	.set _ZN2at6native12_GLOBAL__N_135CatArrayBatchedCopy_alignedK_contigINS1_10OpaqueTypeILj2EEEjLi4ELi64ELi64ELi8EEEvPT_NS1_25CatArrInputTensorMetadataIS5_T0_XT2_EXT3_EEENS1_16TensorSizeStrideIS8_Lj4EEEiS8_.private_seg_size, 0
	.set _ZN2at6native12_GLOBAL__N_135CatArrayBatchedCopy_alignedK_contigINS1_10OpaqueTypeILj2EEEjLi4ELi64ELi64ELi8EEEvPT_NS1_25CatArrInputTensorMetadataIS5_T0_XT2_EXT3_EEENS1_16TensorSizeStrideIS8_Lj4EEEiS8_.uses_vcc, 1
	.set _ZN2at6native12_GLOBAL__N_135CatArrayBatchedCopy_alignedK_contigINS1_10OpaqueTypeILj2EEEjLi4ELi64ELi64ELi8EEEvPT_NS1_25CatArrInputTensorMetadataIS5_T0_XT2_EXT3_EEENS1_16TensorSizeStrideIS8_Lj4EEEiS8_.uses_flat_scratch, 0
	.set _ZN2at6native12_GLOBAL__N_135CatArrayBatchedCopy_alignedK_contigINS1_10OpaqueTypeILj2EEEjLi4ELi64ELi64ELi8EEEvPT_NS1_25CatArrInputTensorMetadataIS5_T0_XT2_EXT3_EEENS1_16TensorSizeStrideIS8_Lj4EEEiS8_.has_dyn_sized_stack, 0
	.set _ZN2at6native12_GLOBAL__N_135CatArrayBatchedCopy_alignedK_contigINS1_10OpaqueTypeILj2EEEjLi4ELi64ELi64ELi8EEEvPT_NS1_25CatArrInputTensorMetadataIS5_T0_XT2_EXT3_EEENS1_16TensorSizeStrideIS8_Lj4EEEiS8_.has_recursion, 0
	.set _ZN2at6native12_GLOBAL__N_135CatArrayBatchedCopy_alignedK_contigINS1_10OpaqueTypeILj2EEEjLi4ELi64ELi64ELi8EEEvPT_NS1_25CatArrInputTensorMetadataIS5_T0_XT2_EXT3_EEENS1_16TensorSizeStrideIS8_Lj4EEEiS8_.has_indirect_call, 0
	.section	.AMDGPU.csdata,"",@progbits
; Kernel info:
; codeLenInByte = 2444
; TotalNumSgprs: 28
; NumVgprs: 38
; ScratchSize: 0
; MemoryBound: 0
; FloatMode: 240
; IeeeMode: 1
; LDSByteSize: 0 bytes/workgroup (compile time only)
; SGPRBlocks: 0
; VGPRBlocks: 4
; NumSGPRsForWavesPerEU: 28
; NumVGPRsForWavesPerEU: 38
; Occupancy: 16
; WaveLimiterHint : 1
; COMPUTE_PGM_RSRC2:SCRATCH_EN: 0
; COMPUTE_PGM_RSRC2:USER_SGPR: 6
; COMPUTE_PGM_RSRC2:TRAP_HANDLER: 0
; COMPUTE_PGM_RSRC2:TGID_X_EN: 1
; COMPUTE_PGM_RSRC2:TGID_Y_EN: 1
; COMPUTE_PGM_RSRC2:TGID_Z_EN: 0
; COMPUTE_PGM_RSRC2:TIDIG_COMP_CNT: 0
	.section	.text._ZN2at6native12_GLOBAL__N_126CatArrayBatchedCopy_contigINS1_10OpaqueTypeILj2EEEjLi4ELi64ELi64EEEvPT_NS1_25CatArrInputTensorMetadataIS5_T0_XT2_EXT3_EEENS1_16TensorSizeStrideIS8_Lj4EEEiS8_,"axG",@progbits,_ZN2at6native12_GLOBAL__N_126CatArrayBatchedCopy_contigINS1_10OpaqueTypeILj2EEEjLi4ELi64ELi64EEEvPT_NS1_25CatArrInputTensorMetadataIS5_T0_XT2_EXT3_EEENS1_16TensorSizeStrideIS8_Lj4EEEiS8_,comdat
	.globl	_ZN2at6native12_GLOBAL__N_126CatArrayBatchedCopy_contigINS1_10OpaqueTypeILj2EEEjLi4ELi64ELi64EEEvPT_NS1_25CatArrInputTensorMetadataIS5_T0_XT2_EXT3_EEENS1_16TensorSizeStrideIS8_Lj4EEEiS8_ ; -- Begin function _ZN2at6native12_GLOBAL__N_126CatArrayBatchedCopy_contigINS1_10OpaqueTypeILj2EEEjLi4ELi64ELi64EEEvPT_NS1_25CatArrInputTensorMetadataIS5_T0_XT2_EXT3_EEENS1_16TensorSizeStrideIS8_Lj4EEEiS8_
	.p2align	8
	.type	_ZN2at6native12_GLOBAL__N_126CatArrayBatchedCopy_contigINS1_10OpaqueTypeILj2EEEjLi4ELi64ELi64EEEvPT_NS1_25CatArrInputTensorMetadataIS5_T0_XT2_EXT3_EEENS1_16TensorSizeStrideIS8_Lj4EEEiS8_,@function
_ZN2at6native12_GLOBAL__N_126CatArrayBatchedCopy_contigINS1_10OpaqueTypeILj2EEEjLi4ELi64ELi64EEEvPT_NS1_25CatArrInputTensorMetadataIS5_T0_XT2_EXT3_EEENS1_16TensorSizeStrideIS8_Lj4EEEiS8_: ; @_ZN2at6native12_GLOBAL__N_126CatArrayBatchedCopy_contigINS1_10OpaqueTypeILj2EEEjLi4ELi64ELi64EEEvPT_NS1_25CatArrInputTensorMetadataIS5_T0_XT2_EXT3_EEENS1_16TensorSizeStrideIS8_Lj4EEEiS8_
; %bb.0:
	s_mov_b32 s0, s7
	s_load_dword s7, s[4:5], 0xd7c
	s_mov_b32 s1, 0
	s_add_u32 s8, s4, 0xd70
	s_addc_u32 s9, s5, 0
	s_lshl_b64 s[2:3], s[0:1], 2
	s_mov_b32 s11, exec_lo
	s_waitcnt lgkmcnt(0)
	s_and_b32 s0, s7, 0xffff
	s_add_u32 s12, s4, s2
	s_addc_u32 s13, s5, s3
	v_mad_u64_u32 v[0:1], null, s6, s0, v[0:1]
	s_load_dword s10, s[12:13], 0x408
	s_add_u32 s6, s12, 8
	s_addc_u32 s7, s13, 0
	s_waitcnt lgkmcnt(0)
	v_cmpx_gt_u32_e64 s10, v0
	s_cbranch_execz .LBB138_3
; %bb.1:
	s_add_u32 s20, s6, s2
	s_addc_u32 s21, s7, s3
	s_sub_u32 s2, 0, s2
	s_subb_u32 s3, 0, s3
	s_load_dwordx2 s[14:15], s[4:5], 0xd68
	s_add_u32 s22, s20, s2
	s_addc_u32 s23, s21, s3
	s_clause 0x1
	s_load_dwordx4 s[16:19], s[4:5], 0xd4c
	s_load_dword s2, s[22:23], 0x300
	s_waitcnt lgkmcnt(0)
	s_cmp_eq_u32 s14, 3
	s_cselect_b32 s11, s2, s18
	s_cmp_eq_u32 s14, 2
	v_cvt_f32_u32_e32 v1, s11
	s_cselect_b32 s12, s2, s17
	s_cmp_eq_u32 s14, 1
	v_cvt_f32_u32_e32 v2, s12
	s_cselect_b32 s13, s2, s16
	v_rcp_iflag_f32_e32 v1, v1
	v_cvt_f32_u32_e32 v3, s13
	s_load_dwordx2 s[2:3], s[4:5], 0x0
	v_rcp_iflag_f32_e32 v2, v2
	s_clause 0x1
	s_load_dwordx4 s[4:7], s[4:5], 0xd58
	s_load_dword s16, s[22:23], 0x200
	s_load_dword s17, s[8:9], 0x0
	v_rcp_iflag_f32_e32 v3, v3
	s_sub_i32 s14, 0, s11
	s_sub_i32 s8, 0, s12
	;; [unrolled: 1-line block ×3, first 2 shown]
	v_mul_f32_e32 v1, 0x4f7ffffe, v1
	v_mul_f32_e32 v2, 0x4f7ffffe, v2
	v_cvt_u32_f32_e32 v1, v1
	v_mul_f32_e32 v3, 0x4f7ffffe, v3
	v_cvt_u32_f32_e32 v4, v2
	v_mul_lo_u32 v2, s14, v1
	v_cvt_u32_f32_e32 v5, v3
	v_mul_lo_u32 v3, s8, v4
	s_waitcnt lgkmcnt(0)
	s_mul_i32 s15, s16, s15
	s_mul_i32 s16, s17, s0
	v_mul_lo_u32 v6, s9, v5
	s_load_dwordx2 s[8:9], s[20:21], 0x0
	v_mul_hi_u32 v2, v1, v2
	v_mul_hi_u32 v3, v4, v3
	;; [unrolled: 1-line block ×3, first 2 shown]
	v_add_nc_u32_e32 v2, v1, v2
	v_mov_b32_e32 v1, 0
	v_add_nc_u32_e32 v3, v4, v3
	v_add_nc_u32_e32 v4, v5, v6
.LBB138_2:                              ; =>This Inner Loop Header: Depth=1
	v_lshlrev_b64 v[5:6], 1, v[0:1]
	v_mul_hi_u32 v8, v2, v0
	s_waitcnt lgkmcnt(0)
	v_add_co_u32 v5, vcc_lo, s8, v5
	v_add_co_ci_u32_e64 v6, null, s9, v6, vcc_lo
	v_mul_lo_u32 v9, s11, v8
	v_add_nc_u32_e32 v10, 1, v8
	global_load_ushort v7, v[5:6], off
	v_not_b32_e32 v5, v8
	v_mad_u64_u32 v[5:6], null, s11, v5, v[0:1]
	v_sub_nc_u32_e32 v6, v0, v9
	v_cmp_le_u32_e32 vcc_lo, s11, v6
	v_cndmask_b32_e32 v8, v8, v10, vcc_lo
	v_cndmask_b32_e32 v5, v6, v5, vcc_lo
	v_add_nc_u32_e32 v6, 1, v8
	v_cmp_le_u32_e32 vcc_lo, s11, v5
	v_cndmask_b32_e32 v8, v8, v6, vcc_lo
	v_mul_hi_u32 v5, v8, v3
	v_mul_lo_u32 v6, v5, s12
	v_add_nc_u32_e32 v9, 1, v5
	v_sub_nc_u32_e32 v6, v8, v6
	v_subrev_nc_u32_e32 v10, s12, v6
	v_cmp_le_u32_e32 vcc_lo, s12, v6
	v_cndmask_b32_e32 v5, v5, v9, vcc_lo
	v_cndmask_b32_e32 v6, v6, v10, vcc_lo
	v_add_nc_u32_e32 v9, 1, v5
	v_cmp_le_u32_e32 vcc_lo, s12, v6
	v_cndmask_b32_e32 v9, v5, v9, vcc_lo
	v_mul_hi_u32 v5, v9, v4
	v_mul_lo_u32 v6, v5, s13
	v_add_nc_u32_e32 v10, 1, v5
	v_sub_nc_u32_e32 v6, v9, v6
	v_subrev_nc_u32_e32 v11, s13, v6
	v_cmp_le_u32_e32 vcc_lo, s13, v6
	v_cndmask_b32_e32 v10, v5, v10, vcc_lo
	v_cndmask_b32_e32 v11, v6, v11, vcc_lo
	v_mad_u64_u32 v[5:6], null, s14, v8, v[0:1]
	v_add_nc_u32_e32 v0, s16, v0
	v_add_nc_u32_e32 v12, 1, v10
	v_cmp_le_u32_e32 vcc_lo, s13, v11
	v_mul_lo_u32 v5, v5, s7
	v_cndmask_b32_e32 v6, v10, v12, vcc_lo
	v_mul_lo_u32 v10, v9, s12
	v_cmp_le_u32_e32 vcc_lo, s10, v0
	v_mul_lo_u32 v11, v6, s13
	v_mul_lo_u32 v6, v6, s4
	s_or_b32 s1, vcc_lo, s1
	v_sub_nc_u32_e32 v8, v8, v10
	v_sub_nc_u32_e32 v9, v9, v11
	v_mul_lo_u32 v8, v8, s6
	v_add3_u32 v5, v5, s15, v6
	v_mov_b32_e32 v6, v1
	v_mul_lo_u32 v9, v9, s5
	v_add3_u32 v5, v5, v8, v9
	v_lshlrev_b64 v[5:6], 1, v[5:6]
	v_add_co_u32 v5, s0, s2, v5
	v_add_co_ci_u32_e64 v6, null, s3, v6, s0
	s_waitcnt vmcnt(0)
	global_store_short v[5:6], v7, off
	s_andn2_b32 exec_lo, exec_lo, s1
	s_cbranch_execnz .LBB138_2
.LBB138_3:
	s_endpgm
	.section	.rodata,"a",@progbits
	.p2align	6, 0x0
	.amdhsa_kernel _ZN2at6native12_GLOBAL__N_126CatArrayBatchedCopy_contigINS1_10OpaqueTypeILj2EEEjLi4ELi64ELi64EEEvPT_NS1_25CatArrInputTensorMetadataIS5_T0_XT2_EXT3_EEENS1_16TensorSizeStrideIS8_Lj4EEEiS8_
		.amdhsa_group_segment_fixed_size 0
		.amdhsa_private_segment_fixed_size 0
		.amdhsa_kernarg_size 3696
		.amdhsa_user_sgpr_count 6
		.amdhsa_user_sgpr_private_segment_buffer 1
		.amdhsa_user_sgpr_dispatch_ptr 0
		.amdhsa_user_sgpr_queue_ptr 0
		.amdhsa_user_sgpr_kernarg_segment_ptr 1
		.amdhsa_user_sgpr_dispatch_id 0
		.amdhsa_user_sgpr_flat_scratch_init 0
		.amdhsa_user_sgpr_private_segment_size 0
		.amdhsa_wavefront_size32 1
		.amdhsa_uses_dynamic_stack 0
		.amdhsa_system_sgpr_private_segment_wavefront_offset 0
		.amdhsa_system_sgpr_workgroup_id_x 1
		.amdhsa_system_sgpr_workgroup_id_y 1
		.amdhsa_system_sgpr_workgroup_id_z 0
		.amdhsa_system_sgpr_workgroup_info 0
		.amdhsa_system_vgpr_workitem_id 0
		.amdhsa_next_free_vgpr 13
		.amdhsa_next_free_sgpr 24
		.amdhsa_reserve_vcc 1
		.amdhsa_reserve_flat_scratch 0
		.amdhsa_float_round_mode_32 0
		.amdhsa_float_round_mode_16_64 0
		.amdhsa_float_denorm_mode_32 3
		.amdhsa_float_denorm_mode_16_64 3
		.amdhsa_dx10_clamp 1
		.amdhsa_ieee_mode 1
		.amdhsa_fp16_overflow 0
		.amdhsa_workgroup_processor_mode 1
		.amdhsa_memory_ordered 1
		.amdhsa_forward_progress 1
		.amdhsa_shared_vgpr_count 0
		.amdhsa_exception_fp_ieee_invalid_op 0
		.amdhsa_exception_fp_denorm_src 0
		.amdhsa_exception_fp_ieee_div_zero 0
		.amdhsa_exception_fp_ieee_overflow 0
		.amdhsa_exception_fp_ieee_underflow 0
		.amdhsa_exception_fp_ieee_inexact 0
		.amdhsa_exception_int_div_zero 0
	.end_amdhsa_kernel
	.section	.text._ZN2at6native12_GLOBAL__N_126CatArrayBatchedCopy_contigINS1_10OpaqueTypeILj2EEEjLi4ELi64ELi64EEEvPT_NS1_25CatArrInputTensorMetadataIS5_T0_XT2_EXT3_EEENS1_16TensorSizeStrideIS8_Lj4EEEiS8_,"axG",@progbits,_ZN2at6native12_GLOBAL__N_126CatArrayBatchedCopy_contigINS1_10OpaqueTypeILj2EEEjLi4ELi64ELi64EEEvPT_NS1_25CatArrInputTensorMetadataIS5_T0_XT2_EXT3_EEENS1_16TensorSizeStrideIS8_Lj4EEEiS8_,comdat
.Lfunc_end138:
	.size	_ZN2at6native12_GLOBAL__N_126CatArrayBatchedCopy_contigINS1_10OpaqueTypeILj2EEEjLi4ELi64ELi64EEEvPT_NS1_25CatArrInputTensorMetadataIS5_T0_XT2_EXT3_EEENS1_16TensorSizeStrideIS8_Lj4EEEiS8_, .Lfunc_end138-_ZN2at6native12_GLOBAL__N_126CatArrayBatchedCopy_contigINS1_10OpaqueTypeILj2EEEjLi4ELi64ELi64EEEvPT_NS1_25CatArrInputTensorMetadataIS5_T0_XT2_EXT3_EEENS1_16TensorSizeStrideIS8_Lj4EEEiS8_
                                        ; -- End function
	.set _ZN2at6native12_GLOBAL__N_126CatArrayBatchedCopy_contigINS1_10OpaqueTypeILj2EEEjLi4ELi64ELi64EEEvPT_NS1_25CatArrInputTensorMetadataIS5_T0_XT2_EXT3_EEENS1_16TensorSizeStrideIS8_Lj4EEEiS8_.num_vgpr, 13
	.set _ZN2at6native12_GLOBAL__N_126CatArrayBatchedCopy_contigINS1_10OpaqueTypeILj2EEEjLi4ELi64ELi64EEEvPT_NS1_25CatArrInputTensorMetadataIS5_T0_XT2_EXT3_EEENS1_16TensorSizeStrideIS8_Lj4EEEiS8_.num_agpr, 0
	.set _ZN2at6native12_GLOBAL__N_126CatArrayBatchedCopy_contigINS1_10OpaqueTypeILj2EEEjLi4ELi64ELi64EEEvPT_NS1_25CatArrInputTensorMetadataIS5_T0_XT2_EXT3_EEENS1_16TensorSizeStrideIS8_Lj4EEEiS8_.numbered_sgpr, 24
	.set _ZN2at6native12_GLOBAL__N_126CatArrayBatchedCopy_contigINS1_10OpaqueTypeILj2EEEjLi4ELi64ELi64EEEvPT_NS1_25CatArrInputTensorMetadataIS5_T0_XT2_EXT3_EEENS1_16TensorSizeStrideIS8_Lj4EEEiS8_.num_named_barrier, 0
	.set _ZN2at6native12_GLOBAL__N_126CatArrayBatchedCopy_contigINS1_10OpaqueTypeILj2EEEjLi4ELi64ELi64EEEvPT_NS1_25CatArrInputTensorMetadataIS5_T0_XT2_EXT3_EEENS1_16TensorSizeStrideIS8_Lj4EEEiS8_.private_seg_size, 0
	.set _ZN2at6native12_GLOBAL__N_126CatArrayBatchedCopy_contigINS1_10OpaqueTypeILj2EEEjLi4ELi64ELi64EEEvPT_NS1_25CatArrInputTensorMetadataIS5_T0_XT2_EXT3_EEENS1_16TensorSizeStrideIS8_Lj4EEEiS8_.uses_vcc, 1
	.set _ZN2at6native12_GLOBAL__N_126CatArrayBatchedCopy_contigINS1_10OpaqueTypeILj2EEEjLi4ELi64ELi64EEEvPT_NS1_25CatArrInputTensorMetadataIS5_T0_XT2_EXT3_EEENS1_16TensorSizeStrideIS8_Lj4EEEiS8_.uses_flat_scratch, 0
	.set _ZN2at6native12_GLOBAL__N_126CatArrayBatchedCopy_contigINS1_10OpaqueTypeILj2EEEjLi4ELi64ELi64EEEvPT_NS1_25CatArrInputTensorMetadataIS5_T0_XT2_EXT3_EEENS1_16TensorSizeStrideIS8_Lj4EEEiS8_.has_dyn_sized_stack, 0
	.set _ZN2at6native12_GLOBAL__N_126CatArrayBatchedCopy_contigINS1_10OpaqueTypeILj2EEEjLi4ELi64ELi64EEEvPT_NS1_25CatArrInputTensorMetadataIS5_T0_XT2_EXT3_EEENS1_16TensorSizeStrideIS8_Lj4EEEiS8_.has_recursion, 0
	.set _ZN2at6native12_GLOBAL__N_126CatArrayBatchedCopy_contigINS1_10OpaqueTypeILj2EEEjLi4ELi64ELi64EEEvPT_NS1_25CatArrInputTensorMetadataIS5_T0_XT2_EXT3_EEENS1_16TensorSizeStrideIS8_Lj4EEEiS8_.has_indirect_call, 0
	.section	.AMDGPU.csdata,"",@progbits
; Kernel info:
; codeLenInByte = 712
; TotalNumSgprs: 26
; NumVgprs: 13
; ScratchSize: 0
; MemoryBound: 0
; FloatMode: 240
; IeeeMode: 1
; LDSByteSize: 0 bytes/workgroup (compile time only)
; SGPRBlocks: 0
; VGPRBlocks: 1
; NumSGPRsForWavesPerEU: 26
; NumVGPRsForWavesPerEU: 13
; Occupancy: 16
; WaveLimiterHint : 1
; COMPUTE_PGM_RSRC2:SCRATCH_EN: 0
; COMPUTE_PGM_RSRC2:USER_SGPR: 6
; COMPUTE_PGM_RSRC2:TRAP_HANDLER: 0
; COMPUTE_PGM_RSRC2:TGID_X_EN: 1
; COMPUTE_PGM_RSRC2:TGID_Y_EN: 1
; COMPUTE_PGM_RSRC2:TGID_Z_EN: 0
; COMPUTE_PGM_RSRC2:TIDIG_COMP_CNT: 0
	.section	.text._ZN2at6native12_GLOBAL__N_119CatArrayBatchedCopyINS1_10OpaqueTypeILj2EEEjLi4ELi64ELi64EEEvPT_NS1_25CatArrInputTensorMetadataIS5_T0_XT2_EXT3_EEENS1_16TensorSizeStrideIS8_Lj4EEEiS8_,"axG",@progbits,_ZN2at6native12_GLOBAL__N_119CatArrayBatchedCopyINS1_10OpaqueTypeILj2EEEjLi4ELi64ELi64EEEvPT_NS1_25CatArrInputTensorMetadataIS5_T0_XT2_EXT3_EEENS1_16TensorSizeStrideIS8_Lj4EEEiS8_,comdat
	.globl	_ZN2at6native12_GLOBAL__N_119CatArrayBatchedCopyINS1_10OpaqueTypeILj2EEEjLi4ELi64ELi64EEEvPT_NS1_25CatArrInputTensorMetadataIS5_T0_XT2_EXT3_EEENS1_16TensorSizeStrideIS8_Lj4EEEiS8_ ; -- Begin function _ZN2at6native12_GLOBAL__N_119CatArrayBatchedCopyINS1_10OpaqueTypeILj2EEEjLi4ELi64ELi64EEEvPT_NS1_25CatArrInputTensorMetadataIS5_T0_XT2_EXT3_EEENS1_16TensorSizeStrideIS8_Lj4EEEiS8_
	.p2align	8
	.type	_ZN2at6native12_GLOBAL__N_119CatArrayBatchedCopyINS1_10OpaqueTypeILj2EEEjLi4ELi64ELi64EEEvPT_NS1_25CatArrInputTensorMetadataIS5_T0_XT2_EXT3_EEENS1_16TensorSizeStrideIS8_Lj4EEEiS8_,@function
_ZN2at6native12_GLOBAL__N_119CatArrayBatchedCopyINS1_10OpaqueTypeILj2EEEjLi4ELi64ELi64EEEvPT_NS1_25CatArrInputTensorMetadataIS5_T0_XT2_EXT3_EEENS1_16TensorSizeStrideIS8_Lj4EEEiS8_: ; @_ZN2at6native12_GLOBAL__N_119CatArrayBatchedCopyINS1_10OpaqueTypeILj2EEEjLi4ELi64ELi64EEEvPT_NS1_25CatArrInputTensorMetadataIS5_T0_XT2_EXT3_EEENS1_16TensorSizeStrideIS8_Lj4EEEiS8_
; %bb.0:
	s_mov_b32 s0, s7
	s_load_dword s7, s[4:5], 0xd7c
	s_or_b32 s10, s4, 8
	s_mov_b32 s1, 0
	s_add_u32 s16, s4, 0xd70
	s_addc_u32 s17, s5, 0
	s_lshl_b64 s[2:3], s[0:1], 2
	s_waitcnt lgkmcnt(0)
	s_and_b32 s25, s7, 0xffff
	s_add_u32 s8, s10, s2
	s_addc_u32 s9, s5, s3
	v_mad_u64_u32 v[0:1], null, s6, s25, v[0:1]
	s_load_dword s18, s[8:9], 0x400
	s_mov_b32 s6, exec_lo
	s_waitcnt lgkmcnt(0)
	v_cmpx_gt_u32_e64 s18, v0
	s_cbranch_execz .LBB139_5
; %bb.1:
	s_mul_i32 s6, s0, 28
	s_mul_hi_u32 s7, s0, 28
	s_add_u32 s6, s8, s6
	v_mov_b32_e32 v1, 0
	s_addc_u32 s7, s9, s7
	s_add_u32 s8, s10, s0
	s_addc_u32 s9, s5, 0
	s_load_dwordx2 s[14:15], s[4:5], 0xd68
	global_load_ubyte v2, v1, s[8:9] offset:1280
	s_mul_hi_u32 s10, s0, 7
	s_mul_i32 s0, s0, 7
	s_waitcnt vmcnt(0)
	v_and_b32_e32 v2, 1, v2
	v_cmp_eq_u32_e32 vcc_lo, 1, v2
	s_xor_b32 s19, vcc_lo, -1
	s_add_u32 s12, s8, s0
	s_addc_u32 s13, s9, s10
	s_sub_u32 s0, 0, s2
	s_subb_u32 s2, 0, s3
	s_add_u32 s20, s12, s0
	s_addc_u32 s21, s13, s2
	s_clause 0x5
	s_load_dwordx4 s[28:31], s[4:5], 0xd4c
	s_load_dword s0, s[20:21], 0x300
	s_load_dword s24, s[6:7], 0x54c
	s_load_dwordx2 s[22:23], s[6:7], 0x544
	s_load_dwordx4 s[8:11], s[4:5], 0xd58
	s_load_dwordx2 s[2:3], s[4:5], 0x0
	s_waitcnt lgkmcnt(0)
	s_cmp_eq_u32 s14, 3
	s_load_dword s26, s[20:21], 0x200
	s_load_dword s27, s[16:17], 0x0
	s_cselect_b32 s20, s0, s30
	s_cselect_b32 s21, s0, s24
	s_cmp_eq_u32 s14, 2
	v_cvt_f32_u32_e32 v2, s20
	s_cselect_b32 s16, s0, s29
	s_cselect_b32 s17, s0, s23
	s_cmp_eq_u32 s14, 1
	v_cvt_f32_u32_e32 v3, s21
	s_cselect_b32 s14, s0, s28
	s_cselect_b32 s22, s0, s22
	v_cvt_f32_u32_e32 v4, s16
	v_cvt_f32_u32_e32 v5, s17
	;; [unrolled: 1-line block ×4, first 2 shown]
	v_rcp_iflag_f32_e32 v2, v2
	v_rcp_iflag_f32_e32 v3, v3
	;; [unrolled: 1-line block ×6, first 2 shown]
	s_sub_i32 s23, 0, s20
	s_sub_i32 s0, 0, s16
	s_sub_i32 s24, 0, s21
	s_sub_i32 s4, 0, s17
	v_mul_f32_e32 v2, 0x4f7ffffe, v2
	v_mul_f32_e32 v3, 0x4f7ffffe, v3
	;; [unrolled: 1-line block ×6, first 2 shown]
	v_cvt_u32_f32_e32 v2, v2
	v_cvt_u32_f32_e32 v3, v3
	;; [unrolled: 1-line block ×6, first 2 shown]
	s_sub_i32 s5, 0, s14
	s_sub_i32 s28, 0, s22
	v_mul_lo_u32 v4, s23, v2
	v_mul_lo_u32 v5, s24, v3
	;; [unrolled: 1-line block ×6, first 2 shown]
	s_clause 0x1
	s_load_dwordx4 s[4:7], s[6:7], 0x550
	s_load_dwordx2 s[12:13], s[12:13], 0x0
	s_waitcnt lgkmcnt(0)
	s_mul_i32 s15, s26, s15
	v_mul_hi_u32 v4, v2, v4
	v_mul_hi_u32 v5, v3, v5
	;; [unrolled: 1-line block ×6, first 2 shown]
	s_mul_i32 s25, s27, s25
	v_add_nc_u32_e32 v4, v2, v4
	v_add_nc_u32_e32 v5, v3, v5
	;; [unrolled: 1-line block ×6, first 2 shown]
	s_branch .LBB139_3
.LBB139_2:                              ;   in Loop: Header=BB139_3 Depth=1
	v_lshlrev_b64 v[2:3], 1, v[2:3]
	v_mul_hi_u32 v13, v4, v0
	v_add_co_u32 v2, vcc_lo, s12, v2
	v_add_co_ci_u32_e64 v3, null, s13, v3, vcc_lo
	v_not_b32_e32 v10, v13
	global_load_ushort v12, v[2:3], off
	v_mad_u64_u32 v[2:3], null, s23, v13, v[0:1]
	v_mad_u64_u32 v[10:11], null, s20, v10, v[0:1]
	v_add_nc_u32_e32 v3, 1, v13
	v_cmp_le_u32_e32 vcc_lo, s20, v2
	v_cndmask_b32_e32 v3, v13, v3, vcc_lo
	v_cndmask_b32_e32 v2, v2, v10, vcc_lo
	v_add_nc_u32_e32 v10, 1, v3
	v_cmp_le_u32_e32 vcc_lo, s20, v2
	v_cndmask_b32_e32 v10, v3, v10, vcc_lo
	v_mul_hi_u32 v2, v10, v6
	v_mul_lo_u32 v3, v2, s16
	v_add_nc_u32_e32 v11, 1, v2
	v_sub_nc_u32_e32 v3, v10, v3
	v_subrev_nc_u32_e32 v13, s16, v3
	v_cmp_le_u32_e32 vcc_lo, s16, v3
	v_cndmask_b32_e32 v2, v2, v11, vcc_lo
	v_cndmask_b32_e32 v3, v3, v13, vcc_lo
	v_add_nc_u32_e32 v11, 1, v2
	v_cmp_le_u32_e32 vcc_lo, s16, v3
	v_cndmask_b32_e32 v11, v2, v11, vcc_lo
	v_mul_hi_u32 v2, v11, v8
	v_mul_lo_u32 v3, v2, s14
	v_add_nc_u32_e32 v13, 1, v2
	v_sub_nc_u32_e32 v3, v11, v3
	v_subrev_nc_u32_e32 v14, s14, v3
	v_cmp_le_u32_e32 vcc_lo, s14, v3
	v_cndmask_b32_e32 v2, v2, v13, vcc_lo
	v_cndmask_b32_e32 v3, v3, v14, vcc_lo
	v_mul_lo_u32 v14, v11, s16
	v_add_nc_u32_e32 v13, 1, v2
	v_cmp_le_u32_e32 vcc_lo, s14, v3
	v_cndmask_b32_e32 v13, v2, v13, vcc_lo
	v_mad_u64_u32 v[2:3], null, s23, v10, v[0:1]
	v_sub_nc_u32_e32 v10, v10, v14
	v_add_nc_u32_e32 v0, s25, v0
	v_mul_lo_u32 v3, v13, s14
	v_mul_lo_u32 v10, v10, s10
	;; [unrolled: 1-line block ×3, first 2 shown]
	v_cmp_le_u32_e32 vcc_lo, s18, v0
	v_sub_nc_u32_e32 v3, v11, v3
	v_mul_lo_u32 v11, v13, s8
	s_or_b32 s1, vcc_lo, s1
	v_mul_lo_u32 v3, v3, s9
	v_add3_u32 v2, v11, v2, v10
	v_add3_u32 v2, v2, v3, s15
	v_mov_b32_e32 v3, v1
	v_lshlrev_b64 v[2:3], 1, v[2:3]
	v_add_co_u32 v2, s0, s2, v2
	v_add_co_ci_u32_e64 v3, null, s3, v3, s0
	s_waitcnt vmcnt(0)
	global_store_short v[2:3], v12, off
	s_andn2_b32 exec_lo, exec_lo, s1
	s_cbranch_execz .LBB139_5
.LBB139_3:                              ; =>This Inner Loop Header: Depth=1
	v_mov_b32_e32 v3, v1
	v_mov_b32_e32 v2, v0
	s_andn2_b32 vcc_lo, exec_lo, s19
	s_cbranch_vccnz .LBB139_2
; %bb.4:                                ;   in Loop: Header=BB139_3 Depth=1
	v_mul_hi_u32 v12, v5, v0
	v_not_b32_e32 v10, v12
	v_mad_u64_u32 v[2:3], null, s24, v12, v[0:1]
	v_add_nc_u32_e32 v3, 1, v12
	v_mad_u64_u32 v[10:11], null, s21, v10, v[0:1]
	v_cmp_le_u32_e32 vcc_lo, s21, v2
	v_cndmask_b32_e32 v3, v12, v3, vcc_lo
	v_cndmask_b32_e32 v2, v2, v10, vcc_lo
	v_add_nc_u32_e32 v10, 1, v3
	v_cmp_le_u32_e32 vcc_lo, s21, v2
	v_cndmask_b32_e32 v10, v3, v10, vcc_lo
	v_mul_hi_u32 v2, v10, v7
	v_mul_lo_u32 v3, v2, s17
	v_add_nc_u32_e32 v11, 1, v2
	v_sub_nc_u32_e32 v3, v10, v3
	v_subrev_nc_u32_e32 v12, s17, v3
	v_cmp_le_u32_e32 vcc_lo, s17, v3
	v_cndmask_b32_e32 v2, v2, v11, vcc_lo
	v_cndmask_b32_e32 v3, v3, v12, vcc_lo
	v_add_nc_u32_e32 v11, 1, v2
	v_cmp_le_u32_e32 vcc_lo, s17, v3
	v_cndmask_b32_e32 v11, v2, v11, vcc_lo
	v_mul_hi_u32 v2, v11, v9
	v_mul_lo_u32 v3, v2, s22
	v_add_nc_u32_e32 v12, 1, v2
	v_sub_nc_u32_e32 v3, v11, v3
	v_subrev_nc_u32_e32 v13, s22, v3
	v_cmp_le_u32_e32 vcc_lo, s22, v3
	v_cndmask_b32_e32 v2, v2, v12, vcc_lo
	v_cndmask_b32_e32 v3, v3, v13, vcc_lo
	v_add_nc_u32_e32 v12, 1, v2
	v_cmp_le_u32_e32 vcc_lo, s22, v3
	v_cndmask_b32_e32 v12, v2, v12, vcc_lo
	v_mad_u64_u32 v[2:3], null, s24, v10, v[0:1]
	v_mul_lo_u32 v3, v11, s17
	v_mul_lo_u32 v13, v12, s22
	;; [unrolled: 1-line block ×3, first 2 shown]
	v_sub_nc_u32_e32 v3, v10, v3
	v_sub_nc_u32_e32 v10, v11, v13
	v_mul_lo_u32 v11, v3, s6
	v_mad_u64_u32 v[2:3], null, v12, s4, v[2:3]
	v_mul_lo_u32 v3, v10, s5
	v_add3_u32 v2, v2, v11, v3
	v_mov_b32_e32 v3, v1
	s_branch .LBB139_2
.LBB139_5:
	s_endpgm
	.section	.rodata,"a",@progbits
	.p2align	6, 0x0
	.amdhsa_kernel _ZN2at6native12_GLOBAL__N_119CatArrayBatchedCopyINS1_10OpaqueTypeILj2EEEjLi4ELi64ELi64EEEvPT_NS1_25CatArrInputTensorMetadataIS5_T0_XT2_EXT3_EEENS1_16TensorSizeStrideIS8_Lj4EEEiS8_
		.amdhsa_group_segment_fixed_size 0
		.amdhsa_private_segment_fixed_size 0
		.amdhsa_kernarg_size 3696
		.amdhsa_user_sgpr_count 6
		.amdhsa_user_sgpr_private_segment_buffer 1
		.amdhsa_user_sgpr_dispatch_ptr 0
		.amdhsa_user_sgpr_queue_ptr 0
		.amdhsa_user_sgpr_kernarg_segment_ptr 1
		.amdhsa_user_sgpr_dispatch_id 0
		.amdhsa_user_sgpr_flat_scratch_init 0
		.amdhsa_user_sgpr_private_segment_size 0
		.amdhsa_wavefront_size32 1
		.amdhsa_uses_dynamic_stack 0
		.amdhsa_system_sgpr_private_segment_wavefront_offset 0
		.amdhsa_system_sgpr_workgroup_id_x 1
		.amdhsa_system_sgpr_workgroup_id_y 1
		.amdhsa_system_sgpr_workgroup_id_z 0
		.amdhsa_system_sgpr_workgroup_info 0
		.amdhsa_system_vgpr_workitem_id 0
		.amdhsa_next_free_vgpr 15
		.amdhsa_next_free_sgpr 32
		.amdhsa_reserve_vcc 1
		.amdhsa_reserve_flat_scratch 0
		.amdhsa_float_round_mode_32 0
		.amdhsa_float_round_mode_16_64 0
		.amdhsa_float_denorm_mode_32 3
		.amdhsa_float_denorm_mode_16_64 3
		.amdhsa_dx10_clamp 1
		.amdhsa_ieee_mode 1
		.amdhsa_fp16_overflow 0
		.amdhsa_workgroup_processor_mode 1
		.amdhsa_memory_ordered 1
		.amdhsa_forward_progress 1
		.amdhsa_shared_vgpr_count 0
		.amdhsa_exception_fp_ieee_invalid_op 0
		.amdhsa_exception_fp_denorm_src 0
		.amdhsa_exception_fp_ieee_div_zero 0
		.amdhsa_exception_fp_ieee_overflow 0
		.amdhsa_exception_fp_ieee_underflow 0
		.amdhsa_exception_fp_ieee_inexact 0
		.amdhsa_exception_int_div_zero 0
	.end_amdhsa_kernel
	.section	.text._ZN2at6native12_GLOBAL__N_119CatArrayBatchedCopyINS1_10OpaqueTypeILj2EEEjLi4ELi64ELi64EEEvPT_NS1_25CatArrInputTensorMetadataIS5_T0_XT2_EXT3_EEENS1_16TensorSizeStrideIS8_Lj4EEEiS8_,"axG",@progbits,_ZN2at6native12_GLOBAL__N_119CatArrayBatchedCopyINS1_10OpaqueTypeILj2EEEjLi4ELi64ELi64EEEvPT_NS1_25CatArrInputTensorMetadataIS5_T0_XT2_EXT3_EEENS1_16TensorSizeStrideIS8_Lj4EEEiS8_,comdat
.Lfunc_end139:
	.size	_ZN2at6native12_GLOBAL__N_119CatArrayBatchedCopyINS1_10OpaqueTypeILj2EEEjLi4ELi64ELi64EEEvPT_NS1_25CatArrInputTensorMetadataIS5_T0_XT2_EXT3_EEENS1_16TensorSizeStrideIS8_Lj4EEEiS8_, .Lfunc_end139-_ZN2at6native12_GLOBAL__N_119CatArrayBatchedCopyINS1_10OpaqueTypeILj2EEEjLi4ELi64ELi64EEEvPT_NS1_25CatArrInputTensorMetadataIS5_T0_XT2_EXT3_EEENS1_16TensorSizeStrideIS8_Lj4EEEiS8_
                                        ; -- End function
	.set _ZN2at6native12_GLOBAL__N_119CatArrayBatchedCopyINS1_10OpaqueTypeILj2EEEjLi4ELi64ELi64EEEvPT_NS1_25CatArrInputTensorMetadataIS5_T0_XT2_EXT3_EEENS1_16TensorSizeStrideIS8_Lj4EEEiS8_.num_vgpr, 15
	.set _ZN2at6native12_GLOBAL__N_119CatArrayBatchedCopyINS1_10OpaqueTypeILj2EEEjLi4ELi64ELi64EEEvPT_NS1_25CatArrInputTensorMetadataIS5_T0_XT2_EXT3_EEENS1_16TensorSizeStrideIS8_Lj4EEEiS8_.num_agpr, 0
	.set _ZN2at6native12_GLOBAL__N_119CatArrayBatchedCopyINS1_10OpaqueTypeILj2EEEjLi4ELi64ELi64EEEvPT_NS1_25CatArrInputTensorMetadataIS5_T0_XT2_EXT3_EEENS1_16TensorSizeStrideIS8_Lj4EEEiS8_.numbered_sgpr, 32
	.set _ZN2at6native12_GLOBAL__N_119CatArrayBatchedCopyINS1_10OpaqueTypeILj2EEEjLi4ELi64ELi64EEEvPT_NS1_25CatArrInputTensorMetadataIS5_T0_XT2_EXT3_EEENS1_16TensorSizeStrideIS8_Lj4EEEiS8_.num_named_barrier, 0
	.set _ZN2at6native12_GLOBAL__N_119CatArrayBatchedCopyINS1_10OpaqueTypeILj2EEEjLi4ELi64ELi64EEEvPT_NS1_25CatArrInputTensorMetadataIS5_T0_XT2_EXT3_EEENS1_16TensorSizeStrideIS8_Lj4EEEiS8_.private_seg_size, 0
	.set _ZN2at6native12_GLOBAL__N_119CatArrayBatchedCopyINS1_10OpaqueTypeILj2EEEjLi4ELi64ELi64EEEvPT_NS1_25CatArrInputTensorMetadataIS5_T0_XT2_EXT3_EEENS1_16TensorSizeStrideIS8_Lj4EEEiS8_.uses_vcc, 1
	.set _ZN2at6native12_GLOBAL__N_119CatArrayBatchedCopyINS1_10OpaqueTypeILj2EEEjLi4ELi64ELi64EEEvPT_NS1_25CatArrInputTensorMetadataIS5_T0_XT2_EXT3_EEENS1_16TensorSizeStrideIS8_Lj4EEEiS8_.uses_flat_scratch, 0
	.set _ZN2at6native12_GLOBAL__N_119CatArrayBatchedCopyINS1_10OpaqueTypeILj2EEEjLi4ELi64ELi64EEEvPT_NS1_25CatArrInputTensorMetadataIS5_T0_XT2_EXT3_EEENS1_16TensorSizeStrideIS8_Lj4EEEiS8_.has_dyn_sized_stack, 0
	.set _ZN2at6native12_GLOBAL__N_119CatArrayBatchedCopyINS1_10OpaqueTypeILj2EEEjLi4ELi64ELi64EEEvPT_NS1_25CatArrInputTensorMetadataIS5_T0_XT2_EXT3_EEENS1_16TensorSizeStrideIS8_Lj4EEEiS8_.has_recursion, 0
	.set _ZN2at6native12_GLOBAL__N_119CatArrayBatchedCopyINS1_10OpaqueTypeILj2EEEjLi4ELi64ELi64EEEvPT_NS1_25CatArrInputTensorMetadataIS5_T0_XT2_EXT3_EEENS1_16TensorSizeStrideIS8_Lj4EEEiS8_.has_indirect_call, 0
	.section	.AMDGPU.csdata,"",@progbits
; Kernel info:
; codeLenInByte = 1184
; TotalNumSgprs: 34
; NumVgprs: 15
; ScratchSize: 0
; MemoryBound: 0
; FloatMode: 240
; IeeeMode: 1
; LDSByteSize: 0 bytes/workgroup (compile time only)
; SGPRBlocks: 0
; VGPRBlocks: 1
; NumSGPRsForWavesPerEU: 34
; NumVGPRsForWavesPerEU: 15
; Occupancy: 16
; WaveLimiterHint : 1
; COMPUTE_PGM_RSRC2:SCRATCH_EN: 0
; COMPUTE_PGM_RSRC2:USER_SGPR: 6
; COMPUTE_PGM_RSRC2:TRAP_HANDLER: 0
; COMPUTE_PGM_RSRC2:TGID_X_EN: 1
; COMPUTE_PGM_RSRC2:TGID_Y_EN: 1
; COMPUTE_PGM_RSRC2:TGID_Z_EN: 0
; COMPUTE_PGM_RSRC2:TIDIG_COMP_CNT: 0
	.section	.text._ZN2at6native12_GLOBAL__N_130CatArrayBatchedCopy_vectorizedINS1_10OpaqueTypeILj4EEEjLi1ELi64ELi64ELi16ELi4EEEvPcNS1_25CatArrInputTensorMetadataIT_T0_XT2_EXT3_EEENS1_16TensorSizeStrideIS8_Lj4EEEiS8_,"axG",@progbits,_ZN2at6native12_GLOBAL__N_130CatArrayBatchedCopy_vectorizedINS1_10OpaqueTypeILj4EEEjLi1ELi64ELi64ELi16ELi4EEEvPcNS1_25CatArrInputTensorMetadataIT_T0_XT2_EXT3_EEENS1_16TensorSizeStrideIS8_Lj4EEEiS8_,comdat
	.globl	_ZN2at6native12_GLOBAL__N_130CatArrayBatchedCopy_vectorizedINS1_10OpaqueTypeILj4EEEjLi1ELi64ELi64ELi16ELi4EEEvPcNS1_25CatArrInputTensorMetadataIT_T0_XT2_EXT3_EEENS1_16TensorSizeStrideIS8_Lj4EEEiS8_ ; -- Begin function _ZN2at6native12_GLOBAL__N_130CatArrayBatchedCopy_vectorizedINS1_10OpaqueTypeILj4EEEjLi1ELi64ELi64ELi16ELi4EEEvPcNS1_25CatArrInputTensorMetadataIT_T0_XT2_EXT3_EEENS1_16TensorSizeStrideIS8_Lj4EEEiS8_
	.p2align	8
	.type	_ZN2at6native12_GLOBAL__N_130CatArrayBatchedCopy_vectorizedINS1_10OpaqueTypeILj4EEEjLi1ELi64ELi64ELi16ELi4EEEvPcNS1_25CatArrInputTensorMetadataIT_T0_XT2_EXT3_EEENS1_16TensorSizeStrideIS8_Lj4EEEiS8_,@function
_ZN2at6native12_GLOBAL__N_130CatArrayBatchedCopy_vectorizedINS1_10OpaqueTypeILj4EEEjLi1ELi64ELi64ELi16ELi4EEEvPcNS1_25CatArrInputTensorMetadataIT_T0_XT2_EXT3_EEENS1_16TensorSizeStrideIS8_Lj4EEEiS8_: ; @_ZN2at6native12_GLOBAL__N_130CatArrayBatchedCopy_vectorizedINS1_10OpaqueTypeILj4EEEjLi1ELi64ELi64ELi16ELi4EEEvPcNS1_25CatArrInputTensorMetadataIT_T0_XT2_EXT3_EEENS1_16TensorSizeStrideIS8_Lj4EEEiS8_
; %bb.0:
	s_mov_b32 s0, s7
	s_load_dword s7, s[4:5], 0xd7c
	s_mov_b32 s1, 0
	s_add_u32 s8, s4, 0xd70
	s_addc_u32 s9, s5, 0
	s_lshl_b64 s[2:3], s[0:1], 2
	s_waitcnt lgkmcnt(0)
	s_and_b32 s7, s7, 0xffff
	s_add_u32 s10, s4, s2
	s_addc_u32 s11, s5, s3
	v_mad_u64_u32 v[0:1], null, s6, s7, v[0:1]
	s_load_dword s12, s[10:11], 0x408
	s_add_u32 s0, s10, 8
	s_addc_u32 s10, s11, 0
	s_mov_b32 s11, exec_lo
	s_waitcnt lgkmcnt(0)
	s_lshr_b32 s6, s12, 2
	v_cmpx_gt_u32_e64 s6, v0
	s_cbranch_execz .LBB140_3
; %bb.1:
	s_add_u32 s12, s0, s2
	s_addc_u32 s13, s10, s3
	s_sub_u32 s0, 0, s2
	s_subb_u32 s3, 0, s3
	s_add_u32 s2, s12, s0
	s_addc_u32 s3, s13, s3
	v_mov_b32_e32 v3, 0
	s_clause 0x3
	s_load_dword s0, s[2:3], 0x200
	s_load_dword s10, s[4:5], 0xd6c
	s_load_dwordx2 s[2:3], s[12:13], 0x0
	s_load_dword s12, s[4:5], 0xd58
	s_load_dword s13, s[8:9], 0x0
	s_load_dwordx2 s[8:9], s[4:5], 0x0
	s_waitcnt lgkmcnt(0)
	s_mul_i32 s0, s0, s10
	v_mul_lo_u32 v2, s12, v0
	s_lshr_b32 s0, s0, 2
	s_mul_i32 s4, s13, s7
	s_lshl_b64 s[10:11], s[0:1], 4
	s_add_u32 s5, s8, s10
	s_addc_u32 s7, s9, s11
	s_mul_i32 s8, s4, s12
	.p2align	6
.LBB140_2:                              ; =>This Inner Loop Header: Depth=1
	v_mov_b32_e32 v1, v3
	v_lshlrev_b64 v[8:9], 4, v[2:3]
	v_add_nc_u32_e32 v2, s8, v2
	v_lshlrev_b64 v[4:5], 4, v[0:1]
	v_add_nc_u32_e32 v0, s4, v0
	v_cmp_le_u32_e64 s0, s6, v0
	v_add_co_u32 v4, vcc_lo, s2, v4
	v_add_co_ci_u32_e64 v5, null, s3, v5, vcc_lo
	v_add_co_u32 v8, vcc_lo, s5, v8
	v_add_co_ci_u32_e64 v9, null, s7, v9, vcc_lo
	global_load_dwordx4 v[4:7], v[4:5], off
	s_or_b32 s1, s0, s1
	s_waitcnt vmcnt(0)
	global_store_dwordx4 v[8:9], v[4:7], off
	s_andn2_b32 exec_lo, exec_lo, s1
	s_cbranch_execnz .LBB140_2
.LBB140_3:
	s_endpgm
	.section	.rodata,"a",@progbits
	.p2align	6, 0x0
	.amdhsa_kernel _ZN2at6native12_GLOBAL__N_130CatArrayBatchedCopy_vectorizedINS1_10OpaqueTypeILj4EEEjLi1ELi64ELi64ELi16ELi4EEEvPcNS1_25CatArrInputTensorMetadataIT_T0_XT2_EXT3_EEENS1_16TensorSizeStrideIS8_Lj4EEEiS8_
		.amdhsa_group_segment_fixed_size 0
		.amdhsa_private_segment_fixed_size 0
		.amdhsa_kernarg_size 3696
		.amdhsa_user_sgpr_count 6
		.amdhsa_user_sgpr_private_segment_buffer 1
		.amdhsa_user_sgpr_dispatch_ptr 0
		.amdhsa_user_sgpr_queue_ptr 0
		.amdhsa_user_sgpr_kernarg_segment_ptr 1
		.amdhsa_user_sgpr_dispatch_id 0
		.amdhsa_user_sgpr_flat_scratch_init 0
		.amdhsa_user_sgpr_private_segment_size 0
		.amdhsa_wavefront_size32 1
		.amdhsa_uses_dynamic_stack 0
		.amdhsa_system_sgpr_private_segment_wavefront_offset 0
		.amdhsa_system_sgpr_workgroup_id_x 1
		.amdhsa_system_sgpr_workgroup_id_y 1
		.amdhsa_system_sgpr_workgroup_id_z 0
		.amdhsa_system_sgpr_workgroup_info 0
		.amdhsa_system_vgpr_workitem_id 0
		.amdhsa_next_free_vgpr 10
		.amdhsa_next_free_sgpr 14
		.amdhsa_reserve_vcc 1
		.amdhsa_reserve_flat_scratch 0
		.amdhsa_float_round_mode_32 0
		.amdhsa_float_round_mode_16_64 0
		.amdhsa_float_denorm_mode_32 3
		.amdhsa_float_denorm_mode_16_64 3
		.amdhsa_dx10_clamp 1
		.amdhsa_ieee_mode 1
		.amdhsa_fp16_overflow 0
		.amdhsa_workgroup_processor_mode 1
		.amdhsa_memory_ordered 1
		.amdhsa_forward_progress 1
		.amdhsa_shared_vgpr_count 0
		.amdhsa_exception_fp_ieee_invalid_op 0
		.amdhsa_exception_fp_denorm_src 0
		.amdhsa_exception_fp_ieee_div_zero 0
		.amdhsa_exception_fp_ieee_overflow 0
		.amdhsa_exception_fp_ieee_underflow 0
		.amdhsa_exception_fp_ieee_inexact 0
		.amdhsa_exception_int_div_zero 0
	.end_amdhsa_kernel
	.section	.text._ZN2at6native12_GLOBAL__N_130CatArrayBatchedCopy_vectorizedINS1_10OpaqueTypeILj4EEEjLi1ELi64ELi64ELi16ELi4EEEvPcNS1_25CatArrInputTensorMetadataIT_T0_XT2_EXT3_EEENS1_16TensorSizeStrideIS8_Lj4EEEiS8_,"axG",@progbits,_ZN2at6native12_GLOBAL__N_130CatArrayBatchedCopy_vectorizedINS1_10OpaqueTypeILj4EEEjLi1ELi64ELi64ELi16ELi4EEEvPcNS1_25CatArrInputTensorMetadataIT_T0_XT2_EXT3_EEENS1_16TensorSizeStrideIS8_Lj4EEEiS8_,comdat
.Lfunc_end140:
	.size	_ZN2at6native12_GLOBAL__N_130CatArrayBatchedCopy_vectorizedINS1_10OpaqueTypeILj4EEEjLi1ELi64ELi64ELi16ELi4EEEvPcNS1_25CatArrInputTensorMetadataIT_T0_XT2_EXT3_EEENS1_16TensorSizeStrideIS8_Lj4EEEiS8_, .Lfunc_end140-_ZN2at6native12_GLOBAL__N_130CatArrayBatchedCopy_vectorizedINS1_10OpaqueTypeILj4EEEjLi1ELi64ELi64ELi16ELi4EEEvPcNS1_25CatArrInputTensorMetadataIT_T0_XT2_EXT3_EEENS1_16TensorSizeStrideIS8_Lj4EEEiS8_
                                        ; -- End function
	.set _ZN2at6native12_GLOBAL__N_130CatArrayBatchedCopy_vectorizedINS1_10OpaqueTypeILj4EEEjLi1ELi64ELi64ELi16ELi4EEEvPcNS1_25CatArrInputTensorMetadataIT_T0_XT2_EXT3_EEENS1_16TensorSizeStrideIS8_Lj4EEEiS8_.num_vgpr, 10
	.set _ZN2at6native12_GLOBAL__N_130CatArrayBatchedCopy_vectorizedINS1_10OpaqueTypeILj4EEEjLi1ELi64ELi64ELi16ELi4EEEvPcNS1_25CatArrInputTensorMetadataIT_T0_XT2_EXT3_EEENS1_16TensorSizeStrideIS8_Lj4EEEiS8_.num_agpr, 0
	.set _ZN2at6native12_GLOBAL__N_130CatArrayBatchedCopy_vectorizedINS1_10OpaqueTypeILj4EEEjLi1ELi64ELi64ELi16ELi4EEEvPcNS1_25CatArrInputTensorMetadataIT_T0_XT2_EXT3_EEENS1_16TensorSizeStrideIS8_Lj4EEEiS8_.numbered_sgpr, 14
	.set _ZN2at6native12_GLOBAL__N_130CatArrayBatchedCopy_vectorizedINS1_10OpaqueTypeILj4EEEjLi1ELi64ELi64ELi16ELi4EEEvPcNS1_25CatArrInputTensorMetadataIT_T0_XT2_EXT3_EEENS1_16TensorSizeStrideIS8_Lj4EEEiS8_.num_named_barrier, 0
	.set _ZN2at6native12_GLOBAL__N_130CatArrayBatchedCopy_vectorizedINS1_10OpaqueTypeILj4EEEjLi1ELi64ELi64ELi16ELi4EEEvPcNS1_25CatArrInputTensorMetadataIT_T0_XT2_EXT3_EEENS1_16TensorSizeStrideIS8_Lj4EEEiS8_.private_seg_size, 0
	.set _ZN2at6native12_GLOBAL__N_130CatArrayBatchedCopy_vectorizedINS1_10OpaqueTypeILj4EEEjLi1ELi64ELi64ELi16ELi4EEEvPcNS1_25CatArrInputTensorMetadataIT_T0_XT2_EXT3_EEENS1_16TensorSizeStrideIS8_Lj4EEEiS8_.uses_vcc, 1
	.set _ZN2at6native12_GLOBAL__N_130CatArrayBatchedCopy_vectorizedINS1_10OpaqueTypeILj4EEEjLi1ELi64ELi64ELi16ELi4EEEvPcNS1_25CatArrInputTensorMetadataIT_T0_XT2_EXT3_EEENS1_16TensorSizeStrideIS8_Lj4EEEiS8_.uses_flat_scratch, 0
	.set _ZN2at6native12_GLOBAL__N_130CatArrayBatchedCopy_vectorizedINS1_10OpaqueTypeILj4EEEjLi1ELi64ELi64ELi16ELi4EEEvPcNS1_25CatArrInputTensorMetadataIT_T0_XT2_EXT3_EEENS1_16TensorSizeStrideIS8_Lj4EEEiS8_.has_dyn_sized_stack, 0
	.set _ZN2at6native12_GLOBAL__N_130CatArrayBatchedCopy_vectorizedINS1_10OpaqueTypeILj4EEEjLi1ELi64ELi64ELi16ELi4EEEvPcNS1_25CatArrInputTensorMetadataIT_T0_XT2_EXT3_EEENS1_16TensorSizeStrideIS8_Lj4EEEiS8_.has_recursion, 0
	.set _ZN2at6native12_GLOBAL__N_130CatArrayBatchedCopy_vectorizedINS1_10OpaqueTypeILj4EEEjLi1ELi64ELi64ELi16ELi4EEEvPcNS1_25CatArrInputTensorMetadataIT_T0_XT2_EXT3_EEENS1_16TensorSizeStrideIS8_Lj4EEEiS8_.has_indirect_call, 0
	.section	.AMDGPU.csdata,"",@progbits
; Kernel info:
; codeLenInByte = 360
; TotalNumSgprs: 16
; NumVgprs: 10
; ScratchSize: 0
; MemoryBound: 0
; FloatMode: 240
; IeeeMode: 1
; LDSByteSize: 0 bytes/workgroup (compile time only)
; SGPRBlocks: 0
; VGPRBlocks: 1
; NumSGPRsForWavesPerEU: 16
; NumVGPRsForWavesPerEU: 10
; Occupancy: 16
; WaveLimiterHint : 1
; COMPUTE_PGM_RSRC2:SCRATCH_EN: 0
; COMPUTE_PGM_RSRC2:USER_SGPR: 6
; COMPUTE_PGM_RSRC2:TRAP_HANDLER: 0
; COMPUTE_PGM_RSRC2:TGID_X_EN: 1
; COMPUTE_PGM_RSRC2:TGID_Y_EN: 1
; COMPUTE_PGM_RSRC2:TGID_Z_EN: 0
; COMPUTE_PGM_RSRC2:TIDIG_COMP_CNT: 0
	.section	.text._ZN2at6native12_GLOBAL__N_135CatArrayBatchedCopy_alignedK_contigINS1_10OpaqueTypeILj4EEEjLi1ELi64ELi64ELi16EEEvPT_NS1_25CatArrInputTensorMetadataIS5_T0_XT2_EXT3_EEENS1_16TensorSizeStrideIS8_Lj4EEEiS8_,"axG",@progbits,_ZN2at6native12_GLOBAL__N_135CatArrayBatchedCopy_alignedK_contigINS1_10OpaqueTypeILj4EEEjLi1ELi64ELi64ELi16EEEvPT_NS1_25CatArrInputTensorMetadataIS5_T0_XT2_EXT3_EEENS1_16TensorSizeStrideIS8_Lj4EEEiS8_,comdat
	.globl	_ZN2at6native12_GLOBAL__N_135CatArrayBatchedCopy_alignedK_contigINS1_10OpaqueTypeILj4EEEjLi1ELi64ELi64ELi16EEEvPT_NS1_25CatArrInputTensorMetadataIS5_T0_XT2_EXT3_EEENS1_16TensorSizeStrideIS8_Lj4EEEiS8_ ; -- Begin function _ZN2at6native12_GLOBAL__N_135CatArrayBatchedCopy_alignedK_contigINS1_10OpaqueTypeILj4EEEjLi1ELi64ELi64ELi16EEEvPT_NS1_25CatArrInputTensorMetadataIS5_T0_XT2_EXT3_EEENS1_16TensorSizeStrideIS8_Lj4EEEiS8_
	.p2align	8
	.type	_ZN2at6native12_GLOBAL__N_135CatArrayBatchedCopy_alignedK_contigINS1_10OpaqueTypeILj4EEEjLi1ELi64ELi64ELi16EEEvPT_NS1_25CatArrInputTensorMetadataIS5_T0_XT2_EXT3_EEENS1_16TensorSizeStrideIS8_Lj4EEEiS8_,@function
_ZN2at6native12_GLOBAL__N_135CatArrayBatchedCopy_alignedK_contigINS1_10OpaqueTypeILj4EEEjLi1ELi64ELi64ELi16EEEvPT_NS1_25CatArrInputTensorMetadataIS5_T0_XT2_EXT3_EEENS1_16TensorSizeStrideIS8_Lj4EEEiS8_: ; @_ZN2at6native12_GLOBAL__N_135CatArrayBatchedCopy_alignedK_contigINS1_10OpaqueTypeILj4EEEjLi1ELi64ELi64ELi16EEEvPT_NS1_25CatArrInputTensorMetadataIS5_T0_XT2_EXT3_EEENS1_16TensorSizeStrideIS8_Lj4EEEiS8_
; %bb.0:
	s_mov_b32 s2, s7
	s_load_dword s7, s[4:5], 0xd7c
	s_mov_b32 s3, 0
	s_add_u32 s0, s4, 0xd70
	s_addc_u32 s1, s5, 0
	s_lshl_b64 s[2:3], s[2:3], 2
	s_mov_b32 s8, exec_lo
	s_waitcnt lgkmcnt(0)
	s_and_b32 s10, s7, 0xffff
	s_add_u32 s12, s4, s2
	s_addc_u32 s13, s5, s3
	v_mad_u64_u32 v[1:2], null, s6, s10, v[0:1]
	s_load_dword s9, s[12:13], 0x408
	s_add_u32 s6, s12, 8
	s_addc_u32 s7, s13, 0
	v_lshlrev_b32_e32 v0, 2, v1
	s_waitcnt lgkmcnt(0)
	v_cmpx_gt_u32_e64 s9, v0
	s_cbranch_execz .LBB141_8
; %bb.1:
	s_add_u32 s6, s6, s2
	s_addc_u32 s7, s7, s3
	s_sub_u32 s2, 0, s2
	s_subb_u32 s3, 0, s3
	s_add_u32 s2, s6, s2
	s_addc_u32 s3, s7, s3
	v_add_nc_u32_e32 v2, 4, v0
	s_clause 0x4
	s_load_dword s8, s[2:3], 0x200
	s_load_dwordx2 s[2:3], s[4:5], 0x0
	s_load_dword s11, s[4:5], 0xd6c
	s_load_dwordx2 s[6:7], s[6:7], 0x0
	s_load_dword s4, s[4:5], 0xd58
	s_mov_b32 s5, exec_lo
	s_waitcnt lgkmcnt(0)
	s_mul_i32 s8, s8, s11
	v_cmpx_ge_u32_e64 s9, v2
	s_cbranch_execz .LBB141_5
; %bb.2:
	s_load_dword s0, s[0:1], 0x0
	v_add_nc_u32_e32 v4, 2, v0
	v_add_nc_u32_e32 v5, 3, v0
	v_mul_lo_u32 v6, s4, v1
	v_mad_u64_u32 v[2:3], null, s4, v0, s[4:5]
	v_mul_lo_u32 v3, s4, v4
	v_mul_lo_u32 v4, s4, v5
	v_mov_b32_e32 v1, 0
	s_mov_b32 s1, 0
	s_mov_b32 s12, s8
	v_lshlrev_b32_e32 v5, 2, v6
	s_waitcnt lgkmcnt(0)
	s_mul_i32 s0, s0, s10
	s_mul_i32 s11, s0, s4
	s_lshl_b32 s10, s0, 2
	s_lshl_b32 s11, s11, 2
.LBB141_3:                              ; =>This Inner Loop Header: Depth=1
	v_lshlrev_b64 v[6:7], 2, v[0:1]
	v_add_nc_u32_e32 v10, s12, v5
	v_mov_b32_e32 v11, v1
	v_add_nc_u32_e32 v12, s12, v2
	v_mov_b32_e32 v13, v1
	v_add_nc_u32_e32 v14, s12, v3
	v_add_co_u32 v6, vcc_lo, s6, v6
	v_add_co_ci_u32_e64 v7, null, s7, v7, vcc_lo
	v_add_nc_u32_e32 v0, s10, v0
	v_mov_b32_e32 v15, v1
	v_lshlrev_b64 v[10:11], 2, v[10:11]
	global_load_dwordx4 v[6:9], v[6:7], off
	v_add_nc_u32_e32 v16, s12, v4
	v_mov_b32_e32 v17, v1
	v_lshlrev_b64 v[12:13], 2, v[12:13]
	v_add_nc_u32_e32 v18, 4, v0
	v_lshlrev_b64 v[14:15], 2, v[14:15]
	v_add_co_u32 v10, s0, s2, v10
	v_lshlrev_b64 v[16:17], 2, v[16:17]
	v_add_co_ci_u32_e64 v11, null, s3, v11, s0
	v_add_co_u32 v12, s0, s2, v12
	v_cmp_lt_u32_e32 vcc_lo, s9, v18
	v_add_co_ci_u32_e64 v13, null, s3, v13, s0
	v_add_co_u32 v14, s0, s2, v14
	v_add_co_ci_u32_e64 v15, null, s3, v15, s0
	v_add_co_u32 v16, s0, s2, v16
	s_add_i32 s12, s12, s11
	v_add_co_ci_u32_e64 v17, null, s3, v17, s0
	s_or_b32 s1, vcc_lo, s1
	s_waitcnt vmcnt(0)
	global_store_dword v[10:11], v6, off
	global_store_dword v[12:13], v7, off
	;; [unrolled: 1-line block ×4, first 2 shown]
	s_andn2_b32 exec_lo, exec_lo, s1
	s_cbranch_execnz .LBB141_3
; %bb.4:
	s_or_b32 exec_lo, exec_lo, s1
.LBB141_5:
	s_or_b32 exec_lo, exec_lo, s5
	v_cmp_gt_u32_e32 vcc_lo, s9, v0
	s_and_b32 exec_lo, exec_lo, vcc_lo
	s_cbranch_execz .LBB141_8
; %bb.6:
	v_mov_b32_e32 v2, 0
	v_mad_u64_u32 v[5:6], null, v0, s4, s[8:9]
	s_mov_b32 s1, 0
	v_mov_b32_e32 v1, v2
	v_lshlrev_b64 v[3:4], 2, v[0:1]
	v_mov_b32_e32 v1, v5
	v_add_co_u32 v3, vcc_lo, s6, v3
	v_add_co_ci_u32_e64 v4, null, s7, v4, vcc_lo
	.p2align	6
.LBB141_7:                              ; =>This Inner Loop Header: Depth=1
	global_load_dword v7, v[3:4], off
	v_lshlrev_b64 v[5:6], 2, v[1:2]
	v_add_nc_u32_e32 v0, 1, v0
	v_add_co_u32 v3, vcc_lo, v3, 4
	v_add_co_ci_u32_e64 v4, null, 0, v4, vcc_lo
	v_cmp_le_u32_e32 vcc_lo, s9, v0
	v_add_co_u32 v5, s0, s2, v5
	v_add_co_ci_u32_e64 v6, null, s3, v6, s0
	v_add_nc_u32_e32 v1, s4, v1
	s_or_b32 s1, vcc_lo, s1
	s_waitcnt vmcnt(0)
	global_store_dword v[5:6], v7, off
	s_andn2_b32 exec_lo, exec_lo, s1
	s_cbranch_execnz .LBB141_7
.LBB141_8:
	s_endpgm
	.section	.rodata,"a",@progbits
	.p2align	6, 0x0
	.amdhsa_kernel _ZN2at6native12_GLOBAL__N_135CatArrayBatchedCopy_alignedK_contigINS1_10OpaqueTypeILj4EEEjLi1ELi64ELi64ELi16EEEvPT_NS1_25CatArrInputTensorMetadataIS5_T0_XT2_EXT3_EEENS1_16TensorSizeStrideIS8_Lj4EEEiS8_
		.amdhsa_group_segment_fixed_size 0
		.amdhsa_private_segment_fixed_size 0
		.amdhsa_kernarg_size 3696
		.amdhsa_user_sgpr_count 6
		.amdhsa_user_sgpr_private_segment_buffer 1
		.amdhsa_user_sgpr_dispatch_ptr 0
		.amdhsa_user_sgpr_queue_ptr 0
		.amdhsa_user_sgpr_kernarg_segment_ptr 1
		.amdhsa_user_sgpr_dispatch_id 0
		.amdhsa_user_sgpr_flat_scratch_init 0
		.amdhsa_user_sgpr_private_segment_size 0
		.amdhsa_wavefront_size32 1
		.amdhsa_uses_dynamic_stack 0
		.amdhsa_system_sgpr_private_segment_wavefront_offset 0
		.amdhsa_system_sgpr_workgroup_id_x 1
		.amdhsa_system_sgpr_workgroup_id_y 1
		.amdhsa_system_sgpr_workgroup_id_z 0
		.amdhsa_system_sgpr_workgroup_info 0
		.amdhsa_system_vgpr_workitem_id 0
		.amdhsa_next_free_vgpr 19
		.amdhsa_next_free_sgpr 14
		.amdhsa_reserve_vcc 1
		.amdhsa_reserve_flat_scratch 0
		.amdhsa_float_round_mode_32 0
		.amdhsa_float_round_mode_16_64 0
		.amdhsa_float_denorm_mode_32 3
		.amdhsa_float_denorm_mode_16_64 3
		.amdhsa_dx10_clamp 1
		.amdhsa_ieee_mode 1
		.amdhsa_fp16_overflow 0
		.amdhsa_workgroup_processor_mode 1
		.amdhsa_memory_ordered 1
		.amdhsa_forward_progress 1
		.amdhsa_shared_vgpr_count 0
		.amdhsa_exception_fp_ieee_invalid_op 0
		.amdhsa_exception_fp_denorm_src 0
		.amdhsa_exception_fp_ieee_div_zero 0
		.amdhsa_exception_fp_ieee_overflow 0
		.amdhsa_exception_fp_ieee_underflow 0
		.amdhsa_exception_fp_ieee_inexact 0
		.amdhsa_exception_int_div_zero 0
	.end_amdhsa_kernel
	.section	.text._ZN2at6native12_GLOBAL__N_135CatArrayBatchedCopy_alignedK_contigINS1_10OpaqueTypeILj4EEEjLi1ELi64ELi64ELi16EEEvPT_NS1_25CatArrInputTensorMetadataIS5_T0_XT2_EXT3_EEENS1_16TensorSizeStrideIS8_Lj4EEEiS8_,"axG",@progbits,_ZN2at6native12_GLOBAL__N_135CatArrayBatchedCopy_alignedK_contigINS1_10OpaqueTypeILj4EEEjLi1ELi64ELi64ELi16EEEvPT_NS1_25CatArrInputTensorMetadataIS5_T0_XT2_EXT3_EEENS1_16TensorSizeStrideIS8_Lj4EEEiS8_,comdat
.Lfunc_end141:
	.size	_ZN2at6native12_GLOBAL__N_135CatArrayBatchedCopy_alignedK_contigINS1_10OpaqueTypeILj4EEEjLi1ELi64ELi64ELi16EEEvPT_NS1_25CatArrInputTensorMetadataIS5_T0_XT2_EXT3_EEENS1_16TensorSizeStrideIS8_Lj4EEEiS8_, .Lfunc_end141-_ZN2at6native12_GLOBAL__N_135CatArrayBatchedCopy_alignedK_contigINS1_10OpaqueTypeILj4EEEjLi1ELi64ELi64ELi16EEEvPT_NS1_25CatArrInputTensorMetadataIS5_T0_XT2_EXT3_EEENS1_16TensorSizeStrideIS8_Lj4EEEiS8_
                                        ; -- End function
	.set _ZN2at6native12_GLOBAL__N_135CatArrayBatchedCopy_alignedK_contigINS1_10OpaqueTypeILj4EEEjLi1ELi64ELi64ELi16EEEvPT_NS1_25CatArrInputTensorMetadataIS5_T0_XT2_EXT3_EEENS1_16TensorSizeStrideIS8_Lj4EEEiS8_.num_vgpr, 19
	.set _ZN2at6native12_GLOBAL__N_135CatArrayBatchedCopy_alignedK_contigINS1_10OpaqueTypeILj4EEEjLi1ELi64ELi64ELi16EEEvPT_NS1_25CatArrInputTensorMetadataIS5_T0_XT2_EXT3_EEENS1_16TensorSizeStrideIS8_Lj4EEEiS8_.num_agpr, 0
	.set _ZN2at6native12_GLOBAL__N_135CatArrayBatchedCopy_alignedK_contigINS1_10OpaqueTypeILj4EEEjLi1ELi64ELi64ELi16EEEvPT_NS1_25CatArrInputTensorMetadataIS5_T0_XT2_EXT3_EEENS1_16TensorSizeStrideIS8_Lj4EEEiS8_.numbered_sgpr, 14
	.set _ZN2at6native12_GLOBAL__N_135CatArrayBatchedCopy_alignedK_contigINS1_10OpaqueTypeILj4EEEjLi1ELi64ELi64ELi16EEEvPT_NS1_25CatArrInputTensorMetadataIS5_T0_XT2_EXT3_EEENS1_16TensorSizeStrideIS8_Lj4EEEiS8_.num_named_barrier, 0
	.set _ZN2at6native12_GLOBAL__N_135CatArrayBatchedCopy_alignedK_contigINS1_10OpaqueTypeILj4EEEjLi1ELi64ELi64ELi16EEEvPT_NS1_25CatArrInputTensorMetadataIS5_T0_XT2_EXT3_EEENS1_16TensorSizeStrideIS8_Lj4EEEiS8_.private_seg_size, 0
	.set _ZN2at6native12_GLOBAL__N_135CatArrayBatchedCopy_alignedK_contigINS1_10OpaqueTypeILj4EEEjLi1ELi64ELi64ELi16EEEvPT_NS1_25CatArrInputTensorMetadataIS5_T0_XT2_EXT3_EEENS1_16TensorSizeStrideIS8_Lj4EEEiS8_.uses_vcc, 1
	.set _ZN2at6native12_GLOBAL__N_135CatArrayBatchedCopy_alignedK_contigINS1_10OpaqueTypeILj4EEEjLi1ELi64ELi64ELi16EEEvPT_NS1_25CatArrInputTensorMetadataIS5_T0_XT2_EXT3_EEENS1_16TensorSizeStrideIS8_Lj4EEEiS8_.uses_flat_scratch, 0
	.set _ZN2at6native12_GLOBAL__N_135CatArrayBatchedCopy_alignedK_contigINS1_10OpaqueTypeILj4EEEjLi1ELi64ELi64ELi16EEEvPT_NS1_25CatArrInputTensorMetadataIS5_T0_XT2_EXT3_EEENS1_16TensorSizeStrideIS8_Lj4EEEiS8_.has_dyn_sized_stack, 0
	.set _ZN2at6native12_GLOBAL__N_135CatArrayBatchedCopy_alignedK_contigINS1_10OpaqueTypeILj4EEEjLi1ELi64ELi64ELi16EEEvPT_NS1_25CatArrInputTensorMetadataIS5_T0_XT2_EXT3_EEENS1_16TensorSizeStrideIS8_Lj4EEEiS8_.has_recursion, 0
	.set _ZN2at6native12_GLOBAL__N_135CatArrayBatchedCopy_alignedK_contigINS1_10OpaqueTypeILj4EEEjLi1ELi64ELi64ELi16EEEvPT_NS1_25CatArrInputTensorMetadataIS5_T0_XT2_EXT3_EEENS1_16TensorSizeStrideIS8_Lj4EEEiS8_.has_indirect_call, 0
	.section	.AMDGPU.csdata,"",@progbits
; Kernel info:
; codeLenInByte = 664
; TotalNumSgprs: 16
; NumVgprs: 19
; ScratchSize: 0
; MemoryBound: 0
; FloatMode: 240
; IeeeMode: 1
; LDSByteSize: 0 bytes/workgroup (compile time only)
; SGPRBlocks: 0
; VGPRBlocks: 2
; NumSGPRsForWavesPerEU: 16
; NumVGPRsForWavesPerEU: 19
; Occupancy: 16
; WaveLimiterHint : 1
; COMPUTE_PGM_RSRC2:SCRATCH_EN: 0
; COMPUTE_PGM_RSRC2:USER_SGPR: 6
; COMPUTE_PGM_RSRC2:TRAP_HANDLER: 0
; COMPUTE_PGM_RSRC2:TGID_X_EN: 1
; COMPUTE_PGM_RSRC2:TGID_Y_EN: 1
; COMPUTE_PGM_RSRC2:TGID_Z_EN: 0
; COMPUTE_PGM_RSRC2:TIDIG_COMP_CNT: 0
	.section	.text._ZN2at6native12_GLOBAL__N_135CatArrayBatchedCopy_alignedK_contigINS1_10OpaqueTypeILj4EEEjLi1ELi64ELi64ELi8EEEvPT_NS1_25CatArrInputTensorMetadataIS5_T0_XT2_EXT3_EEENS1_16TensorSizeStrideIS8_Lj4EEEiS8_,"axG",@progbits,_ZN2at6native12_GLOBAL__N_135CatArrayBatchedCopy_alignedK_contigINS1_10OpaqueTypeILj4EEEjLi1ELi64ELi64ELi8EEEvPT_NS1_25CatArrInputTensorMetadataIS5_T0_XT2_EXT3_EEENS1_16TensorSizeStrideIS8_Lj4EEEiS8_,comdat
	.globl	_ZN2at6native12_GLOBAL__N_135CatArrayBatchedCopy_alignedK_contigINS1_10OpaqueTypeILj4EEEjLi1ELi64ELi64ELi8EEEvPT_NS1_25CatArrInputTensorMetadataIS5_T0_XT2_EXT3_EEENS1_16TensorSizeStrideIS8_Lj4EEEiS8_ ; -- Begin function _ZN2at6native12_GLOBAL__N_135CatArrayBatchedCopy_alignedK_contigINS1_10OpaqueTypeILj4EEEjLi1ELi64ELi64ELi8EEEvPT_NS1_25CatArrInputTensorMetadataIS5_T0_XT2_EXT3_EEENS1_16TensorSizeStrideIS8_Lj4EEEiS8_
	.p2align	8
	.type	_ZN2at6native12_GLOBAL__N_135CatArrayBatchedCopy_alignedK_contigINS1_10OpaqueTypeILj4EEEjLi1ELi64ELi64ELi8EEEvPT_NS1_25CatArrInputTensorMetadataIS5_T0_XT2_EXT3_EEENS1_16TensorSizeStrideIS8_Lj4EEEiS8_,@function
_ZN2at6native12_GLOBAL__N_135CatArrayBatchedCopy_alignedK_contigINS1_10OpaqueTypeILj4EEEjLi1ELi64ELi64ELi8EEEvPT_NS1_25CatArrInputTensorMetadataIS5_T0_XT2_EXT3_EEENS1_16TensorSizeStrideIS8_Lj4EEEiS8_: ; @_ZN2at6native12_GLOBAL__N_135CatArrayBatchedCopy_alignedK_contigINS1_10OpaqueTypeILj4EEEjLi1ELi64ELi64ELi8EEEvPT_NS1_25CatArrInputTensorMetadataIS5_T0_XT2_EXT3_EEENS1_16TensorSizeStrideIS8_Lj4EEEiS8_
; %bb.0:
	s_mov_b32 s2, s7
	s_load_dword s7, s[4:5], 0xd7c
	s_mov_b32 s3, 0
	s_add_u32 s0, s4, 0xd70
	s_addc_u32 s1, s5, 0
	s_lshl_b64 s[2:3], s[2:3], 2
	s_mov_b32 s8, exec_lo
	s_waitcnt lgkmcnt(0)
	s_and_b32 s10, s7, 0xffff
	s_add_u32 s12, s4, s2
	s_addc_u32 s13, s5, s3
	v_mad_u64_u32 v[1:2], null, s6, s10, v[0:1]
	s_load_dword s9, s[12:13], 0x408
	s_add_u32 s6, s12, 8
	s_addc_u32 s7, s13, 0
	v_lshlrev_b32_e32 v0, 1, v1
	s_waitcnt lgkmcnt(0)
	v_cmpx_gt_u32_e64 s9, v0
	s_cbranch_execz .LBB142_8
; %bb.1:
	s_add_u32 s6, s6, s2
	s_addc_u32 s7, s7, s3
	s_sub_u32 s2, 0, s2
	s_subb_u32 s3, 0, s3
	s_add_u32 s2, s6, s2
	s_addc_u32 s3, s7, s3
	v_add_nc_u32_e32 v2, 2, v0
	s_clause 0x4
	s_load_dword s8, s[2:3], 0x200
	s_load_dwordx2 s[2:3], s[4:5], 0x0
	s_load_dword s11, s[4:5], 0xd6c
	s_load_dwordx2 s[6:7], s[6:7], 0x0
	s_load_dword s4, s[4:5], 0xd58
	s_mov_b32 s5, exec_lo
	s_waitcnt lgkmcnt(0)
	s_mul_i32 s8, s8, s11
	v_cmpx_ge_u32_e64 s9, v2
	s_cbranch_execz .LBB142_5
; %bb.2:
	s_load_dword s0, s[0:1], 0x0
	v_mul_lo_u32 v4, s4, v1
	v_mad_u64_u32 v[2:3], null, s4, v0, s[4:5]
	v_mov_b32_e32 v1, 0
	s_mov_b32 s1, 0
	s_mov_b32 s12, s8
	v_lshlrev_b32_e32 v3, 1, v4
	s_waitcnt lgkmcnt(0)
	s_mul_i32 s0, s0, s10
	s_mul_i32 s11, s0, s4
	s_lshl_b32 s10, s0, 1
	s_lshl_b32 s11, s11, 1
	s_inst_prefetch 0x1
	.p2align	6
.LBB142_3:                              ; =>This Inner Loop Header: Depth=1
	v_lshlrev_b64 v[4:5], 2, v[0:1]
	v_add_nc_u32_e32 v6, s12, v3
	v_mov_b32_e32 v7, v1
	v_add_nc_u32_e32 v0, s10, v0
	v_add_nc_u32_e32 v8, s12, v2
	v_mov_b32_e32 v9, v1
	v_add_co_u32 v4, vcc_lo, s6, v4
	v_add_co_ci_u32_e64 v5, null, s7, v5, vcc_lo
	v_lshlrev_b64 v[6:7], 2, v[6:7]
	v_add_nc_u32_e32 v10, 2, v0
	v_lshlrev_b64 v[8:9], 2, v[8:9]
	global_load_dwordx2 v[4:5], v[4:5], off
	s_add_i32 s12, s12, s11
	v_add_co_u32 v6, s0, s2, v6
	v_cmp_lt_u32_e32 vcc_lo, s9, v10
	v_add_co_ci_u32_e64 v7, null, s3, v7, s0
	v_add_co_u32 v8, s0, s2, v8
	v_add_co_ci_u32_e64 v9, null, s3, v9, s0
	s_or_b32 s1, vcc_lo, s1
	s_waitcnt vmcnt(0)
	global_store_dword v[6:7], v4, off
	global_store_dword v[8:9], v5, off
	s_andn2_b32 exec_lo, exec_lo, s1
	s_cbranch_execnz .LBB142_3
; %bb.4:
	s_inst_prefetch 0x2
	s_or_b32 exec_lo, exec_lo, s1
.LBB142_5:
	s_or_b32 exec_lo, exec_lo, s5
	v_cmp_gt_u32_e32 vcc_lo, s9, v0
	s_and_b32 exec_lo, exec_lo, vcc_lo
	s_cbranch_execz .LBB142_8
; %bb.6:
	v_mov_b32_e32 v2, 0
	v_mad_u64_u32 v[5:6], null, v0, s4, s[8:9]
	s_mov_b32 s1, 0
	v_mov_b32_e32 v1, v2
	v_lshlrev_b64 v[3:4], 2, v[0:1]
	v_mov_b32_e32 v1, v5
	v_add_co_u32 v3, vcc_lo, s6, v3
	v_add_co_ci_u32_e64 v4, null, s7, v4, vcc_lo
	.p2align	6
.LBB142_7:                              ; =>This Inner Loop Header: Depth=1
	global_load_dword v7, v[3:4], off
	v_lshlrev_b64 v[5:6], 2, v[1:2]
	v_add_nc_u32_e32 v0, 1, v0
	v_add_co_u32 v3, vcc_lo, v3, 4
	v_add_co_ci_u32_e64 v4, null, 0, v4, vcc_lo
	v_cmp_le_u32_e32 vcc_lo, s9, v0
	v_add_co_u32 v5, s0, s2, v5
	v_add_co_ci_u32_e64 v6, null, s3, v6, s0
	v_add_nc_u32_e32 v1, s4, v1
	s_or_b32 s1, vcc_lo, s1
	s_waitcnt vmcnt(0)
	global_store_dword v[5:6], v7, off
	s_andn2_b32 exec_lo, exec_lo, s1
	s_cbranch_execnz .LBB142_7
.LBB142_8:
	s_endpgm
	.section	.rodata,"a",@progbits
	.p2align	6, 0x0
	.amdhsa_kernel _ZN2at6native12_GLOBAL__N_135CatArrayBatchedCopy_alignedK_contigINS1_10OpaqueTypeILj4EEEjLi1ELi64ELi64ELi8EEEvPT_NS1_25CatArrInputTensorMetadataIS5_T0_XT2_EXT3_EEENS1_16TensorSizeStrideIS8_Lj4EEEiS8_
		.amdhsa_group_segment_fixed_size 0
		.amdhsa_private_segment_fixed_size 0
		.amdhsa_kernarg_size 3696
		.amdhsa_user_sgpr_count 6
		.amdhsa_user_sgpr_private_segment_buffer 1
		.amdhsa_user_sgpr_dispatch_ptr 0
		.amdhsa_user_sgpr_queue_ptr 0
		.amdhsa_user_sgpr_kernarg_segment_ptr 1
		.amdhsa_user_sgpr_dispatch_id 0
		.amdhsa_user_sgpr_flat_scratch_init 0
		.amdhsa_user_sgpr_private_segment_size 0
		.amdhsa_wavefront_size32 1
		.amdhsa_uses_dynamic_stack 0
		.amdhsa_system_sgpr_private_segment_wavefront_offset 0
		.amdhsa_system_sgpr_workgroup_id_x 1
		.amdhsa_system_sgpr_workgroup_id_y 1
		.amdhsa_system_sgpr_workgroup_id_z 0
		.amdhsa_system_sgpr_workgroup_info 0
		.amdhsa_system_vgpr_workitem_id 0
		.amdhsa_next_free_vgpr 11
		.amdhsa_next_free_sgpr 14
		.amdhsa_reserve_vcc 1
		.amdhsa_reserve_flat_scratch 0
		.amdhsa_float_round_mode_32 0
		.amdhsa_float_round_mode_16_64 0
		.amdhsa_float_denorm_mode_32 3
		.amdhsa_float_denorm_mode_16_64 3
		.amdhsa_dx10_clamp 1
		.amdhsa_ieee_mode 1
		.amdhsa_fp16_overflow 0
		.amdhsa_workgroup_processor_mode 1
		.amdhsa_memory_ordered 1
		.amdhsa_forward_progress 1
		.amdhsa_shared_vgpr_count 0
		.amdhsa_exception_fp_ieee_invalid_op 0
		.amdhsa_exception_fp_denorm_src 0
		.amdhsa_exception_fp_ieee_div_zero 0
		.amdhsa_exception_fp_ieee_overflow 0
		.amdhsa_exception_fp_ieee_underflow 0
		.amdhsa_exception_fp_ieee_inexact 0
		.amdhsa_exception_int_div_zero 0
	.end_amdhsa_kernel
	.section	.text._ZN2at6native12_GLOBAL__N_135CatArrayBatchedCopy_alignedK_contigINS1_10OpaqueTypeILj4EEEjLi1ELi64ELi64ELi8EEEvPT_NS1_25CatArrInputTensorMetadataIS5_T0_XT2_EXT3_EEENS1_16TensorSizeStrideIS8_Lj4EEEiS8_,"axG",@progbits,_ZN2at6native12_GLOBAL__N_135CatArrayBatchedCopy_alignedK_contigINS1_10OpaqueTypeILj4EEEjLi1ELi64ELi64ELi8EEEvPT_NS1_25CatArrInputTensorMetadataIS5_T0_XT2_EXT3_EEENS1_16TensorSizeStrideIS8_Lj4EEEiS8_,comdat
.Lfunc_end142:
	.size	_ZN2at6native12_GLOBAL__N_135CatArrayBatchedCopy_alignedK_contigINS1_10OpaqueTypeILj4EEEjLi1ELi64ELi64ELi8EEEvPT_NS1_25CatArrInputTensorMetadataIS5_T0_XT2_EXT3_EEENS1_16TensorSizeStrideIS8_Lj4EEEiS8_, .Lfunc_end142-_ZN2at6native12_GLOBAL__N_135CatArrayBatchedCopy_alignedK_contigINS1_10OpaqueTypeILj4EEEjLi1ELi64ELi64ELi8EEEvPT_NS1_25CatArrInputTensorMetadataIS5_T0_XT2_EXT3_EEENS1_16TensorSizeStrideIS8_Lj4EEEiS8_
                                        ; -- End function
	.set _ZN2at6native12_GLOBAL__N_135CatArrayBatchedCopy_alignedK_contigINS1_10OpaqueTypeILj4EEEjLi1ELi64ELi64ELi8EEEvPT_NS1_25CatArrInputTensorMetadataIS5_T0_XT2_EXT3_EEENS1_16TensorSizeStrideIS8_Lj4EEEiS8_.num_vgpr, 11
	.set _ZN2at6native12_GLOBAL__N_135CatArrayBatchedCopy_alignedK_contigINS1_10OpaqueTypeILj4EEEjLi1ELi64ELi64ELi8EEEvPT_NS1_25CatArrInputTensorMetadataIS5_T0_XT2_EXT3_EEENS1_16TensorSizeStrideIS8_Lj4EEEiS8_.num_agpr, 0
	.set _ZN2at6native12_GLOBAL__N_135CatArrayBatchedCopy_alignedK_contigINS1_10OpaqueTypeILj4EEEjLi1ELi64ELi64ELi8EEEvPT_NS1_25CatArrInputTensorMetadataIS5_T0_XT2_EXT3_EEENS1_16TensorSizeStrideIS8_Lj4EEEiS8_.numbered_sgpr, 14
	.set _ZN2at6native12_GLOBAL__N_135CatArrayBatchedCopy_alignedK_contigINS1_10OpaqueTypeILj4EEEjLi1ELi64ELi64ELi8EEEvPT_NS1_25CatArrInputTensorMetadataIS5_T0_XT2_EXT3_EEENS1_16TensorSizeStrideIS8_Lj4EEEiS8_.num_named_barrier, 0
	.set _ZN2at6native12_GLOBAL__N_135CatArrayBatchedCopy_alignedK_contigINS1_10OpaqueTypeILj4EEEjLi1ELi64ELi64ELi8EEEvPT_NS1_25CatArrInputTensorMetadataIS5_T0_XT2_EXT3_EEENS1_16TensorSizeStrideIS8_Lj4EEEiS8_.private_seg_size, 0
	.set _ZN2at6native12_GLOBAL__N_135CatArrayBatchedCopy_alignedK_contigINS1_10OpaqueTypeILj4EEEjLi1ELi64ELi64ELi8EEEvPT_NS1_25CatArrInputTensorMetadataIS5_T0_XT2_EXT3_EEENS1_16TensorSizeStrideIS8_Lj4EEEiS8_.uses_vcc, 1
	.set _ZN2at6native12_GLOBAL__N_135CatArrayBatchedCopy_alignedK_contigINS1_10OpaqueTypeILj4EEEjLi1ELi64ELi64ELi8EEEvPT_NS1_25CatArrInputTensorMetadataIS5_T0_XT2_EXT3_EEENS1_16TensorSizeStrideIS8_Lj4EEEiS8_.uses_flat_scratch, 0
	.set _ZN2at6native12_GLOBAL__N_135CatArrayBatchedCopy_alignedK_contigINS1_10OpaqueTypeILj4EEEjLi1ELi64ELi64ELi8EEEvPT_NS1_25CatArrInputTensorMetadataIS5_T0_XT2_EXT3_EEENS1_16TensorSizeStrideIS8_Lj4EEEiS8_.has_dyn_sized_stack, 0
	.set _ZN2at6native12_GLOBAL__N_135CatArrayBatchedCopy_alignedK_contigINS1_10OpaqueTypeILj4EEEjLi1ELi64ELi64ELi8EEEvPT_NS1_25CatArrInputTensorMetadataIS5_T0_XT2_EXT3_EEENS1_16TensorSizeStrideIS8_Lj4EEEiS8_.has_recursion, 0
	.set _ZN2at6native12_GLOBAL__N_135CatArrayBatchedCopy_alignedK_contigINS1_10OpaqueTypeILj4EEEjLi1ELi64ELi64ELi8EEEvPT_NS1_25CatArrInputTensorMetadataIS5_T0_XT2_EXT3_EEENS1_16TensorSizeStrideIS8_Lj4EEEiS8_.has_indirect_call, 0
	.section	.AMDGPU.csdata,"",@progbits
; Kernel info:
; codeLenInByte = 664
; TotalNumSgprs: 16
; NumVgprs: 11
; ScratchSize: 0
; MemoryBound: 0
; FloatMode: 240
; IeeeMode: 1
; LDSByteSize: 0 bytes/workgroup (compile time only)
; SGPRBlocks: 0
; VGPRBlocks: 1
; NumSGPRsForWavesPerEU: 16
; NumVGPRsForWavesPerEU: 11
; Occupancy: 16
; WaveLimiterHint : 1
; COMPUTE_PGM_RSRC2:SCRATCH_EN: 0
; COMPUTE_PGM_RSRC2:USER_SGPR: 6
; COMPUTE_PGM_RSRC2:TRAP_HANDLER: 0
; COMPUTE_PGM_RSRC2:TGID_X_EN: 1
; COMPUTE_PGM_RSRC2:TGID_Y_EN: 1
; COMPUTE_PGM_RSRC2:TGID_Z_EN: 0
; COMPUTE_PGM_RSRC2:TIDIG_COMP_CNT: 0
	.section	.text._ZN2at6native12_GLOBAL__N_126CatArrayBatchedCopy_contigINS1_10OpaqueTypeILj4EEEjLi1ELi64ELi64EEEvPT_NS1_25CatArrInputTensorMetadataIS5_T0_XT2_EXT3_EEENS1_16TensorSizeStrideIS8_Lj4EEEiS8_,"axG",@progbits,_ZN2at6native12_GLOBAL__N_126CatArrayBatchedCopy_contigINS1_10OpaqueTypeILj4EEEjLi1ELi64ELi64EEEvPT_NS1_25CatArrInputTensorMetadataIS5_T0_XT2_EXT3_EEENS1_16TensorSizeStrideIS8_Lj4EEEiS8_,comdat
	.globl	_ZN2at6native12_GLOBAL__N_126CatArrayBatchedCopy_contigINS1_10OpaqueTypeILj4EEEjLi1ELi64ELi64EEEvPT_NS1_25CatArrInputTensorMetadataIS5_T0_XT2_EXT3_EEENS1_16TensorSizeStrideIS8_Lj4EEEiS8_ ; -- Begin function _ZN2at6native12_GLOBAL__N_126CatArrayBatchedCopy_contigINS1_10OpaqueTypeILj4EEEjLi1ELi64ELi64EEEvPT_NS1_25CatArrInputTensorMetadataIS5_T0_XT2_EXT3_EEENS1_16TensorSizeStrideIS8_Lj4EEEiS8_
	.p2align	8
	.type	_ZN2at6native12_GLOBAL__N_126CatArrayBatchedCopy_contigINS1_10OpaqueTypeILj4EEEjLi1ELi64ELi64EEEvPT_NS1_25CatArrInputTensorMetadataIS5_T0_XT2_EXT3_EEENS1_16TensorSizeStrideIS8_Lj4EEEiS8_,@function
_ZN2at6native12_GLOBAL__N_126CatArrayBatchedCopy_contigINS1_10OpaqueTypeILj4EEEjLi1ELi64ELi64EEEvPT_NS1_25CatArrInputTensorMetadataIS5_T0_XT2_EXT3_EEENS1_16TensorSizeStrideIS8_Lj4EEEiS8_: ; @_ZN2at6native12_GLOBAL__N_126CatArrayBatchedCopy_contigINS1_10OpaqueTypeILj4EEEjLi1ELi64ELi64EEEvPT_NS1_25CatArrInputTensorMetadataIS5_T0_XT2_EXT3_EEENS1_16TensorSizeStrideIS8_Lj4EEEiS8_
; %bb.0:
	s_load_dword s2, s[4:5], 0xd7c
	s_mov_b32 s0, s7
	s_mov_b32 s1, 0
	s_add_u32 s8, s4, 0xd70
	s_addc_u32 s9, s5, 0
	s_lshl_b64 s[10:11], s[0:1], 2
	s_waitcnt lgkmcnt(0)
	s_and_b32 s0, s2, 0xffff
	s_add_u32 s2, s4, s10
	s_addc_u32 s3, s5, s11
	v_mad_u64_u32 v[0:1], null, s6, s0, v[0:1]
	s_load_dword s7, s[2:3], 0x408
	s_add_u32 s2, s2, 8
	s_addc_u32 s3, s3, 0
	s_mov_b32 s6, exec_lo
	s_waitcnt lgkmcnt(0)
	v_cmpx_gt_u32_e64 s7, v0
	s_cbranch_execz .LBB143_3
; %bb.1:
	s_add_u32 s12, s2, s10
	s_addc_u32 s13, s3, s11
	s_sub_u32 s6, 0, s10
	s_clause 0x1
	s_load_dwordx2 s[2:3], s[12:13], 0x0
	s_load_dword s14, s[4:5], 0xd58
	s_subb_u32 s11, 0, s11
	s_add_u32 s10, s12, s6
	s_addc_u32 s11, s13, s11
	s_clause 0x1
	s_load_dword s6, s[4:5], 0xd6c
	s_load_dword s10, s[10:11], 0x200
	;; [unrolled: 1-line block ×3, first 2 shown]
	s_load_dwordx2 s[4:5], s[4:5], 0x0
	s_waitcnt lgkmcnt(0)
	v_mul_lo_u32 v1, s14, v0
	v_mad_u64_u32 v[2:3], null, s10, s6, v[1:2]
	v_mov_b32_e32 v1, 0
	s_mul_i32 s6, s8, s0
	s_mul_i32 s8, s6, s14
	.p2align	6
.LBB143_2:                              ; =>This Inner Loop Header: Depth=1
	v_lshlrev_b64 v[3:4], 2, v[0:1]
	v_add_nc_u32_e32 v0, s6, v0
	v_add_co_u32 v3, vcc_lo, s2, v3
	v_add_co_ci_u32_e64 v4, null, s3, v4, vcc_lo
	v_cmp_le_u32_e32 vcc_lo, s7, v0
	global_load_dword v5, v[3:4], off
	v_mov_b32_e32 v3, v1
	s_or_b32 s1, vcc_lo, s1
	v_lshlrev_b64 v[3:4], 2, v[2:3]
	v_add_nc_u32_e32 v2, s8, v2
	v_add_co_u32 v3, s0, s4, v3
	v_add_co_ci_u32_e64 v4, null, s5, v4, s0
	s_waitcnt vmcnt(0)
	global_store_dword v[3:4], v5, off
	s_andn2_b32 exec_lo, exec_lo, s1
	s_cbranch_execnz .LBB143_2
.LBB143_3:
	s_endpgm
	.section	.rodata,"a",@progbits
	.p2align	6, 0x0
	.amdhsa_kernel _ZN2at6native12_GLOBAL__N_126CatArrayBatchedCopy_contigINS1_10OpaqueTypeILj4EEEjLi1ELi64ELi64EEEvPT_NS1_25CatArrInputTensorMetadataIS5_T0_XT2_EXT3_EEENS1_16TensorSizeStrideIS8_Lj4EEEiS8_
		.amdhsa_group_segment_fixed_size 0
		.amdhsa_private_segment_fixed_size 0
		.amdhsa_kernarg_size 3696
		.amdhsa_user_sgpr_count 6
		.amdhsa_user_sgpr_private_segment_buffer 1
		.amdhsa_user_sgpr_dispatch_ptr 0
		.amdhsa_user_sgpr_queue_ptr 0
		.amdhsa_user_sgpr_kernarg_segment_ptr 1
		.amdhsa_user_sgpr_dispatch_id 0
		.amdhsa_user_sgpr_flat_scratch_init 0
		.amdhsa_user_sgpr_private_segment_size 0
		.amdhsa_wavefront_size32 1
		.amdhsa_uses_dynamic_stack 0
		.amdhsa_system_sgpr_private_segment_wavefront_offset 0
		.amdhsa_system_sgpr_workgroup_id_x 1
		.amdhsa_system_sgpr_workgroup_id_y 1
		.amdhsa_system_sgpr_workgroup_id_z 0
		.amdhsa_system_sgpr_workgroup_info 0
		.amdhsa_system_vgpr_workitem_id 0
		.amdhsa_next_free_vgpr 6
		.amdhsa_next_free_sgpr 15
		.amdhsa_reserve_vcc 1
		.amdhsa_reserve_flat_scratch 0
		.amdhsa_float_round_mode_32 0
		.amdhsa_float_round_mode_16_64 0
		.amdhsa_float_denorm_mode_32 3
		.amdhsa_float_denorm_mode_16_64 3
		.amdhsa_dx10_clamp 1
		.amdhsa_ieee_mode 1
		.amdhsa_fp16_overflow 0
		.amdhsa_workgroup_processor_mode 1
		.amdhsa_memory_ordered 1
		.amdhsa_forward_progress 1
		.amdhsa_shared_vgpr_count 0
		.amdhsa_exception_fp_ieee_invalid_op 0
		.amdhsa_exception_fp_denorm_src 0
		.amdhsa_exception_fp_ieee_div_zero 0
		.amdhsa_exception_fp_ieee_overflow 0
		.amdhsa_exception_fp_ieee_underflow 0
		.amdhsa_exception_fp_ieee_inexact 0
		.amdhsa_exception_int_div_zero 0
	.end_amdhsa_kernel
	.section	.text._ZN2at6native12_GLOBAL__N_126CatArrayBatchedCopy_contigINS1_10OpaqueTypeILj4EEEjLi1ELi64ELi64EEEvPT_NS1_25CatArrInputTensorMetadataIS5_T0_XT2_EXT3_EEENS1_16TensorSizeStrideIS8_Lj4EEEiS8_,"axG",@progbits,_ZN2at6native12_GLOBAL__N_126CatArrayBatchedCopy_contigINS1_10OpaqueTypeILj4EEEjLi1ELi64ELi64EEEvPT_NS1_25CatArrInputTensorMetadataIS5_T0_XT2_EXT3_EEENS1_16TensorSizeStrideIS8_Lj4EEEiS8_,comdat
.Lfunc_end143:
	.size	_ZN2at6native12_GLOBAL__N_126CatArrayBatchedCopy_contigINS1_10OpaqueTypeILj4EEEjLi1ELi64ELi64EEEvPT_NS1_25CatArrInputTensorMetadataIS5_T0_XT2_EXT3_EEENS1_16TensorSizeStrideIS8_Lj4EEEiS8_, .Lfunc_end143-_ZN2at6native12_GLOBAL__N_126CatArrayBatchedCopy_contigINS1_10OpaqueTypeILj4EEEjLi1ELi64ELi64EEEvPT_NS1_25CatArrInputTensorMetadataIS5_T0_XT2_EXT3_EEENS1_16TensorSizeStrideIS8_Lj4EEEiS8_
                                        ; -- End function
	.set _ZN2at6native12_GLOBAL__N_126CatArrayBatchedCopy_contigINS1_10OpaqueTypeILj4EEEjLi1ELi64ELi64EEEvPT_NS1_25CatArrInputTensorMetadataIS5_T0_XT2_EXT3_EEENS1_16TensorSizeStrideIS8_Lj4EEEiS8_.num_vgpr, 6
	.set _ZN2at6native12_GLOBAL__N_126CatArrayBatchedCopy_contigINS1_10OpaqueTypeILj4EEEjLi1ELi64ELi64EEEvPT_NS1_25CatArrInputTensorMetadataIS5_T0_XT2_EXT3_EEENS1_16TensorSizeStrideIS8_Lj4EEEiS8_.num_agpr, 0
	.set _ZN2at6native12_GLOBAL__N_126CatArrayBatchedCopy_contigINS1_10OpaqueTypeILj4EEEjLi1ELi64ELi64EEEvPT_NS1_25CatArrInputTensorMetadataIS5_T0_XT2_EXT3_EEENS1_16TensorSizeStrideIS8_Lj4EEEiS8_.numbered_sgpr, 15
	.set _ZN2at6native12_GLOBAL__N_126CatArrayBatchedCopy_contigINS1_10OpaqueTypeILj4EEEjLi1ELi64ELi64EEEvPT_NS1_25CatArrInputTensorMetadataIS5_T0_XT2_EXT3_EEENS1_16TensorSizeStrideIS8_Lj4EEEiS8_.num_named_barrier, 0
	.set _ZN2at6native12_GLOBAL__N_126CatArrayBatchedCopy_contigINS1_10OpaqueTypeILj4EEEjLi1ELi64ELi64EEEvPT_NS1_25CatArrInputTensorMetadataIS5_T0_XT2_EXT3_EEENS1_16TensorSizeStrideIS8_Lj4EEEiS8_.private_seg_size, 0
	.set _ZN2at6native12_GLOBAL__N_126CatArrayBatchedCopy_contigINS1_10OpaqueTypeILj4EEEjLi1ELi64ELi64EEEvPT_NS1_25CatArrInputTensorMetadataIS5_T0_XT2_EXT3_EEENS1_16TensorSizeStrideIS8_Lj4EEEiS8_.uses_vcc, 1
	.set _ZN2at6native12_GLOBAL__N_126CatArrayBatchedCopy_contigINS1_10OpaqueTypeILj4EEEjLi1ELi64ELi64EEEvPT_NS1_25CatArrInputTensorMetadataIS5_T0_XT2_EXT3_EEENS1_16TensorSizeStrideIS8_Lj4EEEiS8_.uses_flat_scratch, 0
	.set _ZN2at6native12_GLOBAL__N_126CatArrayBatchedCopy_contigINS1_10OpaqueTypeILj4EEEjLi1ELi64ELi64EEEvPT_NS1_25CatArrInputTensorMetadataIS5_T0_XT2_EXT3_EEENS1_16TensorSizeStrideIS8_Lj4EEEiS8_.has_dyn_sized_stack, 0
	.set _ZN2at6native12_GLOBAL__N_126CatArrayBatchedCopy_contigINS1_10OpaqueTypeILj4EEEjLi1ELi64ELi64EEEvPT_NS1_25CatArrInputTensorMetadataIS5_T0_XT2_EXT3_EEENS1_16TensorSizeStrideIS8_Lj4EEEiS8_.has_recursion, 0
	.set _ZN2at6native12_GLOBAL__N_126CatArrayBatchedCopy_contigINS1_10OpaqueTypeILj4EEEjLi1ELi64ELi64EEEvPT_NS1_25CatArrInputTensorMetadataIS5_T0_XT2_EXT3_EEENS1_16TensorSizeStrideIS8_Lj4EEEiS8_.has_indirect_call, 0
	.section	.AMDGPU.csdata,"",@progbits
; Kernel info:
; codeLenInByte = 356
; TotalNumSgprs: 17
; NumVgprs: 6
; ScratchSize: 0
; MemoryBound: 0
; FloatMode: 240
; IeeeMode: 1
; LDSByteSize: 0 bytes/workgroup (compile time only)
; SGPRBlocks: 0
; VGPRBlocks: 0
; NumSGPRsForWavesPerEU: 17
; NumVGPRsForWavesPerEU: 6
; Occupancy: 16
; WaveLimiterHint : 1
; COMPUTE_PGM_RSRC2:SCRATCH_EN: 0
; COMPUTE_PGM_RSRC2:USER_SGPR: 6
; COMPUTE_PGM_RSRC2:TRAP_HANDLER: 0
; COMPUTE_PGM_RSRC2:TGID_X_EN: 1
; COMPUTE_PGM_RSRC2:TGID_Y_EN: 1
; COMPUTE_PGM_RSRC2:TGID_Z_EN: 0
; COMPUTE_PGM_RSRC2:TIDIG_COMP_CNT: 0
	.section	.text._ZN2at6native12_GLOBAL__N_119CatArrayBatchedCopyINS1_10OpaqueTypeILj4EEEjLi1ELi64ELi64EEEvPT_NS1_25CatArrInputTensorMetadataIS5_T0_XT2_EXT3_EEENS1_16TensorSizeStrideIS8_Lj4EEEiS8_,"axG",@progbits,_ZN2at6native12_GLOBAL__N_119CatArrayBatchedCopyINS1_10OpaqueTypeILj4EEEjLi1ELi64ELi64EEEvPT_NS1_25CatArrInputTensorMetadataIS5_T0_XT2_EXT3_EEENS1_16TensorSizeStrideIS8_Lj4EEEiS8_,comdat
	.globl	_ZN2at6native12_GLOBAL__N_119CatArrayBatchedCopyINS1_10OpaqueTypeILj4EEEjLi1ELi64ELi64EEEvPT_NS1_25CatArrInputTensorMetadataIS5_T0_XT2_EXT3_EEENS1_16TensorSizeStrideIS8_Lj4EEEiS8_ ; -- Begin function _ZN2at6native12_GLOBAL__N_119CatArrayBatchedCopyINS1_10OpaqueTypeILj4EEEjLi1ELi64ELi64EEEvPT_NS1_25CatArrInputTensorMetadataIS5_T0_XT2_EXT3_EEENS1_16TensorSizeStrideIS8_Lj4EEEiS8_
	.p2align	8
	.type	_ZN2at6native12_GLOBAL__N_119CatArrayBatchedCopyINS1_10OpaqueTypeILj4EEEjLi1ELi64ELi64EEEvPT_NS1_25CatArrInputTensorMetadataIS5_T0_XT2_EXT3_EEENS1_16TensorSizeStrideIS8_Lj4EEEiS8_,@function
_ZN2at6native12_GLOBAL__N_119CatArrayBatchedCopyINS1_10OpaqueTypeILj4EEEjLi1ELi64ELi64EEEvPT_NS1_25CatArrInputTensorMetadataIS5_T0_XT2_EXT3_EEENS1_16TensorSizeStrideIS8_Lj4EEEiS8_: ; @_ZN2at6native12_GLOBAL__N_119CatArrayBatchedCopyINS1_10OpaqueTypeILj4EEEjLi1ELi64ELi64EEEvPT_NS1_25CatArrInputTensorMetadataIS5_T0_XT2_EXT3_EEENS1_16TensorSizeStrideIS8_Lj4EEEiS8_
; %bb.0:
	s_mov_b32 s0, s7
	s_load_dword s7, s[4:5], 0xd7c
	s_or_b32 s13, s4, 8
	s_mov_b32 s1, 0
	s_add_u32 s2, s4, 0xd70
	s_addc_u32 s3, s5, 0
	s_lshl_b64 s[8:9], s[0:1], 2
	s_mov_b32 s14, exec_lo
	s_waitcnt lgkmcnt(0)
	s_and_b32 s12, s7, 0xffff
	s_add_u32 s10, s13, s8
	s_addc_u32 s11, s5, s9
	v_mad_u64_u32 v[0:1], null, s6, s12, v[0:1]
	s_load_dword s7, s[10:11], 0x400
	s_waitcnt lgkmcnt(0)
	v_cmpx_gt_u32_e64 s7, v0
	s_cbranch_execz .LBB144_3
; %bb.1:
	s_mul_i32 s14, s0, 28
	s_mul_hi_u32 s15, s0, 28
	s_add_u32 s10, s10, s14
	v_mov_b32_e32 v2, 0
	s_addc_u32 s11, s11, s15
	s_add_u32 s14, s13, s0
	s_addc_u32 s15, s5, 0
	s_mul_i32 s13, s0, 7
	global_load_ubyte v1, v2, s[14:15] offset:1280
	s_clause 0x1
	s_load_dword s16, s[10:11], 0x550
	s_load_dword s17, s[4:5], 0xd58
	s_mul_hi_u32 s0, s0, 7
	s_waitcnt lgkmcnt(0)
	v_mul_lo_u32 v3, s17, v0
	s_waitcnt vmcnt(0)
	v_readfirstlane_b32 s6, v1
	s_and_b32 s6, 1, s6
	s_add_u32 s10, s14, s13
	s_addc_u32 s11, s15, s0
	s_sub_u32 s0, 0, s8
	s_subb_u32 s9, 0, s9
	s_add_u32 s8, s10, s0
	s_addc_u32 s9, s11, s9
	s_clause 0x1
	s_load_dword s0, s[4:5], 0xd6c
	s_load_dword s8, s[8:9], 0x200
	;; [unrolled: 1-line block ×3, first 2 shown]
	s_clause 0x1
	s_load_dwordx2 s[2:3], s[4:5], 0x0
	s_load_dwordx2 s[4:5], s[10:11], 0x0
	s_cmp_eq_u32 s6, 1
	s_cselect_b32 s10, 1, s16
	v_mul_lo_u32 v1, s10, v0
	s_waitcnt lgkmcnt(0)
	v_mad_u64_u32 v[3:4], null, s8, s0, v[3:4]
	s_mul_i32 s6, s9, s12
	s_mul_i32 s8, s6, s10
	;; [unrolled: 1-line block ×3, first 2 shown]
	.p2align	6
.LBB144_2:                              ; =>This Inner Loop Header: Depth=1
	v_lshlrev_b64 v[4:5], 2, v[1:2]
	v_add_nc_u32_e32 v0, s6, v0
	v_add_nc_u32_e32 v1, s8, v1
	v_add_co_u32 v4, vcc_lo, s4, v4
	v_add_co_ci_u32_e64 v5, null, s5, v5, vcc_lo
	v_cmp_le_u32_e32 vcc_lo, s7, v0
	global_load_dword v6, v[4:5], off
	v_mov_b32_e32 v4, v2
	s_or_b32 s1, vcc_lo, s1
	v_lshlrev_b64 v[4:5], 2, v[3:4]
	v_add_nc_u32_e32 v3, s9, v3
	v_add_co_u32 v4, s0, s2, v4
	v_add_co_ci_u32_e64 v5, null, s3, v5, s0
	s_waitcnt vmcnt(0)
	global_store_dword v[4:5], v6, off
	s_andn2_b32 exec_lo, exec_lo, s1
	s_cbranch_execnz .LBB144_2
.LBB144_3:
	s_endpgm
	.section	.rodata,"a",@progbits
	.p2align	6, 0x0
	.amdhsa_kernel _ZN2at6native12_GLOBAL__N_119CatArrayBatchedCopyINS1_10OpaqueTypeILj4EEEjLi1ELi64ELi64EEEvPT_NS1_25CatArrInputTensorMetadataIS5_T0_XT2_EXT3_EEENS1_16TensorSizeStrideIS8_Lj4EEEiS8_
		.amdhsa_group_segment_fixed_size 0
		.amdhsa_private_segment_fixed_size 0
		.amdhsa_kernarg_size 3696
		.amdhsa_user_sgpr_count 6
		.amdhsa_user_sgpr_private_segment_buffer 1
		.amdhsa_user_sgpr_dispatch_ptr 0
		.amdhsa_user_sgpr_queue_ptr 0
		.amdhsa_user_sgpr_kernarg_segment_ptr 1
		.amdhsa_user_sgpr_dispatch_id 0
		.amdhsa_user_sgpr_flat_scratch_init 0
		.amdhsa_user_sgpr_private_segment_size 0
		.amdhsa_wavefront_size32 1
		.amdhsa_uses_dynamic_stack 0
		.amdhsa_system_sgpr_private_segment_wavefront_offset 0
		.amdhsa_system_sgpr_workgroup_id_x 1
		.amdhsa_system_sgpr_workgroup_id_y 1
		.amdhsa_system_sgpr_workgroup_id_z 0
		.amdhsa_system_sgpr_workgroup_info 0
		.amdhsa_system_vgpr_workitem_id 0
		.amdhsa_next_free_vgpr 7
		.amdhsa_next_free_sgpr 18
		.amdhsa_reserve_vcc 1
		.amdhsa_reserve_flat_scratch 0
		.amdhsa_float_round_mode_32 0
		.amdhsa_float_round_mode_16_64 0
		.amdhsa_float_denorm_mode_32 3
		.amdhsa_float_denorm_mode_16_64 3
		.amdhsa_dx10_clamp 1
		.amdhsa_ieee_mode 1
		.amdhsa_fp16_overflow 0
		.amdhsa_workgroup_processor_mode 1
		.amdhsa_memory_ordered 1
		.amdhsa_forward_progress 1
		.amdhsa_shared_vgpr_count 0
		.amdhsa_exception_fp_ieee_invalid_op 0
		.amdhsa_exception_fp_denorm_src 0
		.amdhsa_exception_fp_ieee_div_zero 0
		.amdhsa_exception_fp_ieee_overflow 0
		.amdhsa_exception_fp_ieee_underflow 0
		.amdhsa_exception_fp_ieee_inexact 0
		.amdhsa_exception_int_div_zero 0
	.end_amdhsa_kernel
	.section	.text._ZN2at6native12_GLOBAL__N_119CatArrayBatchedCopyINS1_10OpaqueTypeILj4EEEjLi1ELi64ELi64EEEvPT_NS1_25CatArrInputTensorMetadataIS5_T0_XT2_EXT3_EEENS1_16TensorSizeStrideIS8_Lj4EEEiS8_,"axG",@progbits,_ZN2at6native12_GLOBAL__N_119CatArrayBatchedCopyINS1_10OpaqueTypeILj4EEEjLi1ELi64ELi64EEEvPT_NS1_25CatArrInputTensorMetadataIS5_T0_XT2_EXT3_EEENS1_16TensorSizeStrideIS8_Lj4EEEiS8_,comdat
.Lfunc_end144:
	.size	_ZN2at6native12_GLOBAL__N_119CatArrayBatchedCopyINS1_10OpaqueTypeILj4EEEjLi1ELi64ELi64EEEvPT_NS1_25CatArrInputTensorMetadataIS5_T0_XT2_EXT3_EEENS1_16TensorSizeStrideIS8_Lj4EEEiS8_, .Lfunc_end144-_ZN2at6native12_GLOBAL__N_119CatArrayBatchedCopyINS1_10OpaqueTypeILj4EEEjLi1ELi64ELi64EEEvPT_NS1_25CatArrInputTensorMetadataIS5_T0_XT2_EXT3_EEENS1_16TensorSizeStrideIS8_Lj4EEEiS8_
                                        ; -- End function
	.set _ZN2at6native12_GLOBAL__N_119CatArrayBatchedCopyINS1_10OpaqueTypeILj4EEEjLi1ELi64ELi64EEEvPT_NS1_25CatArrInputTensorMetadataIS5_T0_XT2_EXT3_EEENS1_16TensorSizeStrideIS8_Lj4EEEiS8_.num_vgpr, 7
	.set _ZN2at6native12_GLOBAL__N_119CatArrayBatchedCopyINS1_10OpaqueTypeILj4EEEjLi1ELi64ELi64EEEvPT_NS1_25CatArrInputTensorMetadataIS5_T0_XT2_EXT3_EEENS1_16TensorSizeStrideIS8_Lj4EEEiS8_.num_agpr, 0
	.set _ZN2at6native12_GLOBAL__N_119CatArrayBatchedCopyINS1_10OpaqueTypeILj4EEEjLi1ELi64ELi64EEEvPT_NS1_25CatArrInputTensorMetadataIS5_T0_XT2_EXT3_EEENS1_16TensorSizeStrideIS8_Lj4EEEiS8_.numbered_sgpr, 18
	.set _ZN2at6native12_GLOBAL__N_119CatArrayBatchedCopyINS1_10OpaqueTypeILj4EEEjLi1ELi64ELi64EEEvPT_NS1_25CatArrInputTensorMetadataIS5_T0_XT2_EXT3_EEENS1_16TensorSizeStrideIS8_Lj4EEEiS8_.num_named_barrier, 0
	.set _ZN2at6native12_GLOBAL__N_119CatArrayBatchedCopyINS1_10OpaqueTypeILj4EEEjLi1ELi64ELi64EEEvPT_NS1_25CatArrInputTensorMetadataIS5_T0_XT2_EXT3_EEENS1_16TensorSizeStrideIS8_Lj4EEEiS8_.private_seg_size, 0
	.set _ZN2at6native12_GLOBAL__N_119CatArrayBatchedCopyINS1_10OpaqueTypeILj4EEEjLi1ELi64ELi64EEEvPT_NS1_25CatArrInputTensorMetadataIS5_T0_XT2_EXT3_EEENS1_16TensorSizeStrideIS8_Lj4EEEiS8_.uses_vcc, 1
	.set _ZN2at6native12_GLOBAL__N_119CatArrayBatchedCopyINS1_10OpaqueTypeILj4EEEjLi1ELi64ELi64EEEvPT_NS1_25CatArrInputTensorMetadataIS5_T0_XT2_EXT3_EEENS1_16TensorSizeStrideIS8_Lj4EEEiS8_.uses_flat_scratch, 0
	.set _ZN2at6native12_GLOBAL__N_119CatArrayBatchedCopyINS1_10OpaqueTypeILj4EEEjLi1ELi64ELi64EEEvPT_NS1_25CatArrInputTensorMetadataIS5_T0_XT2_EXT3_EEENS1_16TensorSizeStrideIS8_Lj4EEEiS8_.has_dyn_sized_stack, 0
	.set _ZN2at6native12_GLOBAL__N_119CatArrayBatchedCopyINS1_10OpaqueTypeILj4EEEjLi1ELi64ELi64EEEvPT_NS1_25CatArrInputTensorMetadataIS5_T0_XT2_EXT3_EEENS1_16TensorSizeStrideIS8_Lj4EEEiS8_.has_recursion, 0
	.set _ZN2at6native12_GLOBAL__N_119CatArrayBatchedCopyINS1_10OpaqueTypeILj4EEEjLi1ELi64ELi64EEEvPT_NS1_25CatArrInputTensorMetadataIS5_T0_XT2_EXT3_EEENS1_16TensorSizeStrideIS8_Lj4EEEiS8_.has_indirect_call, 0
	.section	.AMDGPU.csdata,"",@progbits
; Kernel info:
; codeLenInByte = 424
; TotalNumSgprs: 20
; NumVgprs: 7
; ScratchSize: 0
; MemoryBound: 0
; FloatMode: 240
; IeeeMode: 1
; LDSByteSize: 0 bytes/workgroup (compile time only)
; SGPRBlocks: 0
; VGPRBlocks: 0
; NumSGPRsForWavesPerEU: 20
; NumVGPRsForWavesPerEU: 7
; Occupancy: 16
; WaveLimiterHint : 1
; COMPUTE_PGM_RSRC2:SCRATCH_EN: 0
; COMPUTE_PGM_RSRC2:USER_SGPR: 6
; COMPUTE_PGM_RSRC2:TRAP_HANDLER: 0
; COMPUTE_PGM_RSRC2:TGID_X_EN: 1
; COMPUTE_PGM_RSRC2:TGID_Y_EN: 1
; COMPUTE_PGM_RSRC2:TGID_Z_EN: 0
; COMPUTE_PGM_RSRC2:TIDIG_COMP_CNT: 0
	.section	.text._ZN2at6native12_GLOBAL__N_130CatArrayBatchedCopy_vectorizedINS1_10OpaqueTypeILj4EEEjLi2ELi64ELi64ELi16ELi4EEEvPcNS1_25CatArrInputTensorMetadataIT_T0_XT2_EXT3_EEENS1_16TensorSizeStrideIS8_Lj4EEEiS8_,"axG",@progbits,_ZN2at6native12_GLOBAL__N_130CatArrayBatchedCopy_vectorizedINS1_10OpaqueTypeILj4EEEjLi2ELi64ELi64ELi16ELi4EEEvPcNS1_25CatArrInputTensorMetadataIT_T0_XT2_EXT3_EEENS1_16TensorSizeStrideIS8_Lj4EEEiS8_,comdat
	.globl	_ZN2at6native12_GLOBAL__N_130CatArrayBatchedCopy_vectorizedINS1_10OpaqueTypeILj4EEEjLi2ELi64ELi64ELi16ELi4EEEvPcNS1_25CatArrInputTensorMetadataIT_T0_XT2_EXT3_EEENS1_16TensorSizeStrideIS8_Lj4EEEiS8_ ; -- Begin function _ZN2at6native12_GLOBAL__N_130CatArrayBatchedCopy_vectorizedINS1_10OpaqueTypeILj4EEEjLi2ELi64ELi64ELi16ELi4EEEvPcNS1_25CatArrInputTensorMetadataIT_T0_XT2_EXT3_EEENS1_16TensorSizeStrideIS8_Lj4EEEiS8_
	.p2align	8
	.type	_ZN2at6native12_GLOBAL__N_130CatArrayBatchedCopy_vectorizedINS1_10OpaqueTypeILj4EEEjLi2ELi64ELi64ELi16ELi4EEEvPcNS1_25CatArrInputTensorMetadataIT_T0_XT2_EXT3_EEENS1_16TensorSizeStrideIS8_Lj4EEEiS8_,@function
_ZN2at6native12_GLOBAL__N_130CatArrayBatchedCopy_vectorizedINS1_10OpaqueTypeILj4EEEjLi2ELi64ELi64ELi16ELi4EEEvPcNS1_25CatArrInputTensorMetadataIT_T0_XT2_EXT3_EEENS1_16TensorSizeStrideIS8_Lj4EEEiS8_: ; @_ZN2at6native12_GLOBAL__N_130CatArrayBatchedCopy_vectorizedINS1_10OpaqueTypeILj4EEEjLi2ELi64ELi64ELi16ELi4EEEvPcNS1_25CatArrInputTensorMetadataIT_T0_XT2_EXT3_EEENS1_16TensorSizeStrideIS8_Lj4EEEiS8_
; %bb.0:
	s_mov_b32 s0, s7
	s_load_dword s7, s[4:5], 0xd7c
	s_mov_b32 s1, 0
	s_add_u32 s8, s4, 0xd70
	s_addc_u32 s9, s5, 0
	s_lshl_b64 s[2:3], s[0:1], 2
	s_waitcnt lgkmcnt(0)
	s_and_b32 s13, s7, 0xffff
	s_add_u32 s10, s4, s2
	s_addc_u32 s11, s5, s3
	v_mad_u64_u32 v[0:1], null, s6, s13, v[0:1]
	s_load_dword s12, s[10:11], 0x408
	s_add_u32 s0, s10, 8
	s_addc_u32 s7, s11, 0
	s_mov_b32 s10, exec_lo
	s_waitcnt lgkmcnt(0)
	s_lshr_b32 s6, s12, 2
	v_cmpx_gt_u32_e64 s6, v0
	s_cbranch_execz .LBB145_3
; %bb.1:
	s_add_u32 s14, s0, s2
	s_addc_u32 s15, s7, s3
	s_sub_u32 s0, 0, s2
	s_subb_u32 s3, 0, s3
	s_add_u32 s2, s14, s0
	s_addc_u32 s3, s15, s3
	s_clause 0x5
	s_load_dwordx2 s[10:11], s[4:5], 0xd68
	s_load_dword s0, s[2:3], 0x200
	s_load_dword s7, s[2:3], 0x300
	;; [unrolled: 1-line block ×3, first 2 shown]
	s_load_dwordx2 s[2:3], s[4:5], 0xd58
	s_load_dwordx2 s[4:5], s[4:5], 0x0
	s_load_dword s8, s[8:9], 0x0
	s_waitcnt lgkmcnt(0)
	s_mul_i32 s0, s0, s11
	s_mul_i32 s7, s7, s11
	s_lshr_b32 s0, s0, 2
	s_lshr_b32 s7, s7, 2
	s_lshl_b64 s[16:17], s[0:1], 4
	s_cmp_eq_u32 s10, 1
	s_mul_i32 s8, s8, s13
	s_cselect_b32 s7, s7, s12
	s_add_u32 s10, s4, s16
	v_cvt_f32_u32_e32 v1, s7
	s_addc_u32 s11, s5, s17
	s_sub_i32 s12, 0, s7
	s_load_dwordx2 s[4:5], s[14:15], 0x0
	v_rcp_iflag_f32_e32 v1, v1
	v_mul_f32_e32 v1, 0x4f7ffffe, v1
	v_cvt_u32_f32_e32 v1, v1
	v_mul_lo_u32 v2, s12, v1
	v_mul_hi_u32 v2, v1, v2
	v_add_nc_u32_e32 v2, v1, v2
	v_mov_b32_e32 v1, 0
	s_inst_prefetch 0x1
	.p2align	6
.LBB145_2:                              ; =>This Inner Loop Header: Depth=1
	v_lshlrev_b64 v[3:4], 4, v[0:1]
	v_mul_hi_u32 v9, v2, v0
	s_waitcnt lgkmcnt(0)
	v_add_co_u32 v3, vcc_lo, s4, v3
	v_add_co_ci_u32_e64 v4, null, s5, v4, vcc_lo
	v_mul_lo_u32 v10, s7, v9
	v_not_b32_e32 v7, v9
	v_add_nc_u32_e32 v11, 1, v9
	global_load_dwordx4 v[3:6], v[3:4], off
	v_mad_u64_u32 v[7:8], null, s7, v7, v[0:1]
	v_sub_nc_u32_e32 v8, v0, v10
	v_cmp_le_u32_e32 vcc_lo, s7, v8
	v_cndmask_b32_e32 v9, v9, v11, vcc_lo
	v_cndmask_b32_e32 v7, v8, v7, vcc_lo
	v_add_nc_u32_e32 v8, 1, v9
	v_cmp_le_u32_e32 vcc_lo, s7, v7
	v_cndmask_b32_e32 v9, v9, v8, vcc_lo
	v_mad_u64_u32 v[7:8], null, s12, v9, v[0:1]
	v_mul_lo_u32 v8, v9, s2
	v_add_nc_u32_e32 v0, s8, v0
	v_cmp_le_u32_e32 vcc_lo, s6, v0
	v_mad_u64_u32 v[7:8], null, v7, s3, v[8:9]
	v_mov_b32_e32 v8, v1
	s_or_b32 s1, vcc_lo, s1
	v_lshlrev_b64 v[7:8], 4, v[7:8]
	v_add_co_u32 v7, s0, s10, v7
	v_add_co_ci_u32_e64 v8, null, s11, v8, s0
	s_waitcnt vmcnt(0)
	global_store_dwordx4 v[7:8], v[3:6], off
	s_andn2_b32 exec_lo, exec_lo, s1
	s_cbranch_execnz .LBB145_2
.LBB145_3:
	s_inst_prefetch 0x2
	s_endpgm
	.section	.rodata,"a",@progbits
	.p2align	6, 0x0
	.amdhsa_kernel _ZN2at6native12_GLOBAL__N_130CatArrayBatchedCopy_vectorizedINS1_10OpaqueTypeILj4EEEjLi2ELi64ELi64ELi16ELi4EEEvPcNS1_25CatArrInputTensorMetadataIT_T0_XT2_EXT3_EEENS1_16TensorSizeStrideIS8_Lj4EEEiS8_
		.amdhsa_group_segment_fixed_size 0
		.amdhsa_private_segment_fixed_size 0
		.amdhsa_kernarg_size 3696
		.amdhsa_user_sgpr_count 6
		.amdhsa_user_sgpr_private_segment_buffer 1
		.amdhsa_user_sgpr_dispatch_ptr 0
		.amdhsa_user_sgpr_queue_ptr 0
		.amdhsa_user_sgpr_kernarg_segment_ptr 1
		.amdhsa_user_sgpr_dispatch_id 0
		.amdhsa_user_sgpr_flat_scratch_init 0
		.amdhsa_user_sgpr_private_segment_size 0
		.amdhsa_wavefront_size32 1
		.amdhsa_uses_dynamic_stack 0
		.amdhsa_system_sgpr_private_segment_wavefront_offset 0
		.amdhsa_system_sgpr_workgroup_id_x 1
		.amdhsa_system_sgpr_workgroup_id_y 1
		.amdhsa_system_sgpr_workgroup_id_z 0
		.amdhsa_system_sgpr_workgroup_info 0
		.amdhsa_system_vgpr_workitem_id 0
		.amdhsa_next_free_vgpr 12
		.amdhsa_next_free_sgpr 18
		.amdhsa_reserve_vcc 1
		.amdhsa_reserve_flat_scratch 0
		.amdhsa_float_round_mode_32 0
		.amdhsa_float_round_mode_16_64 0
		.amdhsa_float_denorm_mode_32 3
		.amdhsa_float_denorm_mode_16_64 3
		.amdhsa_dx10_clamp 1
		.amdhsa_ieee_mode 1
		.amdhsa_fp16_overflow 0
		.amdhsa_workgroup_processor_mode 1
		.amdhsa_memory_ordered 1
		.amdhsa_forward_progress 1
		.amdhsa_shared_vgpr_count 0
		.amdhsa_exception_fp_ieee_invalid_op 0
		.amdhsa_exception_fp_denorm_src 0
		.amdhsa_exception_fp_ieee_div_zero 0
		.amdhsa_exception_fp_ieee_overflow 0
		.amdhsa_exception_fp_ieee_underflow 0
		.amdhsa_exception_fp_ieee_inexact 0
		.amdhsa_exception_int_div_zero 0
	.end_amdhsa_kernel
	.section	.text._ZN2at6native12_GLOBAL__N_130CatArrayBatchedCopy_vectorizedINS1_10OpaqueTypeILj4EEEjLi2ELi64ELi64ELi16ELi4EEEvPcNS1_25CatArrInputTensorMetadataIT_T0_XT2_EXT3_EEENS1_16TensorSizeStrideIS8_Lj4EEEiS8_,"axG",@progbits,_ZN2at6native12_GLOBAL__N_130CatArrayBatchedCopy_vectorizedINS1_10OpaqueTypeILj4EEEjLi2ELi64ELi64ELi16ELi4EEEvPcNS1_25CatArrInputTensorMetadataIT_T0_XT2_EXT3_EEENS1_16TensorSizeStrideIS8_Lj4EEEiS8_,comdat
.Lfunc_end145:
	.size	_ZN2at6native12_GLOBAL__N_130CatArrayBatchedCopy_vectorizedINS1_10OpaqueTypeILj4EEEjLi2ELi64ELi64ELi16ELi4EEEvPcNS1_25CatArrInputTensorMetadataIT_T0_XT2_EXT3_EEENS1_16TensorSizeStrideIS8_Lj4EEEiS8_, .Lfunc_end145-_ZN2at6native12_GLOBAL__N_130CatArrayBatchedCopy_vectorizedINS1_10OpaqueTypeILj4EEEjLi2ELi64ELi64ELi16ELi4EEEvPcNS1_25CatArrInputTensorMetadataIT_T0_XT2_EXT3_EEENS1_16TensorSizeStrideIS8_Lj4EEEiS8_
                                        ; -- End function
	.set _ZN2at6native12_GLOBAL__N_130CatArrayBatchedCopy_vectorizedINS1_10OpaqueTypeILj4EEEjLi2ELi64ELi64ELi16ELi4EEEvPcNS1_25CatArrInputTensorMetadataIT_T0_XT2_EXT3_EEENS1_16TensorSizeStrideIS8_Lj4EEEiS8_.num_vgpr, 12
	.set _ZN2at6native12_GLOBAL__N_130CatArrayBatchedCopy_vectorizedINS1_10OpaqueTypeILj4EEEjLi2ELi64ELi64ELi16ELi4EEEvPcNS1_25CatArrInputTensorMetadataIT_T0_XT2_EXT3_EEENS1_16TensorSizeStrideIS8_Lj4EEEiS8_.num_agpr, 0
	.set _ZN2at6native12_GLOBAL__N_130CatArrayBatchedCopy_vectorizedINS1_10OpaqueTypeILj4EEEjLi2ELi64ELi64ELi16ELi4EEEvPcNS1_25CatArrInputTensorMetadataIT_T0_XT2_EXT3_EEENS1_16TensorSizeStrideIS8_Lj4EEEiS8_.numbered_sgpr, 18
	.set _ZN2at6native12_GLOBAL__N_130CatArrayBatchedCopy_vectorizedINS1_10OpaqueTypeILj4EEEjLi2ELi64ELi64ELi16ELi4EEEvPcNS1_25CatArrInputTensorMetadataIT_T0_XT2_EXT3_EEENS1_16TensorSizeStrideIS8_Lj4EEEiS8_.num_named_barrier, 0
	.set _ZN2at6native12_GLOBAL__N_130CatArrayBatchedCopy_vectorizedINS1_10OpaqueTypeILj4EEEjLi2ELi64ELi64ELi16ELi4EEEvPcNS1_25CatArrInputTensorMetadataIT_T0_XT2_EXT3_EEENS1_16TensorSizeStrideIS8_Lj4EEEiS8_.private_seg_size, 0
	.set _ZN2at6native12_GLOBAL__N_130CatArrayBatchedCopy_vectorizedINS1_10OpaqueTypeILj4EEEjLi2ELi64ELi64ELi16ELi4EEEvPcNS1_25CatArrInputTensorMetadataIT_T0_XT2_EXT3_EEENS1_16TensorSizeStrideIS8_Lj4EEEiS8_.uses_vcc, 1
	.set _ZN2at6native12_GLOBAL__N_130CatArrayBatchedCopy_vectorizedINS1_10OpaqueTypeILj4EEEjLi2ELi64ELi64ELi16ELi4EEEvPcNS1_25CatArrInputTensorMetadataIT_T0_XT2_EXT3_EEENS1_16TensorSizeStrideIS8_Lj4EEEiS8_.uses_flat_scratch, 0
	.set _ZN2at6native12_GLOBAL__N_130CatArrayBatchedCopy_vectorizedINS1_10OpaqueTypeILj4EEEjLi2ELi64ELi64ELi16ELi4EEEvPcNS1_25CatArrInputTensorMetadataIT_T0_XT2_EXT3_EEENS1_16TensorSizeStrideIS8_Lj4EEEiS8_.has_dyn_sized_stack, 0
	.set _ZN2at6native12_GLOBAL__N_130CatArrayBatchedCopy_vectorizedINS1_10OpaqueTypeILj4EEEjLi2ELi64ELi64ELi16ELi4EEEvPcNS1_25CatArrInputTensorMetadataIT_T0_XT2_EXT3_EEENS1_16TensorSizeStrideIS8_Lj4EEEiS8_.has_recursion, 0
	.set _ZN2at6native12_GLOBAL__N_130CatArrayBatchedCopy_vectorizedINS1_10OpaqueTypeILj4EEEjLi2ELi64ELi64ELi16ELi4EEEvPcNS1_25CatArrInputTensorMetadataIT_T0_XT2_EXT3_EEENS1_16TensorSizeStrideIS8_Lj4EEEiS8_.has_indirect_call, 0
	.section	.AMDGPU.csdata,"",@progbits
; Kernel info:
; codeLenInByte = 508
; TotalNumSgprs: 20
; NumVgprs: 12
; ScratchSize: 0
; MemoryBound: 0
; FloatMode: 240
; IeeeMode: 1
; LDSByteSize: 0 bytes/workgroup (compile time only)
; SGPRBlocks: 0
; VGPRBlocks: 1
; NumSGPRsForWavesPerEU: 20
; NumVGPRsForWavesPerEU: 12
; Occupancy: 16
; WaveLimiterHint : 1
; COMPUTE_PGM_RSRC2:SCRATCH_EN: 0
; COMPUTE_PGM_RSRC2:USER_SGPR: 6
; COMPUTE_PGM_RSRC2:TRAP_HANDLER: 0
; COMPUTE_PGM_RSRC2:TGID_X_EN: 1
; COMPUTE_PGM_RSRC2:TGID_Y_EN: 1
; COMPUTE_PGM_RSRC2:TGID_Z_EN: 0
; COMPUTE_PGM_RSRC2:TIDIG_COMP_CNT: 0
	.section	.text._ZN2at6native12_GLOBAL__N_135CatArrayBatchedCopy_alignedK_contigINS1_10OpaqueTypeILj4EEEjLi2ELi64ELi64ELi16EEEvPT_NS1_25CatArrInputTensorMetadataIS5_T0_XT2_EXT3_EEENS1_16TensorSizeStrideIS8_Lj4EEEiS8_,"axG",@progbits,_ZN2at6native12_GLOBAL__N_135CatArrayBatchedCopy_alignedK_contigINS1_10OpaqueTypeILj4EEEjLi2ELi64ELi64ELi16EEEvPT_NS1_25CatArrInputTensorMetadataIS5_T0_XT2_EXT3_EEENS1_16TensorSizeStrideIS8_Lj4EEEiS8_,comdat
	.globl	_ZN2at6native12_GLOBAL__N_135CatArrayBatchedCopy_alignedK_contigINS1_10OpaqueTypeILj4EEEjLi2ELi64ELi64ELi16EEEvPT_NS1_25CatArrInputTensorMetadataIS5_T0_XT2_EXT3_EEENS1_16TensorSizeStrideIS8_Lj4EEEiS8_ ; -- Begin function _ZN2at6native12_GLOBAL__N_135CatArrayBatchedCopy_alignedK_contigINS1_10OpaqueTypeILj4EEEjLi2ELi64ELi64ELi16EEEvPT_NS1_25CatArrInputTensorMetadataIS5_T0_XT2_EXT3_EEENS1_16TensorSizeStrideIS8_Lj4EEEiS8_
	.p2align	8
	.type	_ZN2at6native12_GLOBAL__N_135CatArrayBatchedCopy_alignedK_contigINS1_10OpaqueTypeILj4EEEjLi2ELi64ELi64ELi16EEEvPT_NS1_25CatArrInputTensorMetadataIS5_T0_XT2_EXT3_EEENS1_16TensorSizeStrideIS8_Lj4EEEiS8_,@function
_ZN2at6native12_GLOBAL__N_135CatArrayBatchedCopy_alignedK_contigINS1_10OpaqueTypeILj4EEEjLi2ELi64ELi64ELi16EEEvPT_NS1_25CatArrInputTensorMetadataIS5_T0_XT2_EXT3_EEENS1_16TensorSizeStrideIS8_Lj4EEEiS8_: ; @_ZN2at6native12_GLOBAL__N_135CatArrayBatchedCopy_alignedK_contigINS1_10OpaqueTypeILj4EEEjLi2ELi64ELi64ELi16EEEvPT_NS1_25CatArrInputTensorMetadataIS5_T0_XT2_EXT3_EEENS1_16TensorSizeStrideIS8_Lj4EEEiS8_
; %bb.0:
	s_mov_b32 s2, s7
	s_load_dword s7, s[4:5], 0xd7c
	s_mov_b32 s3, 0
	s_add_u32 s0, s4, 0xd70
	s_addc_u32 s1, s5, 0
	s_lshl_b64 s[2:3], s[2:3], 2
	s_waitcnt lgkmcnt(0)
	s_and_b32 s12, s7, 0xffff
	s_add_u32 s8, s4, s2
	s_addc_u32 s9, s5, s3
	s_mul_i32 s6, s6, s12
	s_load_dword s13, s[8:9], 0x408
	v_add_lshl_u32 v0, s6, v0, 2
	s_add_u32 s6, s8, 8
	s_addc_u32 s7, s9, 0
	s_mov_b32 s8, exec_lo
	s_waitcnt lgkmcnt(0)
	v_cmpx_gt_u32_e64 s13, v0
	s_cbranch_execz .LBB146_8
; %bb.1:
	s_add_u32 s8, s6, s2
	s_addc_u32 s9, s7, s3
	s_sub_u32 s2, 0, s2
	s_subb_u32 s3, 0, s3
	s_add_u32 s2, s8, s2
	s_addc_u32 s3, s9, s3
	s_clause 0x6
	s_load_dwordx2 s[6:7], s[4:5], 0x0
	s_load_dwordx2 s[10:11], s[4:5], 0xd68
	s_load_dword s14, s[4:5], 0xd4c
	s_load_dwordx2 s[4:5], s[4:5], 0xd58
	s_load_dword s16, s[2:3], 0x200
	;; [unrolled: 2-line block ×3, first 2 shown]
	v_add_nc_u32_e32 v1, 4, v0
	s_waitcnt lgkmcnt(0)
	s_mul_i32 s3, s16, s11
	s_mov_b32 s11, exec_lo
	v_cmpx_ge_u32_e64 s13, v1
	s_cbranch_execz .LBB146_5
; %bb.2:
	s_load_dword s0, s[0:1], 0x0
	v_add_nc_u32_e32 v2, 3, v0
	v_add_nc_u32_e32 v3, 2, v0
	s_mov_b32 s19, 0
	s_waitcnt lgkmcnt(0)
	s_mul_i32 s0, s0, s12
	s_mov_b32 s12, s5
	s_lshl_b32 s16, s0, 2
	s_cmp_eq_u32 s10, 1
	s_cselect_b32 s17, s15, s14
	v_cvt_f32_u32_e32 v1, s17
	s_sub_i32 s18, 0, s17
	v_rcp_iflag_f32_e32 v1, v1
	v_mul_f32_e32 v1, 0x4f7ffffe, v1
	v_cvt_u32_f32_e32 v4, v1
	v_mul_lo_u32 v1, s18, v4
	v_mul_hi_u32 v5, v4, v1
	v_mov_b32_e32 v1, 0
	v_add_nc_u32_e32 v4, v4, v5
	v_add_nc_u32_e32 v5, 1, v0
.LBB146_3:                              ; =>This Inner Loop Header: Depth=1
	v_lshlrev_b64 v[6:7], 2, v[0:1]
	v_mul_hi_u32 v14, v4, v0
	v_mul_hi_u32 v22, v4, v5
	;; [unrolled: 1-line block ×4, first 2 shown]
	v_add_nc_u32_e32 v10, 1, v0
	v_add_co_u32 v6, vcc_lo, s8, v6
	v_add_co_ci_u32_e64 v7, null, s9, v7, vcc_lo
	v_add_nc_u32_e32 v11, 2, v0
	v_add_nc_u32_e32 v12, 3, v0
	v_mov_b32_e32 v13, v1
	global_load_dwordx4 v[6:9], v[6:7], off
	v_not_b32_e32 v25, v14
	v_mad_u64_u32 v[20:21], null, s18, v14, v[0:1]
	v_not_b32_e32 v26, v22
	v_mad_u64_u32 v[21:22], null, s18, v22, v[10:11]
	v_mul_hi_u32 v29, v10, v4
	v_mad_u64_u32 v[22:23], null, s18, v18, v[11:12]
	v_mad_u64_u32 v[23:24], null, s18, v16, v[12:13]
	v_mul_hi_u32 v30, v11, v4
	v_not_b32_e32 v27, v18
	v_mad_u64_u32 v[24:25], null, s17, v25, v[0:1]
	v_mul_hi_u32 v31, v12, v4
	v_not_b32_e32 v28, v16
	v_add_nc_u32_e32 v32, 1, v14
	v_mad_u64_u32 v[25:26], null, s17, v26, v[10:11]
	v_cmp_le_u32_e32 vcc_lo, s17, v20
	v_mad_u64_u32 v[26:27], null, s17, v27, v[11:12]
	v_add_nc_u32_e32 v16, 1, v29
	v_mad_u64_u32 v[27:28], null, s17, v28, v[12:13]
	v_cmp_le_u32_e64 s2, s17, v21
	v_add_nc_u32_e32 v10, 1, v30
	v_cndmask_b32_e32 v14, v14, v32, vcc_lo
	v_cmp_le_u32_e64 s0, s17, v22
	v_cndmask_b32_e32 v20, v20, v24, vcc_lo
	v_add_nc_u32_e32 v18, 1, v31
	v_cmp_le_u32_e64 s1, s17, v23
	v_cndmask_b32_e64 v16, v29, v16, s2
	v_cndmask_b32_e64 v21, v21, v25, s2
	;; [unrolled: 1-line block ×3, first 2 shown]
	v_add_nc_u32_e32 v24, 1, v14
	v_cndmask_b32_e64 v22, v22, v26, s0
	v_cmp_le_u32_e32 vcc_lo, s17, v20
	v_cndmask_b32_e64 v18, v31, v18, s1
	v_cndmask_b32_e64 v23, v23, v27, s1
	v_add_nc_u32_e32 v25, 1, v16
	v_cmp_le_u32_e64 s1, s17, v21
	v_add_nc_u32_e32 v26, 1, v10
	v_cndmask_b32_e32 v14, v14, v24, vcc_lo
	v_cmp_le_u32_e32 vcc_lo, s17, v22
	v_add_nc_u32_e32 v27, 1, v18
	v_cmp_le_u32_e64 s0, s17, v23
	v_cndmask_b32_e64 v16, v16, v25, s1
	v_mad_u64_u32 v[20:21], null, s18, v14, v[0:1]
	v_cndmask_b32_e32 v23, v10, v26, vcc_lo
	v_cndmask_b32_e64 v18, v18, v27, s0
	v_mad_u64_u32 v[21:22], null, s18, v16, v[0:1]
	v_add_nc_u32_e32 v0, s16, v0
	v_mad_u64_u32 v[10:11], null, s18, v23, v[11:12]
	v_mad_u64_u32 v[11:12], null, s18, v18, v[12:13]
	v_mul_lo_u32 v14, v14, s4
	v_mul_lo_u32 v22, v23, s4
	;; [unrolled: 1-line block ×4, first 2 shown]
	v_mad_u64_u32 v[20:21], null, s5, v21, s[12:13]
	v_add_nc_u32_e32 v12, 4, v0
	v_mul_lo_u32 v10, v10, s5
	v_mul_lo_u32 v18, v18, s4
	;; [unrolled: 1-line block ×3, first 2 shown]
	v_mov_b32_e32 v15, v1
	v_cmp_lt_u32_e32 vcc_lo, s13, v12
	v_add3_u32 v12, v23, v14, s3
	v_add3_u32 v14, v20, v16, s3
	v_mov_b32_e32 v17, v1
	v_add3_u32 v16, v10, v22, s3
	v_mov_b32_e32 v19, v1
	v_add3_u32 v18, v11, v18, s3
	v_lshlrev_b64 v[10:11], 2, v[12:13]
	v_lshlrev_b64 v[12:13], 2, v[14:15]
	;; [unrolled: 1-line block ×3, first 2 shown]
	v_add_nc_u32_e32 v2, s16, v2
	v_lshlrev_b64 v[16:17], 2, v[18:19]
	v_add_nc_u32_e32 v3, s16, v3
	v_add_co_u32 v10, s0, s6, v10
	v_add_co_ci_u32_e64 v11, null, s7, v11, s0
	v_add_co_u32 v12, s0, s6, v12
	v_add_co_ci_u32_e64 v13, null, s7, v13, s0
	v_add_co_u32 v14, s0, s6, v14
	v_add_nc_u32_e32 v5, s16, v5
	v_add_co_ci_u32_e64 v15, null, s7, v15, s0
	v_add_co_u32 v16, s0, s6, v16
	v_add_co_ci_u32_e64 v17, null, s7, v17, s0
	s_or_b32 s19, vcc_lo, s19
	s_waitcnt vmcnt(0)
	global_store_dword v[10:11], v6, off
	global_store_dword v[12:13], v7, off
	;; [unrolled: 1-line block ×4, first 2 shown]
	s_andn2_b32 exec_lo, exec_lo, s19
	s_cbranch_execnz .LBB146_3
; %bb.4:
	s_or_b32 exec_lo, exec_lo, s19
.LBB146_5:
	s_or_b32 exec_lo, exec_lo, s11
	v_cmp_gt_u32_e32 vcc_lo, s13, v0
	s_and_b32 exec_lo, exec_lo, vcc_lo
	s_cbranch_execz .LBB146_8
; %bb.6:
	s_cmp_eq_u32 s10, 1
	v_mov_b32_e32 v2, 0
	s_cselect_b32 s2, s15, s14
	v_cvt_f32_u32_e32 v1, s2
	s_sub_i32 s10, 0, s2
	v_rcp_iflag_f32_e32 v1, v1
	v_mul_f32_e32 v1, 0x4f7ffffe, v1
	v_cvt_u32_f32_e32 v3, v1
	v_mul_lo_u32 v1, s10, v3
	v_mul_hi_u32 v4, v3, v1
	v_mov_b32_e32 v1, v2
	v_lshlrev_b64 v[5:6], 2, v[0:1]
	v_add_nc_u32_e32 v7, v3, v4
	v_add_co_u32 v5, vcc_lo, s8, v5
	v_mad_u64_u32 v[3:4], null, v0, v7, 0
	v_add_co_ci_u32_e64 v6, null, s9, v6, vcc_lo
	s_mov_b32 s8, 0
	s_inst_prefetch 0x1
	.p2align	6
.LBB146_7:                              ; =>This Inner Loop Header: Depth=1
	global_load_dword v10, v[5:6], off
	v_mul_lo_u32 v1, s2, v4
	v_not_b32_e32 v8, v4
	v_add_nc_u32_e32 v11, 1, v4
	v_add_co_u32 v5, s0, v5, 4
	v_add_co_ci_u32_e64 v6, null, 0, v6, s0
	v_mad_u64_u32 v[8:9], null, s2, v8, v[0:1]
	v_sub_nc_u32_e32 v1, v0, v1
	v_cmp_le_u32_e32 vcc_lo, s2, v1
	v_cndmask_b32_e32 v9, v4, v11, vcc_lo
	v_cndmask_b32_e32 v1, v1, v8, vcc_lo
	v_add_nc_u32_e32 v8, 1, v9
	v_cmp_le_u32_e32 vcc_lo, s2, v1
	v_cndmask_b32_e32 v1, v9, v8, vcc_lo
	v_add_co_u32 v3, vcc_lo, v3, v7
	v_add_co_ci_u32_e64 v4, null, 0, v4, vcc_lo
	v_mad_u64_u32 v[8:9], null, s10, v1, v[0:1]
	v_mul_lo_u32 v1, v1, s4
	v_add_nc_u32_e32 v0, 1, v0
	v_mul_lo_u32 v8, v8, s5
	v_cmp_le_u32_e64 s0, s13, v0
	s_or_b32 s8, s0, s8
	v_add3_u32 v1, v8, v1, s3
	v_lshlrev_b64 v[8:9], 2, v[1:2]
	v_add_co_u32 v8, s1, s6, v8
	v_add_co_ci_u32_e64 v9, null, s7, v9, s1
	s_waitcnt vmcnt(0)
	global_store_dword v[8:9], v10, off
	s_andn2_b32 exec_lo, exec_lo, s8
	s_cbranch_execnz .LBB146_7
.LBB146_8:
	s_inst_prefetch 0x2
	s_endpgm
	.section	.rodata,"a",@progbits
	.p2align	6, 0x0
	.amdhsa_kernel _ZN2at6native12_GLOBAL__N_135CatArrayBatchedCopy_alignedK_contigINS1_10OpaqueTypeILj4EEEjLi2ELi64ELi64ELi16EEEvPT_NS1_25CatArrInputTensorMetadataIS5_T0_XT2_EXT3_EEENS1_16TensorSizeStrideIS8_Lj4EEEiS8_
		.amdhsa_group_segment_fixed_size 0
		.amdhsa_private_segment_fixed_size 0
		.amdhsa_kernarg_size 3696
		.amdhsa_user_sgpr_count 6
		.amdhsa_user_sgpr_private_segment_buffer 1
		.amdhsa_user_sgpr_dispatch_ptr 0
		.amdhsa_user_sgpr_queue_ptr 0
		.amdhsa_user_sgpr_kernarg_segment_ptr 1
		.amdhsa_user_sgpr_dispatch_id 0
		.amdhsa_user_sgpr_flat_scratch_init 0
		.amdhsa_user_sgpr_private_segment_size 0
		.amdhsa_wavefront_size32 1
		.amdhsa_uses_dynamic_stack 0
		.amdhsa_system_sgpr_private_segment_wavefront_offset 0
		.amdhsa_system_sgpr_workgroup_id_x 1
		.amdhsa_system_sgpr_workgroup_id_y 1
		.amdhsa_system_sgpr_workgroup_id_z 0
		.amdhsa_system_sgpr_workgroup_info 0
		.amdhsa_system_vgpr_workitem_id 0
		.amdhsa_next_free_vgpr 33
		.amdhsa_next_free_sgpr 20
		.amdhsa_reserve_vcc 1
		.amdhsa_reserve_flat_scratch 0
		.amdhsa_float_round_mode_32 0
		.amdhsa_float_round_mode_16_64 0
		.amdhsa_float_denorm_mode_32 3
		.amdhsa_float_denorm_mode_16_64 3
		.amdhsa_dx10_clamp 1
		.amdhsa_ieee_mode 1
		.amdhsa_fp16_overflow 0
		.amdhsa_workgroup_processor_mode 1
		.amdhsa_memory_ordered 1
		.amdhsa_forward_progress 1
		.amdhsa_shared_vgpr_count 0
		.amdhsa_exception_fp_ieee_invalid_op 0
		.amdhsa_exception_fp_denorm_src 0
		.amdhsa_exception_fp_ieee_div_zero 0
		.amdhsa_exception_fp_ieee_overflow 0
		.amdhsa_exception_fp_ieee_underflow 0
		.amdhsa_exception_fp_ieee_inexact 0
		.amdhsa_exception_int_div_zero 0
	.end_amdhsa_kernel
	.section	.text._ZN2at6native12_GLOBAL__N_135CatArrayBatchedCopy_alignedK_contigINS1_10OpaqueTypeILj4EEEjLi2ELi64ELi64ELi16EEEvPT_NS1_25CatArrInputTensorMetadataIS5_T0_XT2_EXT3_EEENS1_16TensorSizeStrideIS8_Lj4EEEiS8_,"axG",@progbits,_ZN2at6native12_GLOBAL__N_135CatArrayBatchedCopy_alignedK_contigINS1_10OpaqueTypeILj4EEEjLi2ELi64ELi64ELi16EEEvPT_NS1_25CatArrInputTensorMetadataIS5_T0_XT2_EXT3_EEENS1_16TensorSizeStrideIS8_Lj4EEEiS8_,comdat
.Lfunc_end146:
	.size	_ZN2at6native12_GLOBAL__N_135CatArrayBatchedCopy_alignedK_contigINS1_10OpaqueTypeILj4EEEjLi2ELi64ELi64ELi16EEEvPT_NS1_25CatArrInputTensorMetadataIS5_T0_XT2_EXT3_EEENS1_16TensorSizeStrideIS8_Lj4EEEiS8_, .Lfunc_end146-_ZN2at6native12_GLOBAL__N_135CatArrayBatchedCopy_alignedK_contigINS1_10OpaqueTypeILj4EEEjLi2ELi64ELi64ELi16EEEvPT_NS1_25CatArrInputTensorMetadataIS5_T0_XT2_EXT3_EEENS1_16TensorSizeStrideIS8_Lj4EEEiS8_
                                        ; -- End function
	.set _ZN2at6native12_GLOBAL__N_135CatArrayBatchedCopy_alignedK_contigINS1_10OpaqueTypeILj4EEEjLi2ELi64ELi64ELi16EEEvPT_NS1_25CatArrInputTensorMetadataIS5_T0_XT2_EXT3_EEENS1_16TensorSizeStrideIS8_Lj4EEEiS8_.num_vgpr, 33
	.set _ZN2at6native12_GLOBAL__N_135CatArrayBatchedCopy_alignedK_contigINS1_10OpaqueTypeILj4EEEjLi2ELi64ELi64ELi16EEEvPT_NS1_25CatArrInputTensorMetadataIS5_T0_XT2_EXT3_EEENS1_16TensorSizeStrideIS8_Lj4EEEiS8_.num_agpr, 0
	.set _ZN2at6native12_GLOBAL__N_135CatArrayBatchedCopy_alignedK_contigINS1_10OpaqueTypeILj4EEEjLi2ELi64ELi64ELi16EEEvPT_NS1_25CatArrInputTensorMetadataIS5_T0_XT2_EXT3_EEENS1_16TensorSizeStrideIS8_Lj4EEEiS8_.numbered_sgpr, 20
	.set _ZN2at6native12_GLOBAL__N_135CatArrayBatchedCopy_alignedK_contigINS1_10OpaqueTypeILj4EEEjLi2ELi64ELi64ELi16EEEvPT_NS1_25CatArrInputTensorMetadataIS5_T0_XT2_EXT3_EEENS1_16TensorSizeStrideIS8_Lj4EEEiS8_.num_named_barrier, 0
	.set _ZN2at6native12_GLOBAL__N_135CatArrayBatchedCopy_alignedK_contigINS1_10OpaqueTypeILj4EEEjLi2ELi64ELi64ELi16EEEvPT_NS1_25CatArrInputTensorMetadataIS5_T0_XT2_EXT3_EEENS1_16TensorSizeStrideIS8_Lj4EEEiS8_.private_seg_size, 0
	.set _ZN2at6native12_GLOBAL__N_135CatArrayBatchedCopy_alignedK_contigINS1_10OpaqueTypeILj4EEEjLi2ELi64ELi64ELi16EEEvPT_NS1_25CatArrInputTensorMetadataIS5_T0_XT2_EXT3_EEENS1_16TensorSizeStrideIS8_Lj4EEEiS8_.uses_vcc, 1
	.set _ZN2at6native12_GLOBAL__N_135CatArrayBatchedCopy_alignedK_contigINS1_10OpaqueTypeILj4EEEjLi2ELi64ELi64ELi16EEEvPT_NS1_25CatArrInputTensorMetadataIS5_T0_XT2_EXT3_EEENS1_16TensorSizeStrideIS8_Lj4EEEiS8_.uses_flat_scratch, 0
	.set _ZN2at6native12_GLOBAL__N_135CatArrayBatchedCopy_alignedK_contigINS1_10OpaqueTypeILj4EEEjLi2ELi64ELi64ELi16EEEvPT_NS1_25CatArrInputTensorMetadataIS5_T0_XT2_EXT3_EEENS1_16TensorSizeStrideIS8_Lj4EEEiS8_.has_dyn_sized_stack, 0
	.set _ZN2at6native12_GLOBAL__N_135CatArrayBatchedCopy_alignedK_contigINS1_10OpaqueTypeILj4EEEjLi2ELi64ELi64ELi16EEEvPT_NS1_25CatArrInputTensorMetadataIS5_T0_XT2_EXT3_EEENS1_16TensorSizeStrideIS8_Lj4EEEiS8_.has_recursion, 0
	.set _ZN2at6native12_GLOBAL__N_135CatArrayBatchedCopy_alignedK_contigINS1_10OpaqueTypeILj4EEEjLi2ELi64ELi64ELi16EEEvPT_NS1_25CatArrInputTensorMetadataIS5_T0_XT2_EXT3_EEENS1_16TensorSizeStrideIS8_Lj4EEEiS8_.has_indirect_call, 0
	.section	.AMDGPU.csdata,"",@progbits
; Kernel info:
; codeLenInByte = 1280
; TotalNumSgprs: 22
; NumVgprs: 33
; ScratchSize: 0
; MemoryBound: 0
; FloatMode: 240
; IeeeMode: 1
; LDSByteSize: 0 bytes/workgroup (compile time only)
; SGPRBlocks: 0
; VGPRBlocks: 4
; NumSGPRsForWavesPerEU: 22
; NumVGPRsForWavesPerEU: 33
; Occupancy: 16
; WaveLimiterHint : 1
; COMPUTE_PGM_RSRC2:SCRATCH_EN: 0
; COMPUTE_PGM_RSRC2:USER_SGPR: 6
; COMPUTE_PGM_RSRC2:TRAP_HANDLER: 0
; COMPUTE_PGM_RSRC2:TGID_X_EN: 1
; COMPUTE_PGM_RSRC2:TGID_Y_EN: 1
; COMPUTE_PGM_RSRC2:TGID_Z_EN: 0
; COMPUTE_PGM_RSRC2:TIDIG_COMP_CNT: 0
	.section	.text._ZN2at6native12_GLOBAL__N_135CatArrayBatchedCopy_alignedK_contigINS1_10OpaqueTypeILj4EEEjLi2ELi64ELi64ELi8EEEvPT_NS1_25CatArrInputTensorMetadataIS5_T0_XT2_EXT3_EEENS1_16TensorSizeStrideIS8_Lj4EEEiS8_,"axG",@progbits,_ZN2at6native12_GLOBAL__N_135CatArrayBatchedCopy_alignedK_contigINS1_10OpaqueTypeILj4EEEjLi2ELi64ELi64ELi8EEEvPT_NS1_25CatArrInputTensorMetadataIS5_T0_XT2_EXT3_EEENS1_16TensorSizeStrideIS8_Lj4EEEiS8_,comdat
	.globl	_ZN2at6native12_GLOBAL__N_135CatArrayBatchedCopy_alignedK_contigINS1_10OpaqueTypeILj4EEEjLi2ELi64ELi64ELi8EEEvPT_NS1_25CatArrInputTensorMetadataIS5_T0_XT2_EXT3_EEENS1_16TensorSizeStrideIS8_Lj4EEEiS8_ ; -- Begin function _ZN2at6native12_GLOBAL__N_135CatArrayBatchedCopy_alignedK_contigINS1_10OpaqueTypeILj4EEEjLi2ELi64ELi64ELi8EEEvPT_NS1_25CatArrInputTensorMetadataIS5_T0_XT2_EXT3_EEENS1_16TensorSizeStrideIS8_Lj4EEEiS8_
	.p2align	8
	.type	_ZN2at6native12_GLOBAL__N_135CatArrayBatchedCopy_alignedK_contigINS1_10OpaqueTypeILj4EEEjLi2ELi64ELi64ELi8EEEvPT_NS1_25CatArrInputTensorMetadataIS5_T0_XT2_EXT3_EEENS1_16TensorSizeStrideIS8_Lj4EEEiS8_,@function
_ZN2at6native12_GLOBAL__N_135CatArrayBatchedCopy_alignedK_contigINS1_10OpaqueTypeILj4EEEjLi2ELi64ELi64ELi8EEEvPT_NS1_25CatArrInputTensorMetadataIS5_T0_XT2_EXT3_EEENS1_16TensorSizeStrideIS8_Lj4EEEiS8_: ; @_ZN2at6native12_GLOBAL__N_135CatArrayBatchedCopy_alignedK_contigINS1_10OpaqueTypeILj4EEEjLi2ELi64ELi64ELi8EEEvPT_NS1_25CatArrInputTensorMetadataIS5_T0_XT2_EXT3_EEENS1_16TensorSizeStrideIS8_Lj4EEEiS8_
; %bb.0:
	s_mov_b32 s2, s7
	s_load_dword s7, s[4:5], 0xd7c
	s_mov_b32 s3, 0
	s_add_u32 s0, s4, 0xd70
	s_addc_u32 s1, s5, 0
	s_lshl_b64 s[2:3], s[2:3], 2
	s_waitcnt lgkmcnt(0)
	s_and_b32 s10, s7, 0xffff
	s_add_u32 s8, s4, s2
	s_addc_u32 s9, s5, s3
	s_mul_i32 s6, s6, s10
	s_load_dword s11, s[8:9], 0x408
	v_add_lshl_u32 v0, s6, v0, 1
	s_add_u32 s6, s8, 8
	s_addc_u32 s7, s9, 0
	s_mov_b32 s8, exec_lo
	s_waitcnt lgkmcnt(0)
	v_cmpx_gt_u32_e64 s11, v0
	s_cbranch_execz .LBB147_8
; %bb.1:
	s_add_u32 s6, s6, s2
	s_addc_u32 s7, s7, s3
	s_sub_u32 s2, 0, s2
	s_subb_u32 s3, 0, s3
	s_add_u32 s14, s6, s2
	s_addc_u32 s15, s7, s3
	s_clause 0x6
	s_load_dwordx2 s[2:3], s[4:5], 0x0
	s_load_dwordx2 s[8:9], s[4:5], 0xd68
	s_load_dword s12, s[4:5], 0xd4c
	s_load_dwordx2 s[4:5], s[4:5], 0xd58
	s_load_dword s16, s[14:15], 0x200
	;; [unrolled: 2-line block ×3, first 2 shown]
	v_add_nc_u32_e32 v1, 2, v0
	s_mov_b32 s14, exec_lo
	s_waitcnt lgkmcnt(0)
	s_mul_i32 s9, s16, s9
	v_cmpx_ge_u32_e64 s11, v1
	s_cbranch_execz .LBB147_5
; %bb.2:
	s_load_dword s0, s[0:1], 0x0
	s_mov_b32 s17, 0
	s_waitcnt lgkmcnt(0)
	s_mul_i32 s0, s0, s10
	s_mov_b32 s10, s5
	s_lshl_b32 s1, s0, 1
	s_cmp_eq_u32 s8, 1
	s_cselect_b32 s15, s13, s12
	v_cvt_f32_u32_e32 v1, s15
	s_sub_i32 s16, 0, s15
	v_rcp_iflag_f32_e32 v1, v1
	v_mul_f32_e32 v1, 0x4f7ffffe, v1
	v_cvt_u32_f32_e32 v2, v1
	v_mul_lo_u32 v1, s16, v2
	v_mul_hi_u32 v3, v2, v1
	v_mov_b32_e32 v1, 0
	v_add_nc_u32_e32 v2, v2, v3
	v_add_nc_u32_e32 v3, 1, v0
.LBB147_3:                              ; =>This Inner Loop Header: Depth=1
	v_lshlrev_b64 v[4:5], 2, v[0:1]
	v_mul_hi_u32 v8, v2, v0
	v_mul_hi_u32 v12, v2, v3
	v_add_nc_u32_e32 v6, 1, v0
	v_mov_b32_e32 v7, v1
	v_mov_b32_e32 v9, v1
	v_add_co_u32 v4, vcc_lo, s6, v4
	v_add_co_ci_u32_e64 v5, null, s7, v5, vcc_lo
	v_not_b32_e32 v13, v8
	v_mad_u64_u32 v[10:11], null, s16, v8, v[0:1]
	global_load_dwordx2 v[4:5], v[4:5], off
	v_not_b32_e32 v14, v12
	v_mad_u64_u32 v[11:12], null, s16, v12, v[6:7]
	v_mul_hi_u32 v15, v6, v2
	v_mad_u64_u32 v[12:13], null, s15, v13, v[0:1]
	v_add_nc_u32_e32 v16, 1, v8
	v_cmp_le_u32_e32 vcc_lo, s15, v10
	v_mad_u64_u32 v[13:14], null, s15, v14, v[6:7]
	v_cmp_le_u32_e64 s0, s15, v11
	v_add_nc_u32_e32 v17, 1, v15
	v_cndmask_b32_e32 v6, v8, v16, vcc_lo
	v_cndmask_b32_e32 v10, v10, v12, vcc_lo
	v_add_nc_u32_e32 v3, s1, v3
	v_cndmask_b32_e64 v8, v15, v17, s0
	v_add_nc_u32_e32 v12, 1, v6
	v_cndmask_b32_e64 v11, v11, v13, s0
	v_cmp_le_u32_e32 vcc_lo, s15, v10
	v_add_nc_u32_e32 v13, 1, v8
	v_cndmask_b32_e32 v6, v6, v12, vcc_lo
	v_cmp_le_u32_e32 vcc_lo, s15, v11
	v_mad_u64_u32 v[10:11], null, s16, v6, v[0:1]
	v_cndmask_b32_e32 v8, v8, v13, vcc_lo
	v_mul_lo_u32 v6, v6, s4
	v_mad_u64_u32 v[11:12], null, s16, v8, v[0:1]
	v_mul_lo_u32 v13, v10, s5
	v_mul_lo_u32 v8, v8, s4
	v_add_nc_u32_e32 v0, s1, v0
	v_mad_u64_u32 v[10:11], null, s5, v11, s[10:11]
	v_add3_u32 v6, v13, v6, s9
	v_add_nc_u32_e32 v12, 2, v0
	v_lshlrev_b64 v[6:7], 2, v[6:7]
	v_add3_u32 v8, v10, v8, s9
	v_cmp_lt_u32_e32 vcc_lo, s11, v12
	v_lshlrev_b64 v[8:9], 2, v[8:9]
	v_add_co_u32 v6, s0, s2, v6
	v_add_co_ci_u32_e64 v7, null, s3, v7, s0
	s_or_b32 s17, vcc_lo, s17
	v_add_co_u32 v8, s0, s2, v8
	v_add_co_ci_u32_e64 v9, null, s3, v9, s0
	s_waitcnt vmcnt(0)
	global_store_dword v[6:7], v4, off
	global_store_dword v[8:9], v5, off
	s_andn2_b32 exec_lo, exec_lo, s17
	s_cbranch_execnz .LBB147_3
; %bb.4:
	s_or_b32 exec_lo, exec_lo, s17
.LBB147_5:
	s_or_b32 exec_lo, exec_lo, s14
	v_cmp_gt_u32_e32 vcc_lo, s11, v0
	s_and_b32 exec_lo, exec_lo, vcc_lo
	s_cbranch_execz .LBB147_8
; %bb.6:
	s_cmp_eq_u32 s8, 1
	v_mov_b32_e32 v2, 0
	s_cselect_b32 s8, s13, s12
	v_cvt_f32_u32_e32 v1, s8
	s_sub_i32 s10, 0, s8
	v_rcp_iflag_f32_e32 v1, v1
	v_mul_f32_e32 v1, 0x4f7ffffe, v1
	v_cvt_u32_f32_e32 v3, v1
	v_mul_lo_u32 v1, s10, v3
	v_mul_hi_u32 v4, v3, v1
	v_mov_b32_e32 v1, v2
	v_lshlrev_b64 v[5:6], 2, v[0:1]
	v_add_nc_u32_e32 v7, v3, v4
	v_add_co_u32 v5, vcc_lo, s6, v5
	v_mad_u64_u32 v[3:4], null, v0, v7, 0
	v_add_co_ci_u32_e64 v6, null, s7, v6, vcc_lo
	s_mov_b32 s6, 0
	s_inst_prefetch 0x1
	.p2align	6
.LBB147_7:                              ; =>This Inner Loop Header: Depth=1
	global_load_dword v10, v[5:6], off
	v_mul_lo_u32 v1, s8, v4
	v_not_b32_e32 v8, v4
	v_add_nc_u32_e32 v11, 1, v4
	v_add_co_u32 v5, s0, v5, 4
	v_add_co_ci_u32_e64 v6, null, 0, v6, s0
	v_mad_u64_u32 v[8:9], null, s8, v8, v[0:1]
	v_sub_nc_u32_e32 v1, v0, v1
	v_cmp_le_u32_e32 vcc_lo, s8, v1
	v_cndmask_b32_e32 v9, v4, v11, vcc_lo
	v_cndmask_b32_e32 v1, v1, v8, vcc_lo
	v_add_nc_u32_e32 v8, 1, v9
	v_cmp_le_u32_e32 vcc_lo, s8, v1
	v_cndmask_b32_e32 v1, v9, v8, vcc_lo
	v_add_co_u32 v3, vcc_lo, v3, v7
	v_add_co_ci_u32_e64 v4, null, 0, v4, vcc_lo
	v_mad_u64_u32 v[8:9], null, s10, v1, v[0:1]
	v_mul_lo_u32 v1, v1, s4
	v_add_nc_u32_e32 v0, 1, v0
	v_mul_lo_u32 v8, v8, s5
	v_cmp_le_u32_e64 s0, s11, v0
	s_or_b32 s6, s0, s6
	v_add3_u32 v1, v8, v1, s9
	v_lshlrev_b64 v[8:9], 2, v[1:2]
	v_add_co_u32 v8, s1, s2, v8
	v_add_co_ci_u32_e64 v9, null, s3, v9, s1
	s_waitcnt vmcnt(0)
	global_store_dword v[8:9], v10, off
	s_andn2_b32 exec_lo, exec_lo, s6
	s_cbranch_execnz .LBB147_7
.LBB147_8:
	s_inst_prefetch 0x2
	s_endpgm
	.section	.rodata,"a",@progbits
	.p2align	6, 0x0
	.amdhsa_kernel _ZN2at6native12_GLOBAL__N_135CatArrayBatchedCopy_alignedK_contigINS1_10OpaqueTypeILj4EEEjLi2ELi64ELi64ELi8EEEvPT_NS1_25CatArrInputTensorMetadataIS5_T0_XT2_EXT3_EEENS1_16TensorSizeStrideIS8_Lj4EEEiS8_
		.amdhsa_group_segment_fixed_size 0
		.amdhsa_private_segment_fixed_size 0
		.amdhsa_kernarg_size 3696
		.amdhsa_user_sgpr_count 6
		.amdhsa_user_sgpr_private_segment_buffer 1
		.amdhsa_user_sgpr_dispatch_ptr 0
		.amdhsa_user_sgpr_queue_ptr 0
		.amdhsa_user_sgpr_kernarg_segment_ptr 1
		.amdhsa_user_sgpr_dispatch_id 0
		.amdhsa_user_sgpr_flat_scratch_init 0
		.amdhsa_user_sgpr_private_segment_size 0
		.amdhsa_wavefront_size32 1
		.amdhsa_uses_dynamic_stack 0
		.amdhsa_system_sgpr_private_segment_wavefront_offset 0
		.amdhsa_system_sgpr_workgroup_id_x 1
		.amdhsa_system_sgpr_workgroup_id_y 1
		.amdhsa_system_sgpr_workgroup_id_z 0
		.amdhsa_system_sgpr_workgroup_info 0
		.amdhsa_system_vgpr_workitem_id 0
		.amdhsa_next_free_vgpr 18
		.amdhsa_next_free_sgpr 18
		.amdhsa_reserve_vcc 1
		.amdhsa_reserve_flat_scratch 0
		.amdhsa_float_round_mode_32 0
		.amdhsa_float_round_mode_16_64 0
		.amdhsa_float_denorm_mode_32 3
		.amdhsa_float_denorm_mode_16_64 3
		.amdhsa_dx10_clamp 1
		.amdhsa_ieee_mode 1
		.amdhsa_fp16_overflow 0
		.amdhsa_workgroup_processor_mode 1
		.amdhsa_memory_ordered 1
		.amdhsa_forward_progress 1
		.amdhsa_shared_vgpr_count 0
		.amdhsa_exception_fp_ieee_invalid_op 0
		.amdhsa_exception_fp_denorm_src 0
		.amdhsa_exception_fp_ieee_div_zero 0
		.amdhsa_exception_fp_ieee_overflow 0
		.amdhsa_exception_fp_ieee_underflow 0
		.amdhsa_exception_fp_ieee_inexact 0
		.amdhsa_exception_int_div_zero 0
	.end_amdhsa_kernel
	.section	.text._ZN2at6native12_GLOBAL__N_135CatArrayBatchedCopy_alignedK_contigINS1_10OpaqueTypeILj4EEEjLi2ELi64ELi64ELi8EEEvPT_NS1_25CatArrInputTensorMetadataIS5_T0_XT2_EXT3_EEENS1_16TensorSizeStrideIS8_Lj4EEEiS8_,"axG",@progbits,_ZN2at6native12_GLOBAL__N_135CatArrayBatchedCopy_alignedK_contigINS1_10OpaqueTypeILj4EEEjLi2ELi64ELi64ELi8EEEvPT_NS1_25CatArrInputTensorMetadataIS5_T0_XT2_EXT3_EEENS1_16TensorSizeStrideIS8_Lj4EEEiS8_,comdat
.Lfunc_end147:
	.size	_ZN2at6native12_GLOBAL__N_135CatArrayBatchedCopy_alignedK_contigINS1_10OpaqueTypeILj4EEEjLi2ELi64ELi64ELi8EEEvPT_NS1_25CatArrInputTensorMetadataIS5_T0_XT2_EXT3_EEENS1_16TensorSizeStrideIS8_Lj4EEEiS8_, .Lfunc_end147-_ZN2at6native12_GLOBAL__N_135CatArrayBatchedCopy_alignedK_contigINS1_10OpaqueTypeILj4EEEjLi2ELi64ELi64ELi8EEEvPT_NS1_25CatArrInputTensorMetadataIS5_T0_XT2_EXT3_EEENS1_16TensorSizeStrideIS8_Lj4EEEiS8_
                                        ; -- End function
	.set _ZN2at6native12_GLOBAL__N_135CatArrayBatchedCopy_alignedK_contigINS1_10OpaqueTypeILj4EEEjLi2ELi64ELi64ELi8EEEvPT_NS1_25CatArrInputTensorMetadataIS5_T0_XT2_EXT3_EEENS1_16TensorSizeStrideIS8_Lj4EEEiS8_.num_vgpr, 18
	.set _ZN2at6native12_GLOBAL__N_135CatArrayBatchedCopy_alignedK_contigINS1_10OpaqueTypeILj4EEEjLi2ELi64ELi64ELi8EEEvPT_NS1_25CatArrInputTensorMetadataIS5_T0_XT2_EXT3_EEENS1_16TensorSizeStrideIS8_Lj4EEEiS8_.num_agpr, 0
	.set _ZN2at6native12_GLOBAL__N_135CatArrayBatchedCopy_alignedK_contigINS1_10OpaqueTypeILj4EEEjLi2ELi64ELi64ELi8EEEvPT_NS1_25CatArrInputTensorMetadataIS5_T0_XT2_EXT3_EEENS1_16TensorSizeStrideIS8_Lj4EEEiS8_.numbered_sgpr, 18
	.set _ZN2at6native12_GLOBAL__N_135CatArrayBatchedCopy_alignedK_contigINS1_10OpaqueTypeILj4EEEjLi2ELi64ELi64ELi8EEEvPT_NS1_25CatArrInputTensorMetadataIS5_T0_XT2_EXT3_EEENS1_16TensorSizeStrideIS8_Lj4EEEiS8_.num_named_barrier, 0
	.set _ZN2at6native12_GLOBAL__N_135CatArrayBatchedCopy_alignedK_contigINS1_10OpaqueTypeILj4EEEjLi2ELi64ELi64ELi8EEEvPT_NS1_25CatArrInputTensorMetadataIS5_T0_XT2_EXT3_EEENS1_16TensorSizeStrideIS8_Lj4EEEiS8_.private_seg_size, 0
	.set _ZN2at6native12_GLOBAL__N_135CatArrayBatchedCopy_alignedK_contigINS1_10OpaqueTypeILj4EEEjLi2ELi64ELi64ELi8EEEvPT_NS1_25CatArrInputTensorMetadataIS5_T0_XT2_EXT3_EEENS1_16TensorSizeStrideIS8_Lj4EEEiS8_.uses_vcc, 1
	.set _ZN2at6native12_GLOBAL__N_135CatArrayBatchedCopy_alignedK_contigINS1_10OpaqueTypeILj4EEEjLi2ELi64ELi64ELi8EEEvPT_NS1_25CatArrInputTensorMetadataIS5_T0_XT2_EXT3_EEENS1_16TensorSizeStrideIS8_Lj4EEEiS8_.uses_flat_scratch, 0
	.set _ZN2at6native12_GLOBAL__N_135CatArrayBatchedCopy_alignedK_contigINS1_10OpaqueTypeILj4EEEjLi2ELi64ELi64ELi8EEEvPT_NS1_25CatArrInputTensorMetadataIS5_T0_XT2_EXT3_EEENS1_16TensorSizeStrideIS8_Lj4EEEiS8_.has_dyn_sized_stack, 0
	.set _ZN2at6native12_GLOBAL__N_135CatArrayBatchedCopy_alignedK_contigINS1_10OpaqueTypeILj4EEEjLi2ELi64ELi64ELi8EEEvPT_NS1_25CatArrInputTensorMetadataIS5_T0_XT2_EXT3_EEENS1_16TensorSizeStrideIS8_Lj4EEEiS8_.has_recursion, 0
	.set _ZN2at6native12_GLOBAL__N_135CatArrayBatchedCopy_alignedK_contigINS1_10OpaqueTypeILj4EEEjLi2ELi64ELi64ELi8EEEvPT_NS1_25CatArrInputTensorMetadataIS5_T0_XT2_EXT3_EEENS1_16TensorSizeStrideIS8_Lj4EEEiS8_.has_indirect_call, 0
	.section	.AMDGPU.csdata,"",@progbits
; Kernel info:
; codeLenInByte = 960
; TotalNumSgprs: 20
; NumVgprs: 18
; ScratchSize: 0
; MemoryBound: 0
; FloatMode: 240
; IeeeMode: 1
; LDSByteSize: 0 bytes/workgroup (compile time only)
; SGPRBlocks: 0
; VGPRBlocks: 2
; NumSGPRsForWavesPerEU: 20
; NumVGPRsForWavesPerEU: 18
; Occupancy: 16
; WaveLimiterHint : 1
; COMPUTE_PGM_RSRC2:SCRATCH_EN: 0
; COMPUTE_PGM_RSRC2:USER_SGPR: 6
; COMPUTE_PGM_RSRC2:TRAP_HANDLER: 0
; COMPUTE_PGM_RSRC2:TGID_X_EN: 1
; COMPUTE_PGM_RSRC2:TGID_Y_EN: 1
; COMPUTE_PGM_RSRC2:TGID_Z_EN: 0
; COMPUTE_PGM_RSRC2:TIDIG_COMP_CNT: 0
	.section	.text._ZN2at6native12_GLOBAL__N_126CatArrayBatchedCopy_contigINS1_10OpaqueTypeILj4EEEjLi2ELi64ELi64EEEvPT_NS1_25CatArrInputTensorMetadataIS5_T0_XT2_EXT3_EEENS1_16TensorSizeStrideIS8_Lj4EEEiS8_,"axG",@progbits,_ZN2at6native12_GLOBAL__N_126CatArrayBatchedCopy_contigINS1_10OpaqueTypeILj4EEEjLi2ELi64ELi64EEEvPT_NS1_25CatArrInputTensorMetadataIS5_T0_XT2_EXT3_EEENS1_16TensorSizeStrideIS8_Lj4EEEiS8_,comdat
	.globl	_ZN2at6native12_GLOBAL__N_126CatArrayBatchedCopy_contigINS1_10OpaqueTypeILj4EEEjLi2ELi64ELi64EEEvPT_NS1_25CatArrInputTensorMetadataIS5_T0_XT2_EXT3_EEENS1_16TensorSizeStrideIS8_Lj4EEEiS8_ ; -- Begin function _ZN2at6native12_GLOBAL__N_126CatArrayBatchedCopy_contigINS1_10OpaqueTypeILj4EEEjLi2ELi64ELi64EEEvPT_NS1_25CatArrInputTensorMetadataIS5_T0_XT2_EXT3_EEENS1_16TensorSizeStrideIS8_Lj4EEEiS8_
	.p2align	8
	.type	_ZN2at6native12_GLOBAL__N_126CatArrayBatchedCopy_contigINS1_10OpaqueTypeILj4EEEjLi2ELi64ELi64EEEvPT_NS1_25CatArrInputTensorMetadataIS5_T0_XT2_EXT3_EEENS1_16TensorSizeStrideIS8_Lj4EEEiS8_,@function
_ZN2at6native12_GLOBAL__N_126CatArrayBatchedCopy_contigINS1_10OpaqueTypeILj4EEEjLi2ELi64ELi64EEEvPT_NS1_25CatArrInputTensorMetadataIS5_T0_XT2_EXT3_EEENS1_16TensorSizeStrideIS8_Lj4EEEiS8_: ; @_ZN2at6native12_GLOBAL__N_126CatArrayBatchedCopy_contigINS1_10OpaqueTypeILj4EEEjLi2ELi64ELi64EEEvPT_NS1_25CatArrInputTensorMetadataIS5_T0_XT2_EXT3_EEENS1_16TensorSizeStrideIS8_Lj4EEEiS8_
; %bb.0:
	s_mov_b32 s0, s7
	s_load_dword s7, s[4:5], 0xd7c
	s_mov_b32 s1, 0
	s_add_u32 s8, s4, 0xd70
	s_addc_u32 s9, s5, 0
	s_lshl_b64 s[2:3], s[0:1], 2
	s_mov_b32 s11, exec_lo
	s_waitcnt lgkmcnt(0)
	s_and_b32 s0, s7, 0xffff
	s_add_u32 s12, s4, s2
	s_addc_u32 s13, s5, s3
	v_mad_u64_u32 v[0:1], null, s6, s0, v[0:1]
	s_load_dword s10, s[12:13], 0x408
	s_add_u32 s6, s12, 8
	s_addc_u32 s7, s13, 0
	s_waitcnt lgkmcnt(0)
	v_cmpx_gt_u32_e64 s10, v0
	s_cbranch_execz .LBB148_3
; %bb.1:
	s_add_u32 s6, s6, s2
	s_addc_u32 s7, s7, s3
	s_sub_u32 s2, 0, s2
	s_subb_u32 s3, 0, s3
	s_add_u32 s12, s6, s2
	s_addc_u32 s13, s7, s3
	s_clause 0x4
	s_load_dwordx2 s[14:15], s[4:5], 0xd68
	s_load_dword s11, s[12:13], 0x300
	s_load_dword s16, s[4:5], 0xd4c
	s_load_dwordx2 s[2:3], s[4:5], 0xd58
	s_load_dword s13, s[12:13], 0x200
	s_load_dword s9, s[8:9], 0x0
	s_clause 0x1
	s_load_dwordx2 s[4:5], s[4:5], 0x0
	s_load_dwordx2 s[6:7], s[6:7], 0x0
	s_waitcnt lgkmcnt(0)
	s_cmp_eq_u32 s14, 1
	s_cselect_b32 s11, s11, s16
	v_cvt_f32_u32_e32 v1, s11
	s_sub_i32 s12, 0, s11
	s_mul_i32 s8, s13, s15
	s_mul_i32 s9, s9, s0
	v_rcp_iflag_f32_e32 v1, v1
	v_mul_f32_e32 v1, 0x4f7ffffe, v1
	v_cvt_u32_f32_e32 v1, v1
	v_mul_lo_u32 v2, s12, v1
	v_mul_hi_u32 v2, v1, v2
	v_add_nc_u32_e32 v2, v1, v2
	v_mov_b32_e32 v1, 0
	s_inst_prefetch 0x1
	.p2align	6
.LBB148_2:                              ; =>This Inner Loop Header: Depth=1
	v_lshlrev_b64 v[3:4], 2, v[0:1]
	v_mul_hi_u32 v6, v2, v0
	v_add_co_u32 v3, vcc_lo, s6, v3
	v_add_co_ci_u32_e64 v4, null, s7, v4, vcc_lo
	v_add_nc_u32_e32 v7, 1, v6
	global_load_dword v5, v[3:4], off
	v_mul_lo_u32 v3, s11, v6
	v_not_b32_e32 v4, v6
	v_sub_nc_u32_e32 v8, v0, v3
	v_mad_u64_u32 v[3:4], null, s11, v4, v[0:1]
	v_cmp_le_u32_e32 vcc_lo, s11, v8
	v_cndmask_b32_e32 v4, v6, v7, vcc_lo
	v_cndmask_b32_e32 v3, v8, v3, vcc_lo
	v_add_nc_u32_e32 v6, 1, v4
	v_cmp_le_u32_e32 vcc_lo, s11, v3
	v_cndmask_b32_e32 v6, v4, v6, vcc_lo
	v_mad_u64_u32 v[3:4], null, s12, v6, v[0:1]
	v_mul_lo_u32 v6, v6, s2
	v_mov_b32_e32 v4, v1
	v_add_nc_u32_e32 v0, s9, v0
	v_mul_lo_u32 v3, v3, s3
	v_cmp_le_u32_e32 vcc_lo, s10, v0
	s_or_b32 s1, vcc_lo, s1
	v_add3_u32 v3, v6, s8, v3
	v_lshlrev_b64 v[3:4], 2, v[3:4]
	v_add_co_u32 v3, s0, s4, v3
	v_add_co_ci_u32_e64 v4, null, s5, v4, s0
	s_waitcnt vmcnt(0)
	global_store_dword v[3:4], v5, off
	s_andn2_b32 exec_lo, exec_lo, s1
	s_cbranch_execnz .LBB148_2
.LBB148_3:
	s_inst_prefetch 0x2
	s_endpgm
	.section	.rodata,"a",@progbits
	.p2align	6, 0x0
	.amdhsa_kernel _ZN2at6native12_GLOBAL__N_126CatArrayBatchedCopy_contigINS1_10OpaqueTypeILj4EEEjLi2ELi64ELi64EEEvPT_NS1_25CatArrInputTensorMetadataIS5_T0_XT2_EXT3_EEENS1_16TensorSizeStrideIS8_Lj4EEEiS8_
		.amdhsa_group_segment_fixed_size 0
		.amdhsa_private_segment_fixed_size 0
		.amdhsa_kernarg_size 3696
		.amdhsa_user_sgpr_count 6
		.amdhsa_user_sgpr_private_segment_buffer 1
		.amdhsa_user_sgpr_dispatch_ptr 0
		.amdhsa_user_sgpr_queue_ptr 0
		.amdhsa_user_sgpr_kernarg_segment_ptr 1
		.amdhsa_user_sgpr_dispatch_id 0
		.amdhsa_user_sgpr_flat_scratch_init 0
		.amdhsa_user_sgpr_private_segment_size 0
		.amdhsa_wavefront_size32 1
		.amdhsa_uses_dynamic_stack 0
		.amdhsa_system_sgpr_private_segment_wavefront_offset 0
		.amdhsa_system_sgpr_workgroup_id_x 1
		.amdhsa_system_sgpr_workgroup_id_y 1
		.amdhsa_system_sgpr_workgroup_id_z 0
		.amdhsa_system_sgpr_workgroup_info 0
		.amdhsa_system_vgpr_workitem_id 0
		.amdhsa_next_free_vgpr 9
		.amdhsa_next_free_sgpr 17
		.amdhsa_reserve_vcc 1
		.amdhsa_reserve_flat_scratch 0
		.amdhsa_float_round_mode_32 0
		.amdhsa_float_round_mode_16_64 0
		.amdhsa_float_denorm_mode_32 3
		.amdhsa_float_denorm_mode_16_64 3
		.amdhsa_dx10_clamp 1
		.amdhsa_ieee_mode 1
		.amdhsa_fp16_overflow 0
		.amdhsa_workgroup_processor_mode 1
		.amdhsa_memory_ordered 1
		.amdhsa_forward_progress 1
		.amdhsa_shared_vgpr_count 0
		.amdhsa_exception_fp_ieee_invalid_op 0
		.amdhsa_exception_fp_denorm_src 0
		.amdhsa_exception_fp_ieee_div_zero 0
		.amdhsa_exception_fp_ieee_overflow 0
		.amdhsa_exception_fp_ieee_underflow 0
		.amdhsa_exception_fp_ieee_inexact 0
		.amdhsa_exception_int_div_zero 0
	.end_amdhsa_kernel
	.section	.text._ZN2at6native12_GLOBAL__N_126CatArrayBatchedCopy_contigINS1_10OpaqueTypeILj4EEEjLi2ELi64ELi64EEEvPT_NS1_25CatArrInputTensorMetadataIS5_T0_XT2_EXT3_EEENS1_16TensorSizeStrideIS8_Lj4EEEiS8_,"axG",@progbits,_ZN2at6native12_GLOBAL__N_126CatArrayBatchedCopy_contigINS1_10OpaqueTypeILj4EEEjLi2ELi64ELi64EEEvPT_NS1_25CatArrInputTensorMetadataIS5_T0_XT2_EXT3_EEENS1_16TensorSizeStrideIS8_Lj4EEEiS8_,comdat
.Lfunc_end148:
	.size	_ZN2at6native12_GLOBAL__N_126CatArrayBatchedCopy_contigINS1_10OpaqueTypeILj4EEEjLi2ELi64ELi64EEEvPT_NS1_25CatArrInputTensorMetadataIS5_T0_XT2_EXT3_EEENS1_16TensorSizeStrideIS8_Lj4EEEiS8_, .Lfunc_end148-_ZN2at6native12_GLOBAL__N_126CatArrayBatchedCopy_contigINS1_10OpaqueTypeILj4EEEjLi2ELi64ELi64EEEvPT_NS1_25CatArrInputTensorMetadataIS5_T0_XT2_EXT3_EEENS1_16TensorSizeStrideIS8_Lj4EEEiS8_
                                        ; -- End function
	.set _ZN2at6native12_GLOBAL__N_126CatArrayBatchedCopy_contigINS1_10OpaqueTypeILj4EEEjLi2ELi64ELi64EEEvPT_NS1_25CatArrInputTensorMetadataIS5_T0_XT2_EXT3_EEENS1_16TensorSizeStrideIS8_Lj4EEEiS8_.num_vgpr, 9
	.set _ZN2at6native12_GLOBAL__N_126CatArrayBatchedCopy_contigINS1_10OpaqueTypeILj4EEEjLi2ELi64ELi64EEEvPT_NS1_25CatArrInputTensorMetadataIS5_T0_XT2_EXT3_EEENS1_16TensorSizeStrideIS8_Lj4EEEiS8_.num_agpr, 0
	.set _ZN2at6native12_GLOBAL__N_126CatArrayBatchedCopy_contigINS1_10OpaqueTypeILj4EEEjLi2ELi64ELi64EEEvPT_NS1_25CatArrInputTensorMetadataIS5_T0_XT2_EXT3_EEENS1_16TensorSizeStrideIS8_Lj4EEEiS8_.numbered_sgpr, 17
	.set _ZN2at6native12_GLOBAL__N_126CatArrayBatchedCopy_contigINS1_10OpaqueTypeILj4EEEjLi2ELi64ELi64EEEvPT_NS1_25CatArrInputTensorMetadataIS5_T0_XT2_EXT3_EEENS1_16TensorSizeStrideIS8_Lj4EEEiS8_.num_named_barrier, 0
	.set _ZN2at6native12_GLOBAL__N_126CatArrayBatchedCopy_contigINS1_10OpaqueTypeILj4EEEjLi2ELi64ELi64EEEvPT_NS1_25CatArrInputTensorMetadataIS5_T0_XT2_EXT3_EEENS1_16TensorSizeStrideIS8_Lj4EEEiS8_.private_seg_size, 0
	.set _ZN2at6native12_GLOBAL__N_126CatArrayBatchedCopy_contigINS1_10OpaqueTypeILj4EEEjLi2ELi64ELi64EEEvPT_NS1_25CatArrInputTensorMetadataIS5_T0_XT2_EXT3_EEENS1_16TensorSizeStrideIS8_Lj4EEEiS8_.uses_vcc, 1
	.set _ZN2at6native12_GLOBAL__N_126CatArrayBatchedCopy_contigINS1_10OpaqueTypeILj4EEEjLi2ELi64ELi64EEEvPT_NS1_25CatArrInputTensorMetadataIS5_T0_XT2_EXT3_EEENS1_16TensorSizeStrideIS8_Lj4EEEiS8_.uses_flat_scratch, 0
	.set _ZN2at6native12_GLOBAL__N_126CatArrayBatchedCopy_contigINS1_10OpaqueTypeILj4EEEjLi2ELi64ELi64EEEvPT_NS1_25CatArrInputTensorMetadataIS5_T0_XT2_EXT3_EEENS1_16TensorSizeStrideIS8_Lj4EEEiS8_.has_dyn_sized_stack, 0
	.set _ZN2at6native12_GLOBAL__N_126CatArrayBatchedCopy_contigINS1_10OpaqueTypeILj4EEEjLi2ELi64ELi64EEEvPT_NS1_25CatArrInputTensorMetadataIS5_T0_XT2_EXT3_EEENS1_16TensorSizeStrideIS8_Lj4EEEiS8_.has_recursion, 0
	.set _ZN2at6native12_GLOBAL__N_126CatArrayBatchedCopy_contigINS1_10OpaqueTypeILj4EEEjLi2ELi64ELi64EEEvPT_NS1_25CatArrInputTensorMetadataIS5_T0_XT2_EXT3_EEENS1_16TensorSizeStrideIS8_Lj4EEEiS8_.has_indirect_call, 0
	.section	.AMDGPU.csdata,"",@progbits
; Kernel info:
; codeLenInByte = 512
; TotalNumSgprs: 19
; NumVgprs: 9
; ScratchSize: 0
; MemoryBound: 0
; FloatMode: 240
; IeeeMode: 1
; LDSByteSize: 0 bytes/workgroup (compile time only)
; SGPRBlocks: 0
; VGPRBlocks: 1
; NumSGPRsForWavesPerEU: 19
; NumVGPRsForWavesPerEU: 9
; Occupancy: 16
; WaveLimiterHint : 1
; COMPUTE_PGM_RSRC2:SCRATCH_EN: 0
; COMPUTE_PGM_RSRC2:USER_SGPR: 6
; COMPUTE_PGM_RSRC2:TRAP_HANDLER: 0
; COMPUTE_PGM_RSRC2:TGID_X_EN: 1
; COMPUTE_PGM_RSRC2:TGID_Y_EN: 1
; COMPUTE_PGM_RSRC2:TGID_Z_EN: 0
; COMPUTE_PGM_RSRC2:TIDIG_COMP_CNT: 0
	.section	.text._ZN2at6native12_GLOBAL__N_119CatArrayBatchedCopyINS1_10OpaqueTypeILj4EEEjLi2ELi64ELi64EEEvPT_NS1_25CatArrInputTensorMetadataIS5_T0_XT2_EXT3_EEENS1_16TensorSizeStrideIS8_Lj4EEEiS8_,"axG",@progbits,_ZN2at6native12_GLOBAL__N_119CatArrayBatchedCopyINS1_10OpaqueTypeILj4EEEjLi2ELi64ELi64EEEvPT_NS1_25CatArrInputTensorMetadataIS5_T0_XT2_EXT3_EEENS1_16TensorSizeStrideIS8_Lj4EEEiS8_,comdat
	.globl	_ZN2at6native12_GLOBAL__N_119CatArrayBatchedCopyINS1_10OpaqueTypeILj4EEEjLi2ELi64ELi64EEEvPT_NS1_25CatArrInputTensorMetadataIS5_T0_XT2_EXT3_EEENS1_16TensorSizeStrideIS8_Lj4EEEiS8_ ; -- Begin function _ZN2at6native12_GLOBAL__N_119CatArrayBatchedCopyINS1_10OpaqueTypeILj4EEEjLi2ELi64ELi64EEEvPT_NS1_25CatArrInputTensorMetadataIS5_T0_XT2_EXT3_EEENS1_16TensorSizeStrideIS8_Lj4EEEiS8_
	.p2align	8
	.type	_ZN2at6native12_GLOBAL__N_119CatArrayBatchedCopyINS1_10OpaqueTypeILj4EEEjLi2ELi64ELi64EEEvPT_NS1_25CatArrInputTensorMetadataIS5_T0_XT2_EXT3_EEENS1_16TensorSizeStrideIS8_Lj4EEEiS8_,@function
_ZN2at6native12_GLOBAL__N_119CatArrayBatchedCopyINS1_10OpaqueTypeILj4EEEjLi2ELi64ELi64EEEvPT_NS1_25CatArrInputTensorMetadataIS5_T0_XT2_EXT3_EEENS1_16TensorSizeStrideIS8_Lj4EEEiS8_: ; @_ZN2at6native12_GLOBAL__N_119CatArrayBatchedCopyINS1_10OpaqueTypeILj4EEEjLi2ELi64ELi64EEEvPT_NS1_25CatArrInputTensorMetadataIS5_T0_XT2_EXT3_EEENS1_16TensorSizeStrideIS8_Lj4EEEiS8_
; %bb.0:
	s_load_dword s8, s[4:5], 0xd7c
	s_mov_b32 s0, s7
	s_or_b32 s7, s4, 8
	s_mov_b32 s1, 0
	s_add_u32 s10, s4, 0xd70
	s_addc_u32 s11, s5, 0
	s_lshl_b64 s[2:3], s[0:1], 2
	s_mov_b32 s13, exec_lo
	s_waitcnt lgkmcnt(0)
	s_and_b32 s17, s8, 0xffff
	s_add_u32 s8, s7, s2
	s_addc_u32 s9, s5, s3
	v_mad_u64_u32 v[0:1], null, s6, s17, v[0:1]
	s_load_dword s12, s[8:9], 0x400
	s_waitcnt lgkmcnt(0)
	v_cmpx_gt_u32_e64 s12, v0
	s_cbranch_execz .LBB149_5
; %bb.1:
	s_mul_i32 s13, s0, 28
	s_mul_hi_u32 s14, s0, 28
	s_add_u32 s8, s8, s13
	v_mov_b32_e32 v1, 0
	s_addc_u32 s9, s9, s14
	s_add_u32 s14, s7, s0
	s_addc_u32 s15, s5, 0
	s_load_dwordx2 s[18:19], s[4:5], 0xd68
	global_load_ubyte v2, v1, s[14:15] offset:1280
	s_mul_hi_u32 s6, s0, 7
	s_mul_i32 s0, s0, 7
	s_waitcnt vmcnt(0)
	v_and_b32_e32 v2, 1, v2
	v_cmp_eq_u32_e32 vcc_lo, 1, v2
	s_xor_b32 s13, vcc_lo, -1
	s_add_u32 s14, s14, s0
	s_addc_u32 s15, s15, s6
	s_sub_u32 s0, 0, s2
	s_subb_u32 s2, 0, s3
	s_add_u32 s20, s14, s0
	s_addc_u32 s21, s15, s2
	s_clause 0x3
	s_load_dword s0, s[4:5], 0xd4c
	s_load_dword s16, s[20:21], 0x300
	;; [unrolled: 1-line block ×3, first 2 shown]
	s_load_dwordx2 s[2:3], s[4:5], 0xd58
	s_waitcnt lgkmcnt(0)
	s_cmp_eq_u32 s18, 1
	s_clause 0x3
	s_load_dwordx2 s[6:7], s[8:9], 0x550
	s_load_dwordx2 s[8:9], s[14:15], 0x0
	s_load_dword s18, s[20:21], 0x200
	s_load_dwordx2 s[4:5], s[4:5], 0x0
	s_cselect_b32 s14, s16, s0
	s_cselect_b32 s15, s16, s22
	v_cvt_f32_u32_e32 v2, s14
	v_cvt_f32_u32_e32 v3, s15
	s_load_dword s0, s[10:11], 0x0
	s_sub_i32 s10, 0, s14
	s_sub_i32 s11, 0, s15
	v_rcp_iflag_f32_e32 v2, v2
	v_rcp_iflag_f32_e32 v3, v3
	s_waitcnt lgkmcnt(0)
	s_mul_i32 s16, s18, s19
	v_mul_f32_e32 v2, 0x4f7ffffe, v2
	v_mul_f32_e32 v3, 0x4f7ffffe, v3
	v_cvt_u32_f32_e32 v2, v2
	v_cvt_u32_f32_e32 v3, v3
	s_mul_i32 s17, s0, s17
	v_mul_lo_u32 v4, s10, v2
	v_mul_lo_u32 v5, s11, v3
	v_mul_hi_u32 v4, v2, v4
	v_mul_hi_u32 v5, v3, v5
	v_add_nc_u32_e32 v4, v2, v4
	v_add_nc_u32_e32 v5, v3, v5
	s_branch .LBB149_3
.LBB149_2:                              ;   in Loop: Header=BB149_3 Depth=1
	v_lshlrev_b64 v[2:3], 2, v[2:3]
	v_mul_hi_u32 v9, v4, v0
	v_add_co_u32 v2, vcc_lo, s8, v2
	v_add_co_ci_u32_e64 v3, null, s9, v3, vcc_lo
	v_not_b32_e32 v6, v9
	global_load_dword v8, v[2:3], off
	v_mad_u64_u32 v[2:3], null, s10, v9, v[0:1]
	v_mad_u64_u32 v[6:7], null, s14, v6, v[0:1]
	v_add_nc_u32_e32 v3, 1, v9
	v_cmp_le_u32_e32 vcc_lo, s14, v2
	v_cndmask_b32_e32 v3, v9, v3, vcc_lo
	v_cndmask_b32_e32 v2, v2, v6, vcc_lo
	v_add_nc_u32_e32 v6, 1, v3
	v_cmp_le_u32_e32 vcc_lo, s14, v2
	v_cndmask_b32_e32 v6, v3, v6, vcc_lo
	v_mad_u64_u32 v[2:3], null, s10, v6, v[0:1]
	v_mul_lo_u32 v3, v6, s2
	v_add_nc_u32_e32 v0, s17, v0
	v_cmp_le_u32_e32 vcc_lo, s12, v0
	v_mul_lo_u32 v2, v2, s3
	s_or_b32 s1, vcc_lo, s1
	v_add3_u32 v2, v2, v3, s16
	v_mov_b32_e32 v3, v1
	v_lshlrev_b64 v[2:3], 2, v[2:3]
	v_add_co_u32 v2, s0, s4, v2
	v_add_co_ci_u32_e64 v3, null, s5, v3, s0
	s_waitcnt vmcnt(0)
	global_store_dword v[2:3], v8, off
	s_andn2_b32 exec_lo, exec_lo, s1
	s_cbranch_execz .LBB149_5
.LBB149_3:                              ; =>This Inner Loop Header: Depth=1
	v_mov_b32_e32 v3, v1
	v_mov_b32_e32 v2, v0
	s_andn2_b32 vcc_lo, exec_lo, s13
	s_cbranch_vccnz .LBB149_2
; %bb.4:                                ;   in Loop: Header=BB149_3 Depth=1
	v_mul_hi_u32 v8, v5, v0
	v_not_b32_e32 v6, v8
	v_mad_u64_u32 v[2:3], null, s11, v8, v[0:1]
	v_add_nc_u32_e32 v3, 1, v8
	v_mad_u64_u32 v[6:7], null, s15, v6, v[0:1]
	v_cmp_le_u32_e32 vcc_lo, s15, v2
	v_cndmask_b32_e32 v3, v8, v3, vcc_lo
	v_cndmask_b32_e32 v2, v2, v6, vcc_lo
	v_add_nc_u32_e32 v6, 1, v3
	v_cmp_le_u32_e32 vcc_lo, s15, v2
	v_cndmask_b32_e32 v6, v3, v6, vcc_lo
	v_mad_u64_u32 v[2:3], null, s11, v6, v[0:1]
	v_mul_lo_u32 v3, v6, s6
	v_mad_u64_u32 v[2:3], null, v2, s7, v[3:4]
	v_mov_b32_e32 v3, v1
	s_branch .LBB149_2
.LBB149_5:
	s_endpgm
	.section	.rodata,"a",@progbits
	.p2align	6, 0x0
	.amdhsa_kernel _ZN2at6native12_GLOBAL__N_119CatArrayBatchedCopyINS1_10OpaqueTypeILj4EEEjLi2ELi64ELi64EEEvPT_NS1_25CatArrInputTensorMetadataIS5_T0_XT2_EXT3_EEENS1_16TensorSizeStrideIS8_Lj4EEEiS8_
		.amdhsa_group_segment_fixed_size 0
		.amdhsa_private_segment_fixed_size 0
		.amdhsa_kernarg_size 3696
		.amdhsa_user_sgpr_count 6
		.amdhsa_user_sgpr_private_segment_buffer 1
		.amdhsa_user_sgpr_dispatch_ptr 0
		.amdhsa_user_sgpr_queue_ptr 0
		.amdhsa_user_sgpr_kernarg_segment_ptr 1
		.amdhsa_user_sgpr_dispatch_id 0
		.amdhsa_user_sgpr_flat_scratch_init 0
		.amdhsa_user_sgpr_private_segment_size 0
		.amdhsa_wavefront_size32 1
		.amdhsa_uses_dynamic_stack 0
		.amdhsa_system_sgpr_private_segment_wavefront_offset 0
		.amdhsa_system_sgpr_workgroup_id_x 1
		.amdhsa_system_sgpr_workgroup_id_y 1
		.amdhsa_system_sgpr_workgroup_id_z 0
		.amdhsa_system_sgpr_workgroup_info 0
		.amdhsa_system_vgpr_workitem_id 0
		.amdhsa_next_free_vgpr 10
		.amdhsa_next_free_sgpr 23
		.amdhsa_reserve_vcc 1
		.amdhsa_reserve_flat_scratch 0
		.amdhsa_float_round_mode_32 0
		.amdhsa_float_round_mode_16_64 0
		.amdhsa_float_denorm_mode_32 3
		.amdhsa_float_denorm_mode_16_64 3
		.amdhsa_dx10_clamp 1
		.amdhsa_ieee_mode 1
		.amdhsa_fp16_overflow 0
		.amdhsa_workgroup_processor_mode 1
		.amdhsa_memory_ordered 1
		.amdhsa_forward_progress 1
		.amdhsa_shared_vgpr_count 0
		.amdhsa_exception_fp_ieee_invalid_op 0
		.amdhsa_exception_fp_denorm_src 0
		.amdhsa_exception_fp_ieee_div_zero 0
		.amdhsa_exception_fp_ieee_overflow 0
		.amdhsa_exception_fp_ieee_underflow 0
		.amdhsa_exception_fp_ieee_inexact 0
		.amdhsa_exception_int_div_zero 0
	.end_amdhsa_kernel
	.section	.text._ZN2at6native12_GLOBAL__N_119CatArrayBatchedCopyINS1_10OpaqueTypeILj4EEEjLi2ELi64ELi64EEEvPT_NS1_25CatArrInputTensorMetadataIS5_T0_XT2_EXT3_EEENS1_16TensorSizeStrideIS8_Lj4EEEiS8_,"axG",@progbits,_ZN2at6native12_GLOBAL__N_119CatArrayBatchedCopyINS1_10OpaqueTypeILj4EEEjLi2ELi64ELi64EEEvPT_NS1_25CatArrInputTensorMetadataIS5_T0_XT2_EXT3_EEENS1_16TensorSizeStrideIS8_Lj4EEEiS8_,comdat
.Lfunc_end149:
	.size	_ZN2at6native12_GLOBAL__N_119CatArrayBatchedCopyINS1_10OpaqueTypeILj4EEEjLi2ELi64ELi64EEEvPT_NS1_25CatArrInputTensorMetadataIS5_T0_XT2_EXT3_EEENS1_16TensorSizeStrideIS8_Lj4EEEiS8_, .Lfunc_end149-_ZN2at6native12_GLOBAL__N_119CatArrayBatchedCopyINS1_10OpaqueTypeILj4EEEjLi2ELi64ELi64EEEvPT_NS1_25CatArrInputTensorMetadataIS5_T0_XT2_EXT3_EEENS1_16TensorSizeStrideIS8_Lj4EEEiS8_
                                        ; -- End function
	.set _ZN2at6native12_GLOBAL__N_119CatArrayBatchedCopyINS1_10OpaqueTypeILj4EEEjLi2ELi64ELi64EEEvPT_NS1_25CatArrInputTensorMetadataIS5_T0_XT2_EXT3_EEENS1_16TensorSizeStrideIS8_Lj4EEEiS8_.num_vgpr, 10
	.set _ZN2at6native12_GLOBAL__N_119CatArrayBatchedCopyINS1_10OpaqueTypeILj4EEEjLi2ELi64ELi64EEEvPT_NS1_25CatArrInputTensorMetadataIS5_T0_XT2_EXT3_EEENS1_16TensorSizeStrideIS8_Lj4EEEiS8_.num_agpr, 0
	.set _ZN2at6native12_GLOBAL__N_119CatArrayBatchedCopyINS1_10OpaqueTypeILj4EEEjLi2ELi64ELi64EEEvPT_NS1_25CatArrInputTensorMetadataIS5_T0_XT2_EXT3_EEENS1_16TensorSizeStrideIS8_Lj4EEEiS8_.numbered_sgpr, 23
	.set _ZN2at6native12_GLOBAL__N_119CatArrayBatchedCopyINS1_10OpaqueTypeILj4EEEjLi2ELi64ELi64EEEvPT_NS1_25CatArrInputTensorMetadataIS5_T0_XT2_EXT3_EEENS1_16TensorSizeStrideIS8_Lj4EEEiS8_.num_named_barrier, 0
	.set _ZN2at6native12_GLOBAL__N_119CatArrayBatchedCopyINS1_10OpaqueTypeILj4EEEjLi2ELi64ELi64EEEvPT_NS1_25CatArrInputTensorMetadataIS5_T0_XT2_EXT3_EEENS1_16TensorSizeStrideIS8_Lj4EEEiS8_.private_seg_size, 0
	.set _ZN2at6native12_GLOBAL__N_119CatArrayBatchedCopyINS1_10OpaqueTypeILj4EEEjLi2ELi64ELi64EEEvPT_NS1_25CatArrInputTensorMetadataIS5_T0_XT2_EXT3_EEENS1_16TensorSizeStrideIS8_Lj4EEEiS8_.uses_vcc, 1
	.set _ZN2at6native12_GLOBAL__N_119CatArrayBatchedCopyINS1_10OpaqueTypeILj4EEEjLi2ELi64ELi64EEEvPT_NS1_25CatArrInputTensorMetadataIS5_T0_XT2_EXT3_EEENS1_16TensorSizeStrideIS8_Lj4EEEiS8_.uses_flat_scratch, 0
	.set _ZN2at6native12_GLOBAL__N_119CatArrayBatchedCopyINS1_10OpaqueTypeILj4EEEjLi2ELi64ELi64EEEvPT_NS1_25CatArrInputTensorMetadataIS5_T0_XT2_EXT3_EEENS1_16TensorSizeStrideIS8_Lj4EEEiS8_.has_dyn_sized_stack, 0
	.set _ZN2at6native12_GLOBAL__N_119CatArrayBatchedCopyINS1_10OpaqueTypeILj4EEEjLi2ELi64ELi64EEEvPT_NS1_25CatArrInputTensorMetadataIS5_T0_XT2_EXT3_EEENS1_16TensorSizeStrideIS8_Lj4EEEiS8_.has_recursion, 0
	.set _ZN2at6native12_GLOBAL__N_119CatArrayBatchedCopyINS1_10OpaqueTypeILj4EEEjLi2ELi64ELi64EEEvPT_NS1_25CatArrInputTensorMetadataIS5_T0_XT2_EXT3_EEENS1_16TensorSizeStrideIS8_Lj4EEEiS8_.has_indirect_call, 0
	.section	.AMDGPU.csdata,"",@progbits
; Kernel info:
; codeLenInByte = 672
; TotalNumSgprs: 25
; NumVgprs: 10
; ScratchSize: 0
; MemoryBound: 0
; FloatMode: 240
; IeeeMode: 1
; LDSByteSize: 0 bytes/workgroup (compile time only)
; SGPRBlocks: 0
; VGPRBlocks: 1
; NumSGPRsForWavesPerEU: 25
; NumVGPRsForWavesPerEU: 10
; Occupancy: 16
; WaveLimiterHint : 1
; COMPUTE_PGM_RSRC2:SCRATCH_EN: 0
; COMPUTE_PGM_RSRC2:USER_SGPR: 6
; COMPUTE_PGM_RSRC2:TRAP_HANDLER: 0
; COMPUTE_PGM_RSRC2:TGID_X_EN: 1
; COMPUTE_PGM_RSRC2:TGID_Y_EN: 1
; COMPUTE_PGM_RSRC2:TGID_Z_EN: 0
; COMPUTE_PGM_RSRC2:TIDIG_COMP_CNT: 0
	.section	.text._ZN2at6native12_GLOBAL__N_130CatArrayBatchedCopy_vectorizedINS1_10OpaqueTypeILj4EEEjLi3ELi64ELi64ELi16ELi4EEEvPcNS1_25CatArrInputTensorMetadataIT_T0_XT2_EXT3_EEENS1_16TensorSizeStrideIS8_Lj4EEEiS8_,"axG",@progbits,_ZN2at6native12_GLOBAL__N_130CatArrayBatchedCopy_vectorizedINS1_10OpaqueTypeILj4EEEjLi3ELi64ELi64ELi16ELi4EEEvPcNS1_25CatArrInputTensorMetadataIT_T0_XT2_EXT3_EEENS1_16TensorSizeStrideIS8_Lj4EEEiS8_,comdat
	.globl	_ZN2at6native12_GLOBAL__N_130CatArrayBatchedCopy_vectorizedINS1_10OpaqueTypeILj4EEEjLi3ELi64ELi64ELi16ELi4EEEvPcNS1_25CatArrInputTensorMetadataIT_T0_XT2_EXT3_EEENS1_16TensorSizeStrideIS8_Lj4EEEiS8_ ; -- Begin function _ZN2at6native12_GLOBAL__N_130CatArrayBatchedCopy_vectorizedINS1_10OpaqueTypeILj4EEEjLi3ELi64ELi64ELi16ELi4EEEvPcNS1_25CatArrInputTensorMetadataIT_T0_XT2_EXT3_EEENS1_16TensorSizeStrideIS8_Lj4EEEiS8_
	.p2align	8
	.type	_ZN2at6native12_GLOBAL__N_130CatArrayBatchedCopy_vectorizedINS1_10OpaqueTypeILj4EEEjLi3ELi64ELi64ELi16ELi4EEEvPcNS1_25CatArrInputTensorMetadataIT_T0_XT2_EXT3_EEENS1_16TensorSizeStrideIS8_Lj4EEEiS8_,@function
_ZN2at6native12_GLOBAL__N_130CatArrayBatchedCopy_vectorizedINS1_10OpaqueTypeILj4EEEjLi3ELi64ELi64ELi16ELi4EEEvPcNS1_25CatArrInputTensorMetadataIT_T0_XT2_EXT3_EEENS1_16TensorSizeStrideIS8_Lj4EEEiS8_: ; @_ZN2at6native12_GLOBAL__N_130CatArrayBatchedCopy_vectorizedINS1_10OpaqueTypeILj4EEEjLi3ELi64ELi64ELi16ELi4EEEvPcNS1_25CatArrInputTensorMetadataIT_T0_XT2_EXT3_EEENS1_16TensorSizeStrideIS8_Lj4EEEiS8_
; %bb.0:
	s_mov_b32 s0, s7
	s_load_dword s7, s[4:5], 0xd7c
	s_mov_b32 s1, 0
	s_add_u32 s2, s4, 0xd70
	s_addc_u32 s3, s5, 0
	s_lshl_b64 s[8:9], s[0:1], 2
	s_waitcnt lgkmcnt(0)
	s_and_b32 s13, s7, 0xffff
	s_add_u32 s10, s4, s8
	s_addc_u32 s11, s5, s9
	v_mad_u64_u32 v[0:1], null, s6, s13, v[0:1]
	s_load_dword s12, s[10:11], 0x408
	s_add_u32 s0, s10, 8
	s_addc_u32 s7, s11, 0
	s_mov_b32 s10, exec_lo
	s_waitcnt lgkmcnt(0)
	s_lshr_b32 s6, s12, 2
	v_cmpx_gt_u32_e64 s6, v0
	s_cbranch_execz .LBB150_3
; %bb.1:
	s_add_u32 s14, s0, s8
	s_addc_u32 s15, s7, s9
	s_sub_u32 s0, 0, s8
	s_subb_u32 s7, 0, s9
	s_add_u32 s8, s14, s0
	s_addc_u32 s9, s15, s7
	s_clause 0x5
	s_load_dwordx2 s[16:17], s[4:5], 0xd68
	s_load_dword s0, s[8:9], 0x200
	s_load_dword s7, s[8:9], 0x300
	s_load_dwordx2 s[18:19], s[4:5], 0xd4c
	s_load_dwordx4 s[8:11], s[4:5], 0xd58
	s_load_dwordx2 s[22:23], s[4:5], 0x0
	s_waitcnt lgkmcnt(0)
	s_mul_i32 s0, s0, s17
	s_mul_i32 s7, s7, s17
	s_lshr_b32 s0, s0, 2
	s_lshr_b32 s7, s7, 2
	s_lshl_b64 s[20:21], s[0:1], 4
	s_cmp_eq_u32 s16, 2
	s_cselect_b32 s4, s7, s19
	s_cmp_eq_u32 s16, 1
	v_cvt_f32_u32_e32 v1, s4
	s_cselect_b32 s5, s7, s18
	s_add_u32 s7, s22, s20
	v_cvt_f32_u32_e32 v2, s5
	s_addc_u32 s11, s23, s21
	v_rcp_iflag_f32_e32 v1, v1
	s_sub_i32 s12, 0, s4
	s_sub_i32 s0, 0, s5
	v_rcp_iflag_f32_e32 v2, v2
	s_load_dword s16, s[2:3], 0x0
	s_load_dwordx2 s[2:3], s[14:15], 0x0
	v_mul_f32_e32 v1, 0x4f7ffffe, v1
	v_mul_f32_e32 v2, 0x4f7ffffe, v2
	v_cvt_u32_f32_e32 v1, v1
	v_cvt_u32_f32_e32 v3, v2
	v_mul_lo_u32 v2, s12, v1
	v_mul_lo_u32 v4, s0, v3
	s_waitcnt lgkmcnt(0)
	s_mul_i32 s13, s16, s13
	v_mul_hi_u32 v2, v1, v2
	v_mul_hi_u32 v4, v3, v4
	v_add_nc_u32_e32 v2, v1, v2
	v_mov_b32_e32 v1, 0
	v_add_nc_u32_e32 v3, v3, v4
.LBB150_2:                              ; =>This Inner Loop Header: Depth=1
	v_lshlrev_b64 v[4:5], 4, v[0:1]
	v_mul_hi_u32 v10, v2, v0
	v_add_co_u32 v4, vcc_lo, s2, v4
	v_add_co_ci_u32_e64 v5, null, s3, v5, vcc_lo
	v_mul_lo_u32 v11, s4, v10
	v_not_b32_e32 v8, v10
	v_add_nc_u32_e32 v12, 1, v10
	global_load_dwordx4 v[4:7], v[4:5], off
	v_mad_u64_u32 v[8:9], null, s4, v8, v[0:1]
	v_sub_nc_u32_e32 v9, v0, v11
	v_cmp_le_u32_e32 vcc_lo, s4, v9
	v_cndmask_b32_e32 v10, v10, v12, vcc_lo
	v_cndmask_b32_e32 v8, v9, v8, vcc_lo
	v_add_nc_u32_e32 v9, 1, v10
	v_cmp_le_u32_e32 vcc_lo, s4, v8
	v_cndmask_b32_e32 v10, v10, v9, vcc_lo
	v_mul_hi_u32 v8, v10, v3
	v_mul_lo_u32 v9, v8, s5
	v_add_nc_u32_e32 v11, 1, v8
	v_sub_nc_u32_e32 v9, v10, v9
	v_subrev_nc_u32_e32 v12, s5, v9
	v_cmp_le_u32_e32 vcc_lo, s5, v9
	v_cndmask_b32_e32 v8, v8, v11, vcc_lo
	v_cndmask_b32_e32 v9, v9, v12, vcc_lo
	v_add_nc_u32_e32 v11, 1, v8
	v_cmp_le_u32_e32 vcc_lo, s5, v9
	v_cndmask_b32_e32 v11, v8, v11, vcc_lo
	v_mad_u64_u32 v[8:9], null, s12, v10, v[0:1]
	v_add_nc_u32_e32 v0, s13, v0
	v_mul_lo_u32 v12, v11, s5
	v_cmp_le_u32_e32 vcc_lo, s6, v0
	v_mul_lo_u32 v8, v8, s10
	v_sub_nc_u32_e32 v9, v10, v12
	v_mul_lo_u32 v10, v11, s8
	s_or_b32 s1, vcc_lo, s1
	v_mul_lo_u32 v11, v9, s9
	v_mov_b32_e32 v9, v1
	v_add3_u32 v8, v8, v10, v11
	v_lshlrev_b64 v[8:9], 4, v[8:9]
	v_add_co_u32 v8, s0, s7, v8
	v_add_co_ci_u32_e64 v9, null, s11, v9, s0
	s_waitcnt vmcnt(0)
	global_store_dwordx4 v[8:9], v[4:7], off
	s_andn2_b32 exec_lo, exec_lo, s1
	s_cbranch_execnz .LBB150_2
.LBB150_3:
	s_endpgm
	.section	.rodata,"a",@progbits
	.p2align	6, 0x0
	.amdhsa_kernel _ZN2at6native12_GLOBAL__N_130CatArrayBatchedCopy_vectorizedINS1_10OpaqueTypeILj4EEEjLi3ELi64ELi64ELi16ELi4EEEvPcNS1_25CatArrInputTensorMetadataIT_T0_XT2_EXT3_EEENS1_16TensorSizeStrideIS8_Lj4EEEiS8_
		.amdhsa_group_segment_fixed_size 0
		.amdhsa_private_segment_fixed_size 0
		.amdhsa_kernarg_size 3696
		.amdhsa_user_sgpr_count 6
		.amdhsa_user_sgpr_private_segment_buffer 1
		.amdhsa_user_sgpr_dispatch_ptr 0
		.amdhsa_user_sgpr_queue_ptr 0
		.amdhsa_user_sgpr_kernarg_segment_ptr 1
		.amdhsa_user_sgpr_dispatch_id 0
		.amdhsa_user_sgpr_flat_scratch_init 0
		.amdhsa_user_sgpr_private_segment_size 0
		.amdhsa_wavefront_size32 1
		.amdhsa_uses_dynamic_stack 0
		.amdhsa_system_sgpr_private_segment_wavefront_offset 0
		.amdhsa_system_sgpr_workgroup_id_x 1
		.amdhsa_system_sgpr_workgroup_id_y 1
		.amdhsa_system_sgpr_workgroup_id_z 0
		.amdhsa_system_sgpr_workgroup_info 0
		.amdhsa_system_vgpr_workitem_id 0
		.amdhsa_next_free_vgpr 13
		.amdhsa_next_free_sgpr 24
		.amdhsa_reserve_vcc 1
		.amdhsa_reserve_flat_scratch 0
		.amdhsa_float_round_mode_32 0
		.amdhsa_float_round_mode_16_64 0
		.amdhsa_float_denorm_mode_32 3
		.amdhsa_float_denorm_mode_16_64 3
		.amdhsa_dx10_clamp 1
		.amdhsa_ieee_mode 1
		.amdhsa_fp16_overflow 0
		.amdhsa_workgroup_processor_mode 1
		.amdhsa_memory_ordered 1
		.amdhsa_forward_progress 1
		.amdhsa_shared_vgpr_count 0
		.amdhsa_exception_fp_ieee_invalid_op 0
		.amdhsa_exception_fp_denorm_src 0
		.amdhsa_exception_fp_ieee_div_zero 0
		.amdhsa_exception_fp_ieee_overflow 0
		.amdhsa_exception_fp_ieee_underflow 0
		.amdhsa_exception_fp_ieee_inexact 0
		.amdhsa_exception_int_div_zero 0
	.end_amdhsa_kernel
	.section	.text._ZN2at6native12_GLOBAL__N_130CatArrayBatchedCopy_vectorizedINS1_10OpaqueTypeILj4EEEjLi3ELi64ELi64ELi16ELi4EEEvPcNS1_25CatArrInputTensorMetadataIT_T0_XT2_EXT3_EEENS1_16TensorSizeStrideIS8_Lj4EEEiS8_,"axG",@progbits,_ZN2at6native12_GLOBAL__N_130CatArrayBatchedCopy_vectorizedINS1_10OpaqueTypeILj4EEEjLi3ELi64ELi64ELi16ELi4EEEvPcNS1_25CatArrInputTensorMetadataIT_T0_XT2_EXT3_EEENS1_16TensorSizeStrideIS8_Lj4EEEiS8_,comdat
.Lfunc_end150:
	.size	_ZN2at6native12_GLOBAL__N_130CatArrayBatchedCopy_vectorizedINS1_10OpaqueTypeILj4EEEjLi3ELi64ELi64ELi16ELi4EEEvPcNS1_25CatArrInputTensorMetadataIT_T0_XT2_EXT3_EEENS1_16TensorSizeStrideIS8_Lj4EEEiS8_, .Lfunc_end150-_ZN2at6native12_GLOBAL__N_130CatArrayBatchedCopy_vectorizedINS1_10OpaqueTypeILj4EEEjLi3ELi64ELi64ELi16ELi4EEEvPcNS1_25CatArrInputTensorMetadataIT_T0_XT2_EXT3_EEENS1_16TensorSizeStrideIS8_Lj4EEEiS8_
                                        ; -- End function
	.set _ZN2at6native12_GLOBAL__N_130CatArrayBatchedCopy_vectorizedINS1_10OpaqueTypeILj4EEEjLi3ELi64ELi64ELi16ELi4EEEvPcNS1_25CatArrInputTensorMetadataIT_T0_XT2_EXT3_EEENS1_16TensorSizeStrideIS8_Lj4EEEiS8_.num_vgpr, 13
	.set _ZN2at6native12_GLOBAL__N_130CatArrayBatchedCopy_vectorizedINS1_10OpaqueTypeILj4EEEjLi3ELi64ELi64ELi16ELi4EEEvPcNS1_25CatArrInputTensorMetadataIT_T0_XT2_EXT3_EEENS1_16TensorSizeStrideIS8_Lj4EEEiS8_.num_agpr, 0
	.set _ZN2at6native12_GLOBAL__N_130CatArrayBatchedCopy_vectorizedINS1_10OpaqueTypeILj4EEEjLi3ELi64ELi64ELi16ELi4EEEvPcNS1_25CatArrInputTensorMetadataIT_T0_XT2_EXT3_EEENS1_16TensorSizeStrideIS8_Lj4EEEiS8_.numbered_sgpr, 24
	.set _ZN2at6native12_GLOBAL__N_130CatArrayBatchedCopy_vectorizedINS1_10OpaqueTypeILj4EEEjLi3ELi64ELi64ELi16ELi4EEEvPcNS1_25CatArrInputTensorMetadataIT_T0_XT2_EXT3_EEENS1_16TensorSizeStrideIS8_Lj4EEEiS8_.num_named_barrier, 0
	.set _ZN2at6native12_GLOBAL__N_130CatArrayBatchedCopy_vectorizedINS1_10OpaqueTypeILj4EEEjLi3ELi64ELi64ELi16ELi4EEEvPcNS1_25CatArrInputTensorMetadataIT_T0_XT2_EXT3_EEENS1_16TensorSizeStrideIS8_Lj4EEEiS8_.private_seg_size, 0
	.set _ZN2at6native12_GLOBAL__N_130CatArrayBatchedCopy_vectorizedINS1_10OpaqueTypeILj4EEEjLi3ELi64ELi64ELi16ELi4EEEvPcNS1_25CatArrInputTensorMetadataIT_T0_XT2_EXT3_EEENS1_16TensorSizeStrideIS8_Lj4EEEiS8_.uses_vcc, 1
	.set _ZN2at6native12_GLOBAL__N_130CatArrayBatchedCopy_vectorizedINS1_10OpaqueTypeILj4EEEjLi3ELi64ELi64ELi16ELi4EEEvPcNS1_25CatArrInputTensorMetadataIT_T0_XT2_EXT3_EEENS1_16TensorSizeStrideIS8_Lj4EEEiS8_.uses_flat_scratch, 0
	.set _ZN2at6native12_GLOBAL__N_130CatArrayBatchedCopy_vectorizedINS1_10OpaqueTypeILj4EEEjLi3ELi64ELi64ELi16ELi4EEEvPcNS1_25CatArrInputTensorMetadataIT_T0_XT2_EXT3_EEENS1_16TensorSizeStrideIS8_Lj4EEEiS8_.has_dyn_sized_stack, 0
	.set _ZN2at6native12_GLOBAL__N_130CatArrayBatchedCopy_vectorizedINS1_10OpaqueTypeILj4EEEjLi3ELi64ELi64ELi16ELi4EEEvPcNS1_25CatArrInputTensorMetadataIT_T0_XT2_EXT3_EEENS1_16TensorSizeStrideIS8_Lj4EEEiS8_.has_recursion, 0
	.set _ZN2at6native12_GLOBAL__N_130CatArrayBatchedCopy_vectorizedINS1_10OpaqueTypeILj4EEEjLi3ELi64ELi64ELi16ELi4EEEvPcNS1_25CatArrInputTensorMetadataIT_T0_XT2_EXT3_EEENS1_16TensorSizeStrideIS8_Lj4EEEiS8_.has_indirect_call, 0
	.section	.AMDGPU.csdata,"",@progbits
; Kernel info:
; codeLenInByte = 600
; TotalNumSgprs: 26
; NumVgprs: 13
; ScratchSize: 0
; MemoryBound: 0
; FloatMode: 240
; IeeeMode: 1
; LDSByteSize: 0 bytes/workgroup (compile time only)
; SGPRBlocks: 0
; VGPRBlocks: 1
; NumSGPRsForWavesPerEU: 26
; NumVGPRsForWavesPerEU: 13
; Occupancy: 16
; WaveLimiterHint : 1
; COMPUTE_PGM_RSRC2:SCRATCH_EN: 0
; COMPUTE_PGM_RSRC2:USER_SGPR: 6
; COMPUTE_PGM_RSRC2:TRAP_HANDLER: 0
; COMPUTE_PGM_RSRC2:TGID_X_EN: 1
; COMPUTE_PGM_RSRC2:TGID_Y_EN: 1
; COMPUTE_PGM_RSRC2:TGID_Z_EN: 0
; COMPUTE_PGM_RSRC2:TIDIG_COMP_CNT: 0
	.section	.text._ZN2at6native12_GLOBAL__N_135CatArrayBatchedCopy_alignedK_contigINS1_10OpaqueTypeILj4EEEjLi3ELi64ELi64ELi16EEEvPT_NS1_25CatArrInputTensorMetadataIS5_T0_XT2_EXT3_EEENS1_16TensorSizeStrideIS8_Lj4EEEiS8_,"axG",@progbits,_ZN2at6native12_GLOBAL__N_135CatArrayBatchedCopy_alignedK_contigINS1_10OpaqueTypeILj4EEEjLi3ELi64ELi64ELi16EEEvPT_NS1_25CatArrInputTensorMetadataIS5_T0_XT2_EXT3_EEENS1_16TensorSizeStrideIS8_Lj4EEEiS8_,comdat
	.globl	_ZN2at6native12_GLOBAL__N_135CatArrayBatchedCopy_alignedK_contigINS1_10OpaqueTypeILj4EEEjLi3ELi64ELi64ELi16EEEvPT_NS1_25CatArrInputTensorMetadataIS5_T0_XT2_EXT3_EEENS1_16TensorSizeStrideIS8_Lj4EEEiS8_ ; -- Begin function _ZN2at6native12_GLOBAL__N_135CatArrayBatchedCopy_alignedK_contigINS1_10OpaqueTypeILj4EEEjLi3ELi64ELi64ELi16EEEvPT_NS1_25CatArrInputTensorMetadataIS5_T0_XT2_EXT3_EEENS1_16TensorSizeStrideIS8_Lj4EEEiS8_
	.p2align	8
	.type	_ZN2at6native12_GLOBAL__N_135CatArrayBatchedCopy_alignedK_contigINS1_10OpaqueTypeILj4EEEjLi3ELi64ELi64ELi16EEEvPT_NS1_25CatArrInputTensorMetadataIS5_T0_XT2_EXT3_EEENS1_16TensorSizeStrideIS8_Lj4EEEiS8_,@function
_ZN2at6native12_GLOBAL__N_135CatArrayBatchedCopy_alignedK_contigINS1_10OpaqueTypeILj4EEEjLi3ELi64ELi64ELi16EEEvPT_NS1_25CatArrInputTensorMetadataIS5_T0_XT2_EXT3_EEENS1_16TensorSizeStrideIS8_Lj4EEEiS8_: ; @_ZN2at6native12_GLOBAL__N_135CatArrayBatchedCopy_alignedK_contigINS1_10OpaqueTypeILj4EEEjLi3ELi64ELi64ELi16EEEvPT_NS1_25CatArrInputTensorMetadataIS5_T0_XT2_EXT3_EEENS1_16TensorSizeStrideIS8_Lj4EEEiS8_
; %bb.0:
	s_mov_b32 s2, s7
	s_load_dword s7, s[4:5], 0xd7c
	s_mov_b32 s3, 0
	s_add_u32 s0, s4, 0xd70
	s_addc_u32 s1, s5, 0
	s_lshl_b64 s[2:3], s[2:3], 2
	s_waitcnt lgkmcnt(0)
	s_and_b32 s18, s7, 0xffff
	s_add_u32 s8, s4, s2
	s_addc_u32 s9, s5, s3
	s_mul_i32 s6, s6, s18
	s_load_dword s16, s[8:9], 0x408
	v_add_lshl_u32 v0, s6, v0, 2
	s_add_u32 s6, s8, 8
	s_addc_u32 s7, s9, 0
	s_mov_b32 s8, exec_lo
	s_waitcnt lgkmcnt(0)
	v_cmpx_gt_u32_e64 s16, v0
	s_cbranch_execz .LBB151_8
; %bb.1:
	s_add_u32 s10, s6, s2
	s_addc_u32 s11, s7, s3
	s_sub_u32 s2, 0, s2
	s_subb_u32 s3, 0, s3
	s_add_u32 s2, s10, s2
	s_addc_u32 s3, s11, s3
	s_clause 0x3
	s_load_dwordx2 s[8:9], s[4:5], 0x0
	s_load_dwordx2 s[12:13], s[4:5], 0xd4c
	;; [unrolled: 1-line block ×3, first 2 shown]
	s_load_dwordx4 s[4:7], s[4:5], 0xd58
	s_waitcnt lgkmcnt(0)
	s_clause 0x2
	s_load_dword s7, s[2:3], 0x200
	s_load_dwordx2 s[10:11], s[10:11], 0x0
	s_load_dword s17, s[2:3], 0x300
	v_add_nc_u32_e32 v1, 4, v0
	s_waitcnt lgkmcnt(0)
	s_mul_i32 s7, s7, s15
	s_mov_b32 s15, exec_lo
	v_cmpx_ge_u32_e64 s16, v1
	s_cbranch_execz .LBB151_5
; %bb.2:
	s_load_dword s0, s[0:1], 0x0
	v_add_nc_u32_e32 v3, 2, v0
	s_mov_b32 s22, 0
	s_waitcnt lgkmcnt(0)
	s_mul_i32 s0, s0, s18
	s_lshl_b32 s18, s0, 2
	s_cmp_eq_u32 s14, 2
	s_cselect_b32 s19, s17, s13
	s_cmp_eq_u32 s14, 1
	v_cvt_f32_u32_e32 v1, s19
	s_cselect_b32 s20, s17, s12
	s_sub_i32 s21, 0, s19
	v_cvt_f32_u32_e32 v2, s20
	s_sub_i32 s0, 0, s20
	v_rcp_iflag_f32_e32 v1, v1
	v_rcp_iflag_f32_e32 v2, v2
	v_mul_f32_e32 v1, 0x4f7ffffe, v1
	v_mul_f32_e32 v2, 0x4f7ffffe, v2
	v_cvt_u32_f32_e32 v4, v1
	v_cvt_u32_f32_e32 v5, v2
	v_mul_lo_u32 v1, s21, v4
	v_mul_lo_u32 v2, s0, v5
	v_mul_hi_u32 v6, v4, v1
	v_mov_b32_e32 v1, 0
	v_mul_hi_u32 v7, v5, v2
	v_add_nc_u32_e32 v2, 3, v0
	v_add_nc_u32_e32 v4, v4, v6
	v_add_nc_u32_e32 v6, 1, v0
	v_add_nc_u32_e32 v5, v5, v7
.LBB151_3:                              ; =>This Inner Loop Header: Depth=1
	v_lshlrev_b64 v[7:8], 2, v[0:1]
	v_mul_hi_u32 v15, v4, v0
	v_mul_hi_u32 v23, v4, v6
	;; [unrolled: 1-line block ×4, first 2 shown]
	v_add_nc_u32_e32 v11, 1, v0
	v_add_co_u32 v7, vcc_lo, s10, v7
	v_add_co_ci_u32_e64 v8, null, s11, v8, vcc_lo
	v_add_nc_u32_e32 v12, 2, v0
	v_add_nc_u32_e32 v13, 3, v0
	v_mov_b32_e32 v14, v1
	global_load_dwordx4 v[7:10], v[7:8], off
	v_not_b32_e32 v26, v15
	v_mad_u64_u32 v[21:22], null, s21, v15, v[0:1]
	v_not_b32_e32 v27, v23
	v_mad_u64_u32 v[22:23], null, s21, v23, v[11:12]
	v_mad_u64_u32 v[23:24], null, s21, v19, v[12:13]
	;; [unrolled: 1-line block ×3, first 2 shown]
	v_mul_hi_u32 v30, v11, v4
	v_mad_u64_u32 v[25:26], null, s19, v26, v[0:1]
	v_add_nc_u32_e32 v33, 1, v15
	v_cmp_le_u32_e32 vcc_lo, s19, v21
	v_not_b32_e32 v28, v19
	v_mul_hi_u32 v32, v13, v4
	v_not_b32_e32 v29, v17
	v_mad_u64_u32 v[26:27], null, s19, v27, v[11:12]
	v_add_nc_u32_e32 v17, 1, v30
	v_cndmask_b32_e32 v15, v15, v33, vcc_lo
	v_cmp_le_u32_e64 s2, s19, v22
	v_cndmask_b32_e32 v21, v21, v25, vcc_lo
	v_mad_u64_u32 v[27:28], null, s19, v28, v[12:13]
	v_mul_hi_u32 v31, v12, v4
	v_mad_u64_u32 v[28:29], null, s19, v29, v[13:14]
	v_add_nc_u32_e32 v19, 1, v32
	v_cmp_le_u32_e64 s1, s19, v24
	v_cndmask_b32_e64 v17, v30, v17, s2
	v_add_nc_u32_e32 v25, 1, v15
	v_cndmask_b32_e64 v22, v22, v26, s2
	v_cmp_le_u32_e32 vcc_lo, s19, v21
	v_add_nc_u32_e32 v11, 1, v31
	v_cmp_le_u32_e64 s0, s19, v23
	v_cndmask_b32_e64 v19, v32, v19, s1
	v_cndmask_b32_e64 v24, v24, v28, s1
	v_add_nc_u32_e32 v26, 1, v17
	v_cndmask_b32_e32 v25, v15, v25, vcc_lo
	v_cmp_le_u32_e64 s1, s19, v22
	v_cndmask_b32_e64 v11, v31, v11, s0
	v_cndmask_b32_e64 v23, v23, v27, s0
	v_cmp_le_u32_e64 s0, s19, v24
	v_mul_hi_u32 v15, v25, v5
	v_cndmask_b32_e64 v24, v17, v26, s1
	v_add_nc_u32_e32 v28, 1, v19
	v_mad_u64_u32 v[21:22], null, s21, v25, v[0:1]
	v_add_nc_u32_e32 v27, 1, v11
	v_cmp_le_u32_e32 vcc_lo, s19, v23
	v_mad_u64_u32 v[22:23], null, s21, v24, v[0:1]
	v_mul_hi_u32 v17, v24, v5
	v_add_nc_u32_e32 v0, s18, v0
	v_cndmask_b32_e64 v19, v19, v28, s0
	v_mul_lo_u32 v28, v15, s20
	v_cndmask_b32_e32 v26, v11, v27, vcc_lo
	v_add_nc_u32_e32 v29, 1, v15
	v_add_nc_u32_e32 v27, 4, v0
	v_mul_lo_u32 v30, s6, v22
	v_mul_lo_u32 v22, v17, s20
	v_mul_hi_u32 v23, v26, v5
	v_mad_u64_u32 v[11:12], null, s21, v26, v[12:13]
	v_cmp_lt_u32_e32 vcc_lo, s16, v27
	v_sub_nc_u32_e32 v27, v25, v28
	v_mad_u64_u32 v[12:13], null, s21, v19, v[13:14]
	v_mul_hi_u32 v13, v19, v5
	v_sub_nc_u32_e32 v22, v24, v22
	v_cmp_le_u32_e64 s0, s20, v27
	v_mul_lo_u32 v32, v23, s20
	v_add_nc_u32_e32 v31, 1, v17
	v_add_nc_u32_e32 v34, 1, v23
	v_cmp_le_u32_e64 s1, s20, v22
	v_cndmask_b32_e64 v15, v15, v29, s0
	v_subrev_nc_u32_e32 v29, s20, v27
	v_mul_lo_u32 v33, v13, s20
	v_add_nc_u32_e32 v35, 1, v13
	v_sub_nc_u32_e32 v28, v26, v32
	v_cndmask_b32_e64 v17, v17, v31, s1
	v_subrev_nc_u32_e32 v31, s20, v22
	v_cndmask_b32_e64 v27, v27, v29, s0
	v_add_nc_u32_e32 v29, 1, v15
	v_cmp_le_u32_e64 s2, s20, v28
	v_sub_nc_u32_e32 v32, v19, v33
	v_subrev_nc_u32_e32 v33, s20, v28
	v_cndmask_b32_e64 v22, v22, v31, s1
	v_cmp_le_u32_e64 s0, s20, v27
	v_cndmask_b32_e64 v23, v23, v34, s2
	v_cmp_le_u32_e64 s3, s20, v32
	v_subrev_nc_u32_e32 v34, s20, v32
	v_add_nc_u32_e32 v31, 1, v17
	v_cndmask_b32_e64 v28, v28, v33, s2
	v_cndmask_b32_e64 v15, v15, v29, s0
	v_cmp_le_u32_e64 s0, s20, v22
	v_cndmask_b32_e64 v13, v13, v35, s3
	v_add_nc_u32_e32 v33, 1, v23
	v_cndmask_b32_e64 v32, v32, v34, s3
	v_mul_lo_u32 v27, v15, s20
	v_cndmask_b32_e64 v17, v17, v31, s0
	v_cmp_le_u32_e64 s0, s20, v28
	v_add_nc_u32_e32 v34, 1, v13
	v_mov_b32_e32 v16, v1
	v_mov_b32_e32 v18, v1
	v_mul_lo_u32 v28, v17, s20
	v_cndmask_b32_e64 v22, v23, v33, s0
	v_cmp_le_u32_e64 s0, s20, v32
	v_mul_lo_u32 v29, v17, s4
	v_sub_nc_u32_e32 v25, v25, v27
	v_mov_b32_e32 v20, v1
	v_mul_lo_u32 v31, v22, s20
	v_cndmask_b32_e64 v23, v13, v34, s0
	v_mul_lo_u32 v13, v15, s4
	v_mul_lo_u32 v15, v22, s4
	v_add_nc_u32_e32 v2, s18, v2
	v_add_nc_u32_e32 v3, s18, v3
	v_mul_lo_u32 v17, v23, s4
	v_mul_lo_u32 v32, v23, s20
	v_sub_nc_u32_e32 v26, v26, v31
	v_add_nc_u32_e32 v6, s18, v6
	v_mad_u64_u32 v[21:22], null, v21, s6, v[13:14]
	v_sub_nc_u32_e32 v13, v24, v28
	v_mad_u64_u32 v[22:23], null, v11, s6, v[15:16]
	v_mad_u64_u32 v[11:12], null, v12, s6, v[17:18]
	v_sub_nc_u32_e32 v15, v19, v32
	v_mul_lo_u32 v12, v25, s5
	v_mul_lo_u32 v17, v13, s5
	v_mul_lo_u32 v19, v26, s5
	v_add3_u32 v24, v30, s6, v29
	v_mul_lo_u32 v23, v15, s5
	s_or_b32 s22, vcc_lo, s22
	v_add3_u32 v13, v21, v12, s7
	v_add3_u32 v15, v24, v17, s7
	;; [unrolled: 1-line block ×4, first 2 shown]
	v_lshlrev_b64 v[11:12], 2, v[13:14]
	v_lshlrev_b64 v[13:14], 2, v[15:16]
	;; [unrolled: 1-line block ×4, first 2 shown]
	v_add_co_u32 v11, s0, s8, v11
	v_add_co_ci_u32_e64 v12, null, s9, v12, s0
	v_add_co_u32 v13, s0, s8, v13
	v_add_co_ci_u32_e64 v14, null, s9, v14, s0
	;; [unrolled: 2-line block ×4, first 2 shown]
	s_waitcnt vmcnt(0)
	global_store_dword v[11:12], v7, off
	global_store_dword v[13:14], v8, off
	;; [unrolled: 1-line block ×4, first 2 shown]
	s_andn2_b32 exec_lo, exec_lo, s22
	s_cbranch_execnz .LBB151_3
; %bb.4:
	s_or_b32 exec_lo, exec_lo, s22
.LBB151_5:
	s_or_b32 exec_lo, exec_lo, s15
	v_cmp_gt_u32_e32 vcc_lo, s16, v0
	s_and_b32 exec_lo, exec_lo, vcc_lo
	s_cbranch_execz .LBB151_8
; %bb.6:
	s_cmp_eq_u32 s14, 2
	s_cselect_b32 s2, s17, s13
	s_cmp_eq_u32 s14, 1
	v_cvt_f32_u32_e32 v1, s2
	s_cselect_b32 s3, s17, s12
	s_sub_i32 s12, 0, s2
	v_cvt_f32_u32_e32 v2, s3
	s_sub_i32 s0, 0, s3
	v_rcp_iflag_f32_e32 v1, v1
	v_rcp_iflag_f32_e32 v2, v2
	v_mul_f32_e32 v1, 0x4f7ffffe, v1
	v_mul_f32_e32 v2, 0x4f7ffffe, v2
	v_cvt_u32_f32_e32 v3, v1
	v_cvt_u32_f32_e32 v4, v2
	v_mov_b32_e32 v2, 0
	v_mul_lo_u32 v1, s12, v3
	v_mul_lo_u32 v5, s0, v4
	v_mul_hi_u32 v6, v3, v1
	v_mov_b32_e32 v1, v2
	v_mul_hi_u32 v8, v4, v5
	v_add_nc_u32_e32 v7, v3, v6
	v_lshlrev_b64 v[5:6], 2, v[0:1]
	v_add_nc_u32_e32 v8, v4, v8
	v_mad_u64_u32 v[3:4], null, v0, v7, 0
	v_add_co_u32 v5, vcc_lo, s10, v5
	v_add_co_ci_u32_e64 v6, null, s11, v6, vcc_lo
	s_mov_b32 s10, 0
.LBB151_7:                              ; =>This Inner Loop Header: Depth=1
	global_load_dword v11, v[5:6], off
	v_mul_lo_u32 v1, s2, v4
	v_not_b32_e32 v9, v4
	v_add_nc_u32_e32 v12, 1, v4
	v_mad_u64_u32 v[9:10], null, s2, v9, v[0:1]
	v_sub_nc_u32_e32 v1, v0, v1
	v_cmp_le_u32_e32 vcc_lo, s2, v1
	v_cndmask_b32_e32 v10, v4, v12, vcc_lo
	v_cndmask_b32_e32 v1, v1, v9, vcc_lo
	v_add_nc_u32_e32 v9, 1, v10
	v_cmp_le_u32_e32 vcc_lo, s2, v1
	v_cndmask_b32_e32 v12, v10, v9, vcc_lo
	v_add_co_u32 v3, vcc_lo, v3, v7
	v_add_co_ci_u32_e64 v4, null, 0, v4, vcc_lo
	v_mul_hi_u32 v1, v12, v8
	v_mul_lo_u32 v9, v1, s3
	v_add_nc_u32_e32 v10, 1, v1
	v_sub_nc_u32_e32 v9, v12, v9
	v_subrev_nc_u32_e32 v13, s3, v9
	v_cmp_le_u32_e64 s0, s3, v9
	v_cndmask_b32_e64 v1, v1, v10, s0
	v_cndmask_b32_e64 v9, v9, v13, s0
	v_add_nc_u32_e32 v10, 1, v1
	v_cmp_le_u32_e64 s0, s3, v9
	v_cndmask_b32_e64 v1, v1, v10, s0
	v_add_co_u32 v5, s0, v5, 4
	v_add_co_ci_u32_e64 v6, null, 0, v6, s0
	v_mad_u64_u32 v[9:10], null, s12, v12, v[0:1]
	v_mul_lo_u32 v10, v1, s3
	v_mul_lo_u32 v1, v1, s4
	v_add_nc_u32_e32 v0, 1, v0
	v_cmp_le_u32_e64 s0, s16, v0
	v_sub_nc_u32_e32 v12, v12, v10
	v_mad_u64_u32 v[9:10], null, v9, s6, v[1:2]
	s_or_b32 s10, s0, s10
	v_mul_lo_u32 v1, v12, s5
	v_add3_u32 v1, v9, v1, s7
	v_lshlrev_b64 v[9:10], 2, v[1:2]
	v_add_co_u32 v9, s1, s8, v9
	v_add_co_ci_u32_e64 v10, null, s9, v10, s1
	s_waitcnt vmcnt(0)
	global_store_dword v[9:10], v11, off
	s_andn2_b32 exec_lo, exec_lo, s10
	s_cbranch_execnz .LBB151_7
.LBB151_8:
	s_endpgm
	.section	.rodata,"a",@progbits
	.p2align	6, 0x0
	.amdhsa_kernel _ZN2at6native12_GLOBAL__N_135CatArrayBatchedCopy_alignedK_contigINS1_10OpaqueTypeILj4EEEjLi3ELi64ELi64ELi16EEEvPT_NS1_25CatArrInputTensorMetadataIS5_T0_XT2_EXT3_EEENS1_16TensorSizeStrideIS8_Lj4EEEiS8_
		.amdhsa_group_segment_fixed_size 0
		.amdhsa_private_segment_fixed_size 0
		.amdhsa_kernarg_size 3696
		.amdhsa_user_sgpr_count 6
		.amdhsa_user_sgpr_private_segment_buffer 1
		.amdhsa_user_sgpr_dispatch_ptr 0
		.amdhsa_user_sgpr_queue_ptr 0
		.amdhsa_user_sgpr_kernarg_segment_ptr 1
		.amdhsa_user_sgpr_dispatch_id 0
		.amdhsa_user_sgpr_flat_scratch_init 0
		.amdhsa_user_sgpr_private_segment_size 0
		.amdhsa_wavefront_size32 1
		.amdhsa_uses_dynamic_stack 0
		.amdhsa_system_sgpr_private_segment_wavefront_offset 0
		.amdhsa_system_sgpr_workgroup_id_x 1
		.amdhsa_system_sgpr_workgroup_id_y 1
		.amdhsa_system_sgpr_workgroup_id_z 0
		.amdhsa_system_sgpr_workgroup_info 0
		.amdhsa_system_vgpr_workitem_id 0
		.amdhsa_next_free_vgpr 36
		.amdhsa_next_free_sgpr 23
		.amdhsa_reserve_vcc 1
		.amdhsa_reserve_flat_scratch 0
		.amdhsa_float_round_mode_32 0
		.amdhsa_float_round_mode_16_64 0
		.amdhsa_float_denorm_mode_32 3
		.amdhsa_float_denorm_mode_16_64 3
		.amdhsa_dx10_clamp 1
		.amdhsa_ieee_mode 1
		.amdhsa_fp16_overflow 0
		.amdhsa_workgroup_processor_mode 1
		.amdhsa_memory_ordered 1
		.amdhsa_forward_progress 1
		.amdhsa_shared_vgpr_count 0
		.amdhsa_exception_fp_ieee_invalid_op 0
		.amdhsa_exception_fp_denorm_src 0
		.amdhsa_exception_fp_ieee_div_zero 0
		.amdhsa_exception_fp_ieee_overflow 0
		.amdhsa_exception_fp_ieee_underflow 0
		.amdhsa_exception_fp_ieee_inexact 0
		.amdhsa_exception_int_div_zero 0
	.end_amdhsa_kernel
	.section	.text._ZN2at6native12_GLOBAL__N_135CatArrayBatchedCopy_alignedK_contigINS1_10OpaqueTypeILj4EEEjLi3ELi64ELi64ELi16EEEvPT_NS1_25CatArrInputTensorMetadataIS5_T0_XT2_EXT3_EEENS1_16TensorSizeStrideIS8_Lj4EEEiS8_,"axG",@progbits,_ZN2at6native12_GLOBAL__N_135CatArrayBatchedCopy_alignedK_contigINS1_10OpaqueTypeILj4EEEjLi3ELi64ELi64ELi16EEEvPT_NS1_25CatArrInputTensorMetadataIS5_T0_XT2_EXT3_EEENS1_16TensorSizeStrideIS8_Lj4EEEiS8_,comdat
.Lfunc_end151:
	.size	_ZN2at6native12_GLOBAL__N_135CatArrayBatchedCopy_alignedK_contigINS1_10OpaqueTypeILj4EEEjLi3ELi64ELi64ELi16EEEvPT_NS1_25CatArrInputTensorMetadataIS5_T0_XT2_EXT3_EEENS1_16TensorSizeStrideIS8_Lj4EEEiS8_, .Lfunc_end151-_ZN2at6native12_GLOBAL__N_135CatArrayBatchedCopy_alignedK_contigINS1_10OpaqueTypeILj4EEEjLi3ELi64ELi64ELi16EEEvPT_NS1_25CatArrInputTensorMetadataIS5_T0_XT2_EXT3_EEENS1_16TensorSizeStrideIS8_Lj4EEEiS8_
                                        ; -- End function
	.set _ZN2at6native12_GLOBAL__N_135CatArrayBatchedCopy_alignedK_contigINS1_10OpaqueTypeILj4EEEjLi3ELi64ELi64ELi16EEEvPT_NS1_25CatArrInputTensorMetadataIS5_T0_XT2_EXT3_EEENS1_16TensorSizeStrideIS8_Lj4EEEiS8_.num_vgpr, 36
	.set _ZN2at6native12_GLOBAL__N_135CatArrayBatchedCopy_alignedK_contigINS1_10OpaqueTypeILj4EEEjLi3ELi64ELi64ELi16EEEvPT_NS1_25CatArrInputTensorMetadataIS5_T0_XT2_EXT3_EEENS1_16TensorSizeStrideIS8_Lj4EEEiS8_.num_agpr, 0
	.set _ZN2at6native12_GLOBAL__N_135CatArrayBatchedCopy_alignedK_contigINS1_10OpaqueTypeILj4EEEjLi3ELi64ELi64ELi16EEEvPT_NS1_25CatArrInputTensorMetadataIS5_T0_XT2_EXT3_EEENS1_16TensorSizeStrideIS8_Lj4EEEiS8_.numbered_sgpr, 23
	.set _ZN2at6native12_GLOBAL__N_135CatArrayBatchedCopy_alignedK_contigINS1_10OpaqueTypeILj4EEEjLi3ELi64ELi64ELi16EEEvPT_NS1_25CatArrInputTensorMetadataIS5_T0_XT2_EXT3_EEENS1_16TensorSizeStrideIS8_Lj4EEEiS8_.num_named_barrier, 0
	.set _ZN2at6native12_GLOBAL__N_135CatArrayBatchedCopy_alignedK_contigINS1_10OpaqueTypeILj4EEEjLi3ELi64ELi64ELi16EEEvPT_NS1_25CatArrInputTensorMetadataIS5_T0_XT2_EXT3_EEENS1_16TensorSizeStrideIS8_Lj4EEEiS8_.private_seg_size, 0
	.set _ZN2at6native12_GLOBAL__N_135CatArrayBatchedCopy_alignedK_contigINS1_10OpaqueTypeILj4EEEjLi3ELi64ELi64ELi16EEEvPT_NS1_25CatArrInputTensorMetadataIS5_T0_XT2_EXT3_EEENS1_16TensorSizeStrideIS8_Lj4EEEiS8_.uses_vcc, 1
	.set _ZN2at6native12_GLOBAL__N_135CatArrayBatchedCopy_alignedK_contigINS1_10OpaqueTypeILj4EEEjLi3ELi64ELi64ELi16EEEvPT_NS1_25CatArrInputTensorMetadataIS5_T0_XT2_EXT3_EEENS1_16TensorSizeStrideIS8_Lj4EEEiS8_.uses_flat_scratch, 0
	.set _ZN2at6native12_GLOBAL__N_135CatArrayBatchedCopy_alignedK_contigINS1_10OpaqueTypeILj4EEEjLi3ELi64ELi64ELi16EEEvPT_NS1_25CatArrInputTensorMetadataIS5_T0_XT2_EXT3_EEENS1_16TensorSizeStrideIS8_Lj4EEEiS8_.has_dyn_sized_stack, 0
	.set _ZN2at6native12_GLOBAL__N_135CatArrayBatchedCopy_alignedK_contigINS1_10OpaqueTypeILj4EEEjLi3ELi64ELi64ELi16EEEvPT_NS1_25CatArrInputTensorMetadataIS5_T0_XT2_EXT3_EEENS1_16TensorSizeStrideIS8_Lj4EEEiS8_.has_recursion, 0
	.set _ZN2at6native12_GLOBAL__N_135CatArrayBatchedCopy_alignedK_contigINS1_10OpaqueTypeILj4EEEjLi3ELi64ELi64ELi16EEEvPT_NS1_25CatArrInputTensorMetadataIS5_T0_XT2_EXT3_EEENS1_16TensorSizeStrideIS8_Lj4EEEiS8_.has_indirect_call, 0
	.section	.AMDGPU.csdata,"",@progbits
; Kernel info:
; codeLenInByte = 1844
; TotalNumSgprs: 25
; NumVgprs: 36
; ScratchSize: 0
; MemoryBound: 0
; FloatMode: 240
; IeeeMode: 1
; LDSByteSize: 0 bytes/workgroup (compile time only)
; SGPRBlocks: 0
; VGPRBlocks: 4
; NumSGPRsForWavesPerEU: 25
; NumVGPRsForWavesPerEU: 36
; Occupancy: 16
; WaveLimiterHint : 1
; COMPUTE_PGM_RSRC2:SCRATCH_EN: 0
; COMPUTE_PGM_RSRC2:USER_SGPR: 6
; COMPUTE_PGM_RSRC2:TRAP_HANDLER: 0
; COMPUTE_PGM_RSRC2:TGID_X_EN: 1
; COMPUTE_PGM_RSRC2:TGID_Y_EN: 1
; COMPUTE_PGM_RSRC2:TGID_Z_EN: 0
; COMPUTE_PGM_RSRC2:TIDIG_COMP_CNT: 0
	.section	.text._ZN2at6native12_GLOBAL__N_135CatArrayBatchedCopy_alignedK_contigINS1_10OpaqueTypeILj4EEEjLi3ELi64ELi64ELi8EEEvPT_NS1_25CatArrInputTensorMetadataIS5_T0_XT2_EXT3_EEENS1_16TensorSizeStrideIS8_Lj4EEEiS8_,"axG",@progbits,_ZN2at6native12_GLOBAL__N_135CatArrayBatchedCopy_alignedK_contigINS1_10OpaqueTypeILj4EEEjLi3ELi64ELi64ELi8EEEvPT_NS1_25CatArrInputTensorMetadataIS5_T0_XT2_EXT3_EEENS1_16TensorSizeStrideIS8_Lj4EEEiS8_,comdat
	.globl	_ZN2at6native12_GLOBAL__N_135CatArrayBatchedCopy_alignedK_contigINS1_10OpaqueTypeILj4EEEjLi3ELi64ELi64ELi8EEEvPT_NS1_25CatArrInputTensorMetadataIS5_T0_XT2_EXT3_EEENS1_16TensorSizeStrideIS8_Lj4EEEiS8_ ; -- Begin function _ZN2at6native12_GLOBAL__N_135CatArrayBatchedCopy_alignedK_contigINS1_10OpaqueTypeILj4EEEjLi3ELi64ELi64ELi8EEEvPT_NS1_25CatArrInputTensorMetadataIS5_T0_XT2_EXT3_EEENS1_16TensorSizeStrideIS8_Lj4EEEiS8_
	.p2align	8
	.type	_ZN2at6native12_GLOBAL__N_135CatArrayBatchedCopy_alignedK_contigINS1_10OpaqueTypeILj4EEEjLi3ELi64ELi64ELi8EEEvPT_NS1_25CatArrInputTensorMetadataIS5_T0_XT2_EXT3_EEENS1_16TensorSizeStrideIS8_Lj4EEEiS8_,@function
_ZN2at6native12_GLOBAL__N_135CatArrayBatchedCopy_alignedK_contigINS1_10OpaqueTypeILj4EEEjLi3ELi64ELi64ELi8EEEvPT_NS1_25CatArrInputTensorMetadataIS5_T0_XT2_EXT3_EEENS1_16TensorSizeStrideIS8_Lj4EEEiS8_: ; @_ZN2at6native12_GLOBAL__N_135CatArrayBatchedCopy_alignedK_contigINS1_10OpaqueTypeILj4EEEjLi3ELi64ELi64ELi8EEEvPT_NS1_25CatArrInputTensorMetadataIS5_T0_XT2_EXT3_EEENS1_16TensorSizeStrideIS8_Lj4EEEiS8_
; %bb.0:
	s_mov_b32 s2, s7
	s_load_dword s7, s[4:5], 0xd7c
	s_mov_b32 s3, 0
	s_add_u32 s0, s4, 0xd70
	s_addc_u32 s1, s5, 0
	s_lshl_b64 s[8:9], s[2:3], 2
	s_waitcnt lgkmcnt(0)
	s_and_b32 s16, s7, 0xffff
	s_add_u32 s2, s4, s8
	s_addc_u32 s3, s5, s9
	s_mul_i32 s6, s6, s16
	s_load_dword s14, s[2:3], 0x408
	v_add_lshl_u32 v0, s6, v0, 1
	s_add_u32 s6, s2, 8
	s_addc_u32 s7, s3, 0
	s_mov_b32 s2, exec_lo
	s_waitcnt lgkmcnt(0)
	v_cmpx_gt_u32_e64 s14, v0
	s_cbranch_execz .LBB152_8
; %bb.1:
	s_add_u32 s18, s6, s8
	s_addc_u32 s19, s7, s9
	s_sub_u32 s6, 0, s8
	s_subb_u32 s7, 0, s9
	s_add_u32 s20, s18, s6
	s_addc_u32 s21, s19, s7
	s_clause 0x3
	s_load_dwordx2 s[2:3], s[4:5], 0x0
	s_load_dwordx2 s[10:11], s[4:5], 0xd4c
	;; [unrolled: 1-line block ×3, first 2 shown]
	s_load_dwordx4 s[4:7], s[4:5], 0xd58
	s_waitcnt lgkmcnt(0)
	s_clause 0x2
	s_load_dword s7, s[20:21], 0x200
	s_load_dwordx2 s[8:9], s[18:19], 0x0
	s_load_dword s15, s[20:21], 0x300
	v_add_nc_u32_e32 v1, 2, v0
	s_waitcnt lgkmcnt(0)
	s_mul_i32 s7, s7, s13
	s_mov_b32 s13, exec_lo
	v_cmpx_ge_u32_e64 s14, v1
	s_cbranch_execz .LBB152_5
; %bb.2:
	s_load_dword s0, s[0:1], 0x0
	s_mov_b32 s20, 0
	s_waitcnt lgkmcnt(0)
	s_mul_i32 s0, s0, s16
	s_lshl_b32 s16, s0, 1
	s_cmp_eq_u32 s12, 2
	s_cselect_b32 s17, s15, s11
	s_cmp_eq_u32 s12, 1
	v_cvt_f32_u32_e32 v1, s17
	s_cselect_b32 s18, s15, s10
	s_sub_i32 s19, 0, s17
	v_cvt_f32_u32_e32 v2, s18
	s_sub_i32 s0, 0, s18
	v_rcp_iflag_f32_e32 v1, v1
	v_rcp_iflag_f32_e32 v2, v2
	v_mul_f32_e32 v1, 0x4f7ffffe, v1
	v_mul_f32_e32 v2, 0x4f7ffffe, v2
	v_cvt_u32_f32_e32 v3, v1
	v_cvt_u32_f32_e32 v4, v2
	v_mul_lo_u32 v1, s19, v3
	v_mul_lo_u32 v2, s0, v4
	v_mul_hi_u32 v5, v3, v1
	v_mov_b32_e32 v1, 0
	v_mul_hi_u32 v6, v4, v2
	v_add_nc_u32_e32 v2, v3, v5
	v_add_nc_u32_e32 v3, v4, v6
	;; [unrolled: 1-line block ×3, first 2 shown]
.LBB152_3:                              ; =>This Inner Loop Header: Depth=1
	v_lshlrev_b64 v[5:6], 2, v[0:1]
	v_mul_hi_u32 v9, v2, v0
	v_mul_hi_u32 v13, v2, v4
	v_add_nc_u32_e32 v7, 1, v0
	v_mov_b32_e32 v8, v1
	v_mov_b32_e32 v10, v1
	v_add_co_u32 v5, vcc_lo, s8, v5
	v_add_co_ci_u32_e64 v6, null, s9, v6, vcc_lo
	v_not_b32_e32 v14, v9
	v_mad_u64_u32 v[11:12], null, s19, v9, v[0:1]
	global_load_dwordx2 v[5:6], v[5:6], off
	v_not_b32_e32 v15, v13
	v_mad_u64_u32 v[12:13], null, s19, v13, v[7:8]
	v_mul_hi_u32 v16, v7, v2
	v_mad_u64_u32 v[13:14], null, s17, v14, v[0:1]
	v_add_nc_u32_e32 v17, 1, v9
	v_cmp_le_u32_e32 vcc_lo, s17, v11
	v_mad_u64_u32 v[14:15], null, s17, v15, v[7:8]
	v_cmp_le_u32_e64 s0, s17, v12
	v_add_nc_u32_e32 v18, 1, v16
	v_cndmask_b32_e32 v7, v9, v17, vcc_lo
	v_cndmask_b32_e32 v11, v11, v13, vcc_lo
	v_add_nc_u32_e32 v4, s16, v4
	v_cndmask_b32_e64 v9, v16, v18, s0
	v_add_nc_u32_e32 v13, 1, v7
	v_cndmask_b32_e64 v12, v12, v14, s0
	v_cmp_le_u32_e32 vcc_lo, s17, v11
	v_add_nc_u32_e32 v14, 1, v9
	v_cndmask_b32_e32 v15, v7, v13, vcc_lo
	v_cmp_le_u32_e32 vcc_lo, s17, v12
	v_mad_u64_u32 v[11:12], null, s19, v15, v[0:1]
	v_cndmask_b32_e32 v9, v9, v14, vcc_lo
	v_mul_hi_u32 v7, v15, v3
	v_mad_u64_u32 v[12:13], null, s19, v9, v[0:1]
	v_mul_hi_u32 v13, v9, v3
	v_add_nc_u32_e32 v0, s16, v0
	v_mul_lo_u32 v16, v7, s18
	v_add_nc_u32_e32 v17, 1, v7
	v_add_nc_u32_e32 v14, 2, v0
	v_mul_lo_u32 v19, s6, v12
	v_mul_lo_u32 v18, v13, s18
	v_add_nc_u32_e32 v12, 1, v13
	v_cmp_lt_u32_e32 vcc_lo, s14, v14
	v_sub_nc_u32_e32 v14, v15, v16
	v_sub_nc_u32_e32 v16, v9, v18
	v_subrev_nc_u32_e32 v18, s18, v14
	v_cmp_le_u32_e64 s0, s18, v14
	s_or_b32 s20, vcc_lo, s20
	v_cmp_le_u32_e64 s1, s18, v16
	v_cndmask_b32_e64 v7, v7, v17, s0
	v_subrev_nc_u32_e32 v17, s18, v16
	v_cndmask_b32_e64 v12, v13, v12, s1
	v_cndmask_b32_e64 v13, v14, v18, s0
	v_add_nc_u32_e32 v14, 1, v7
	v_cndmask_b32_e64 v16, v16, v17, s1
	v_add_nc_u32_e32 v17, 1, v12
	v_cmp_le_u32_e64 s0, s18, v13
	v_cndmask_b32_e64 v7, v7, v14, s0
	v_cmp_le_u32_e64 s0, s18, v16
	v_mul_lo_u32 v13, v7, s18
	v_cndmask_b32_e64 v12, v12, v17, s0
	v_mul_lo_u32 v7, v7, s4
	v_mul_lo_u32 v14, v12, s18
	v_mul_lo_u32 v16, v12, s4
	v_sub_nc_u32_e32 v13, v15, v13
	v_mad_u64_u32 v[11:12], null, v11, s6, v[7:8]
	v_sub_nc_u32_e32 v7, v9, v14
	v_mul_lo_u32 v9, v13, s5
	v_add3_u32 v13, v19, s6, v16
	v_mul_lo_u32 v12, v7, s5
	v_add3_u32 v7, v11, v9, s7
	v_add3_u32 v9, v13, v12, s7
	v_lshlrev_b64 v[7:8], 2, v[7:8]
	v_lshlrev_b64 v[9:10], 2, v[9:10]
	v_add_co_u32 v7, s0, s2, v7
	v_add_co_ci_u32_e64 v8, null, s3, v8, s0
	v_add_co_u32 v9, s0, s2, v9
	v_add_co_ci_u32_e64 v10, null, s3, v10, s0
	s_waitcnt vmcnt(0)
	global_store_dword v[7:8], v5, off
	global_store_dword v[9:10], v6, off
	s_andn2_b32 exec_lo, exec_lo, s20
	s_cbranch_execnz .LBB152_3
; %bb.4:
	s_or_b32 exec_lo, exec_lo, s20
.LBB152_5:
	s_or_b32 exec_lo, exec_lo, s13
	v_cmp_gt_u32_e32 vcc_lo, s14, v0
	s_and_b32 exec_lo, exec_lo, vcc_lo
	s_cbranch_execz .LBB152_8
; %bb.6:
	s_cmp_eq_u32 s12, 2
	s_cselect_b32 s11, s15, s11
	s_cmp_eq_u32 s12, 1
	v_cvt_f32_u32_e32 v1, s11
	s_cselect_b32 s10, s15, s10
	s_sub_i32 s12, 0, s11
	v_cvt_f32_u32_e32 v2, s10
	s_sub_i32 s0, 0, s10
	v_rcp_iflag_f32_e32 v1, v1
	v_rcp_iflag_f32_e32 v2, v2
	v_mul_f32_e32 v1, 0x4f7ffffe, v1
	v_mul_f32_e32 v2, 0x4f7ffffe, v2
	v_cvt_u32_f32_e32 v3, v1
	v_cvt_u32_f32_e32 v4, v2
	v_mov_b32_e32 v2, 0
	v_mul_lo_u32 v1, s12, v3
	v_mul_lo_u32 v5, s0, v4
	v_mul_hi_u32 v6, v3, v1
	v_mov_b32_e32 v1, v2
	v_mul_hi_u32 v8, v4, v5
	v_add_nc_u32_e32 v7, v3, v6
	v_lshlrev_b64 v[5:6], 2, v[0:1]
	v_add_nc_u32_e32 v8, v4, v8
	v_mad_u64_u32 v[3:4], null, v0, v7, 0
	v_add_co_u32 v5, vcc_lo, s8, v5
	v_add_co_ci_u32_e64 v6, null, s9, v6, vcc_lo
	s_mov_b32 s8, 0
.LBB152_7:                              ; =>This Inner Loop Header: Depth=1
	global_load_dword v11, v[5:6], off
	v_mul_lo_u32 v1, s11, v4
	v_not_b32_e32 v9, v4
	v_add_nc_u32_e32 v12, 1, v4
	v_mad_u64_u32 v[9:10], null, s11, v9, v[0:1]
	v_sub_nc_u32_e32 v1, v0, v1
	v_cmp_le_u32_e32 vcc_lo, s11, v1
	v_cndmask_b32_e32 v10, v4, v12, vcc_lo
	v_cndmask_b32_e32 v1, v1, v9, vcc_lo
	v_add_nc_u32_e32 v9, 1, v10
	v_cmp_le_u32_e32 vcc_lo, s11, v1
	v_cndmask_b32_e32 v12, v10, v9, vcc_lo
	v_add_co_u32 v3, vcc_lo, v3, v7
	v_add_co_ci_u32_e64 v4, null, 0, v4, vcc_lo
	v_mul_hi_u32 v1, v12, v8
	v_mul_lo_u32 v9, v1, s10
	v_add_nc_u32_e32 v10, 1, v1
	v_sub_nc_u32_e32 v9, v12, v9
	v_subrev_nc_u32_e32 v13, s10, v9
	v_cmp_le_u32_e64 s0, s10, v9
	v_cndmask_b32_e64 v1, v1, v10, s0
	v_cndmask_b32_e64 v9, v9, v13, s0
	v_add_nc_u32_e32 v10, 1, v1
	v_cmp_le_u32_e64 s0, s10, v9
	v_cndmask_b32_e64 v1, v1, v10, s0
	v_add_co_u32 v5, s0, v5, 4
	v_add_co_ci_u32_e64 v6, null, 0, v6, s0
	v_mad_u64_u32 v[9:10], null, s12, v12, v[0:1]
	v_mul_lo_u32 v10, v1, s10
	v_mul_lo_u32 v1, v1, s4
	v_add_nc_u32_e32 v0, 1, v0
	v_cmp_le_u32_e64 s0, s14, v0
	v_sub_nc_u32_e32 v12, v12, v10
	v_mad_u64_u32 v[9:10], null, v9, s6, v[1:2]
	s_or_b32 s8, s0, s8
	v_mul_lo_u32 v1, v12, s5
	v_add3_u32 v1, v9, v1, s7
	v_lshlrev_b64 v[9:10], 2, v[1:2]
	v_add_co_u32 v9, s1, s2, v9
	v_add_co_ci_u32_e64 v10, null, s3, v10, s1
	s_waitcnt vmcnt(0)
	global_store_dword v[9:10], v11, off
	s_andn2_b32 exec_lo, exec_lo, s8
	s_cbranch_execnz .LBB152_7
.LBB152_8:
	s_endpgm
	.section	.rodata,"a",@progbits
	.p2align	6, 0x0
	.amdhsa_kernel _ZN2at6native12_GLOBAL__N_135CatArrayBatchedCopy_alignedK_contigINS1_10OpaqueTypeILj4EEEjLi3ELi64ELi64ELi8EEEvPT_NS1_25CatArrInputTensorMetadataIS5_T0_XT2_EXT3_EEENS1_16TensorSizeStrideIS8_Lj4EEEiS8_
		.amdhsa_group_segment_fixed_size 0
		.amdhsa_private_segment_fixed_size 0
		.amdhsa_kernarg_size 3696
		.amdhsa_user_sgpr_count 6
		.amdhsa_user_sgpr_private_segment_buffer 1
		.amdhsa_user_sgpr_dispatch_ptr 0
		.amdhsa_user_sgpr_queue_ptr 0
		.amdhsa_user_sgpr_kernarg_segment_ptr 1
		.amdhsa_user_sgpr_dispatch_id 0
		.amdhsa_user_sgpr_flat_scratch_init 0
		.amdhsa_user_sgpr_private_segment_size 0
		.amdhsa_wavefront_size32 1
		.amdhsa_uses_dynamic_stack 0
		.amdhsa_system_sgpr_private_segment_wavefront_offset 0
		.amdhsa_system_sgpr_workgroup_id_x 1
		.amdhsa_system_sgpr_workgroup_id_y 1
		.amdhsa_system_sgpr_workgroup_id_z 0
		.amdhsa_system_sgpr_workgroup_info 0
		.amdhsa_system_vgpr_workitem_id 0
		.amdhsa_next_free_vgpr 20
		.amdhsa_next_free_sgpr 22
		.amdhsa_reserve_vcc 1
		.amdhsa_reserve_flat_scratch 0
		.amdhsa_float_round_mode_32 0
		.amdhsa_float_round_mode_16_64 0
		.amdhsa_float_denorm_mode_32 3
		.amdhsa_float_denorm_mode_16_64 3
		.amdhsa_dx10_clamp 1
		.amdhsa_ieee_mode 1
		.amdhsa_fp16_overflow 0
		.amdhsa_workgroup_processor_mode 1
		.amdhsa_memory_ordered 1
		.amdhsa_forward_progress 1
		.amdhsa_shared_vgpr_count 0
		.amdhsa_exception_fp_ieee_invalid_op 0
		.amdhsa_exception_fp_denorm_src 0
		.amdhsa_exception_fp_ieee_div_zero 0
		.amdhsa_exception_fp_ieee_overflow 0
		.amdhsa_exception_fp_ieee_underflow 0
		.amdhsa_exception_fp_ieee_inexact 0
		.amdhsa_exception_int_div_zero 0
	.end_amdhsa_kernel
	.section	.text._ZN2at6native12_GLOBAL__N_135CatArrayBatchedCopy_alignedK_contigINS1_10OpaqueTypeILj4EEEjLi3ELi64ELi64ELi8EEEvPT_NS1_25CatArrInputTensorMetadataIS5_T0_XT2_EXT3_EEENS1_16TensorSizeStrideIS8_Lj4EEEiS8_,"axG",@progbits,_ZN2at6native12_GLOBAL__N_135CatArrayBatchedCopy_alignedK_contigINS1_10OpaqueTypeILj4EEEjLi3ELi64ELi64ELi8EEEvPT_NS1_25CatArrInputTensorMetadataIS5_T0_XT2_EXT3_EEENS1_16TensorSizeStrideIS8_Lj4EEEiS8_,comdat
.Lfunc_end152:
	.size	_ZN2at6native12_GLOBAL__N_135CatArrayBatchedCopy_alignedK_contigINS1_10OpaqueTypeILj4EEEjLi3ELi64ELi64ELi8EEEvPT_NS1_25CatArrInputTensorMetadataIS5_T0_XT2_EXT3_EEENS1_16TensorSizeStrideIS8_Lj4EEEiS8_, .Lfunc_end152-_ZN2at6native12_GLOBAL__N_135CatArrayBatchedCopy_alignedK_contigINS1_10OpaqueTypeILj4EEEjLi3ELi64ELi64ELi8EEEvPT_NS1_25CatArrInputTensorMetadataIS5_T0_XT2_EXT3_EEENS1_16TensorSizeStrideIS8_Lj4EEEiS8_
                                        ; -- End function
	.set _ZN2at6native12_GLOBAL__N_135CatArrayBatchedCopy_alignedK_contigINS1_10OpaqueTypeILj4EEEjLi3ELi64ELi64ELi8EEEvPT_NS1_25CatArrInputTensorMetadataIS5_T0_XT2_EXT3_EEENS1_16TensorSizeStrideIS8_Lj4EEEiS8_.num_vgpr, 20
	.set _ZN2at6native12_GLOBAL__N_135CatArrayBatchedCopy_alignedK_contigINS1_10OpaqueTypeILj4EEEjLi3ELi64ELi64ELi8EEEvPT_NS1_25CatArrInputTensorMetadataIS5_T0_XT2_EXT3_EEENS1_16TensorSizeStrideIS8_Lj4EEEiS8_.num_agpr, 0
	.set _ZN2at6native12_GLOBAL__N_135CatArrayBatchedCopy_alignedK_contigINS1_10OpaqueTypeILj4EEEjLi3ELi64ELi64ELi8EEEvPT_NS1_25CatArrInputTensorMetadataIS5_T0_XT2_EXT3_EEENS1_16TensorSizeStrideIS8_Lj4EEEiS8_.numbered_sgpr, 22
	.set _ZN2at6native12_GLOBAL__N_135CatArrayBatchedCopy_alignedK_contigINS1_10OpaqueTypeILj4EEEjLi3ELi64ELi64ELi8EEEvPT_NS1_25CatArrInputTensorMetadataIS5_T0_XT2_EXT3_EEENS1_16TensorSizeStrideIS8_Lj4EEEiS8_.num_named_barrier, 0
	.set _ZN2at6native12_GLOBAL__N_135CatArrayBatchedCopy_alignedK_contigINS1_10OpaqueTypeILj4EEEjLi3ELi64ELi64ELi8EEEvPT_NS1_25CatArrInputTensorMetadataIS5_T0_XT2_EXT3_EEENS1_16TensorSizeStrideIS8_Lj4EEEiS8_.private_seg_size, 0
	.set _ZN2at6native12_GLOBAL__N_135CatArrayBatchedCopy_alignedK_contigINS1_10OpaqueTypeILj4EEEjLi3ELi64ELi64ELi8EEEvPT_NS1_25CatArrInputTensorMetadataIS5_T0_XT2_EXT3_EEENS1_16TensorSizeStrideIS8_Lj4EEEiS8_.uses_vcc, 1
	.set _ZN2at6native12_GLOBAL__N_135CatArrayBatchedCopy_alignedK_contigINS1_10OpaqueTypeILj4EEEjLi3ELi64ELi64ELi8EEEvPT_NS1_25CatArrInputTensorMetadataIS5_T0_XT2_EXT3_EEENS1_16TensorSizeStrideIS8_Lj4EEEiS8_.uses_flat_scratch, 0
	.set _ZN2at6native12_GLOBAL__N_135CatArrayBatchedCopy_alignedK_contigINS1_10OpaqueTypeILj4EEEjLi3ELi64ELi64ELi8EEEvPT_NS1_25CatArrInputTensorMetadataIS5_T0_XT2_EXT3_EEENS1_16TensorSizeStrideIS8_Lj4EEEiS8_.has_dyn_sized_stack, 0
	.set _ZN2at6native12_GLOBAL__N_135CatArrayBatchedCopy_alignedK_contigINS1_10OpaqueTypeILj4EEEjLi3ELi64ELi64ELi8EEEvPT_NS1_25CatArrInputTensorMetadataIS5_T0_XT2_EXT3_EEENS1_16TensorSizeStrideIS8_Lj4EEEiS8_.has_recursion, 0
	.set _ZN2at6native12_GLOBAL__N_135CatArrayBatchedCopy_alignedK_contigINS1_10OpaqueTypeILj4EEEjLi3ELi64ELi64ELi8EEEvPT_NS1_25CatArrInputTensorMetadataIS5_T0_XT2_EXT3_EEENS1_16TensorSizeStrideIS8_Lj4EEEiS8_.has_indirect_call, 0
	.section	.AMDGPU.csdata,"",@progbits
; Kernel info:
; codeLenInByte = 1332
; TotalNumSgprs: 24
; NumVgprs: 20
; ScratchSize: 0
; MemoryBound: 0
; FloatMode: 240
; IeeeMode: 1
; LDSByteSize: 0 bytes/workgroup (compile time only)
; SGPRBlocks: 0
; VGPRBlocks: 2
; NumSGPRsForWavesPerEU: 24
; NumVGPRsForWavesPerEU: 20
; Occupancy: 16
; WaveLimiterHint : 1
; COMPUTE_PGM_RSRC2:SCRATCH_EN: 0
; COMPUTE_PGM_RSRC2:USER_SGPR: 6
; COMPUTE_PGM_RSRC2:TRAP_HANDLER: 0
; COMPUTE_PGM_RSRC2:TGID_X_EN: 1
; COMPUTE_PGM_RSRC2:TGID_Y_EN: 1
; COMPUTE_PGM_RSRC2:TGID_Z_EN: 0
; COMPUTE_PGM_RSRC2:TIDIG_COMP_CNT: 0
	.section	.text._ZN2at6native12_GLOBAL__N_126CatArrayBatchedCopy_contigINS1_10OpaqueTypeILj4EEEjLi3ELi64ELi64EEEvPT_NS1_25CatArrInputTensorMetadataIS5_T0_XT2_EXT3_EEENS1_16TensorSizeStrideIS8_Lj4EEEiS8_,"axG",@progbits,_ZN2at6native12_GLOBAL__N_126CatArrayBatchedCopy_contigINS1_10OpaqueTypeILj4EEEjLi3ELi64ELi64EEEvPT_NS1_25CatArrInputTensorMetadataIS5_T0_XT2_EXT3_EEENS1_16TensorSizeStrideIS8_Lj4EEEiS8_,comdat
	.globl	_ZN2at6native12_GLOBAL__N_126CatArrayBatchedCopy_contigINS1_10OpaqueTypeILj4EEEjLi3ELi64ELi64EEEvPT_NS1_25CatArrInputTensorMetadataIS5_T0_XT2_EXT3_EEENS1_16TensorSizeStrideIS8_Lj4EEEiS8_ ; -- Begin function _ZN2at6native12_GLOBAL__N_126CatArrayBatchedCopy_contigINS1_10OpaqueTypeILj4EEEjLi3ELi64ELi64EEEvPT_NS1_25CatArrInputTensorMetadataIS5_T0_XT2_EXT3_EEENS1_16TensorSizeStrideIS8_Lj4EEEiS8_
	.p2align	8
	.type	_ZN2at6native12_GLOBAL__N_126CatArrayBatchedCopy_contigINS1_10OpaqueTypeILj4EEEjLi3ELi64ELi64EEEvPT_NS1_25CatArrInputTensorMetadataIS5_T0_XT2_EXT3_EEENS1_16TensorSizeStrideIS8_Lj4EEEiS8_,@function
_ZN2at6native12_GLOBAL__N_126CatArrayBatchedCopy_contigINS1_10OpaqueTypeILj4EEEjLi3ELi64ELi64EEEvPT_NS1_25CatArrInputTensorMetadataIS5_T0_XT2_EXT3_EEENS1_16TensorSizeStrideIS8_Lj4EEEiS8_: ; @_ZN2at6native12_GLOBAL__N_126CatArrayBatchedCopy_contigINS1_10OpaqueTypeILj4EEEjLi3ELi64ELi64EEEvPT_NS1_25CatArrInputTensorMetadataIS5_T0_XT2_EXT3_EEENS1_16TensorSizeStrideIS8_Lj4EEEiS8_
; %bb.0:
	s_mov_b32 s0, s7
	s_load_dword s7, s[4:5], 0xd7c
	s_mov_b32 s1, 0
	s_add_u32 s12, s4, 0xd70
	s_addc_u32 s13, s5, 0
	s_lshl_b64 s[2:3], s[0:1], 2
	s_waitcnt lgkmcnt(0)
	s_and_b32 s0, s7, 0xffff
	s_add_u32 s8, s4, s2
	s_addc_u32 s9, s5, s3
	v_mad_u64_u32 v[0:1], null, s6, s0, v[0:1]
	s_load_dword s7, s[8:9], 0x408
	s_add_u32 s6, s8, 8
	s_addc_u32 s8, s9, 0
	s_mov_b32 s9, exec_lo
	s_waitcnt lgkmcnt(0)
	v_cmpx_gt_u32_e64 s7, v0
	s_cbranch_execz .LBB153_3
; %bb.1:
	s_add_u32 s18, s6, s2
	s_addc_u32 s19, s8, s3
	s_sub_u32 s2, 0, s2
	s_load_dwordx2 s[16:17], s[4:5], 0xd68
	s_subb_u32 s3, 0, s3
	s_add_u32 s20, s18, s2
	s_addc_u32 s21, s19, s3
	s_clause 0x2
	s_load_dwordx2 s[2:3], s[4:5], 0xd4c
	s_load_dword s6, s[20:21], 0x300
	s_load_dwordx4 s[8:11], s[4:5], 0xd58
	s_load_dword s12, s[12:13], 0x0
	s_waitcnt lgkmcnt(0)
	s_cmp_eq_u32 s16, 2
	s_cselect_b32 s11, s6, s3
	s_cmp_eq_u32 s16, 1
	v_cvt_f32_u32_e32 v1, s11
	s_cselect_b32 s14, s6, s2
	s_load_dwordx2 s[2:3], s[4:5], 0x0
	v_cvt_f32_u32_e32 v2, s14
	s_sub_i32 s15, 0, s11
	v_rcp_iflag_f32_e32 v1, v1
	s_sub_i32 s4, 0, s14
	s_load_dword s6, s[20:21], 0x200
	v_rcp_iflag_f32_e32 v2, v2
	s_mul_i32 s12, s12, s0
	v_mul_f32_e32 v1, 0x4f7ffffe, v1
	v_mul_f32_e32 v2, 0x4f7ffffe, v2
	v_cvt_u32_f32_e32 v1, v1
	v_cvt_u32_f32_e32 v3, v2
	v_mul_lo_u32 v2, s15, v1
	v_mul_lo_u32 v4, s4, v3
	s_load_dwordx2 s[4:5], s[18:19], 0x0
	s_waitcnt lgkmcnt(0)
	s_mul_i32 s6, s6, s17
	v_mul_hi_u32 v2, v1, v2
	v_mul_hi_u32 v4, v3, v4
	v_add_nc_u32_e32 v2, v1, v2
	v_mov_b32_e32 v1, 0
	v_add_nc_u32_e32 v3, v3, v4
.LBB153_2:                              ; =>This Inner Loop Header: Depth=1
	v_lshlrev_b64 v[4:5], 2, v[0:1]
	v_mul_hi_u32 v7, v2, v0
	v_add_co_u32 v4, vcc_lo, s4, v4
	v_add_co_ci_u32_e64 v5, null, s5, v5, vcc_lo
	v_mul_lo_u32 v8, s11, v7
	v_add_nc_u32_e32 v9, 1, v7
	global_load_dword v6, v[4:5], off
	v_not_b32_e32 v4, v7
	v_mad_u64_u32 v[4:5], null, s11, v4, v[0:1]
	v_sub_nc_u32_e32 v5, v0, v8
	v_cmp_le_u32_e32 vcc_lo, s11, v5
	v_cndmask_b32_e32 v7, v7, v9, vcc_lo
	v_cndmask_b32_e32 v4, v5, v4, vcc_lo
	v_add_nc_u32_e32 v5, 1, v7
	v_cmp_le_u32_e32 vcc_lo, s11, v4
	v_cndmask_b32_e32 v7, v7, v5, vcc_lo
	v_mul_hi_u32 v4, v7, v3
	v_mul_lo_u32 v5, v4, s14
	v_add_nc_u32_e32 v8, 1, v4
	v_sub_nc_u32_e32 v5, v7, v5
	v_subrev_nc_u32_e32 v9, s14, v5
	v_cmp_le_u32_e32 vcc_lo, s14, v5
	v_cndmask_b32_e32 v4, v4, v8, vcc_lo
	v_cndmask_b32_e32 v5, v5, v9, vcc_lo
	v_add_nc_u32_e32 v8, 1, v4
	v_cmp_le_u32_e32 vcc_lo, s14, v5
	v_cndmask_b32_e32 v8, v4, v8, vcc_lo
	v_mad_u64_u32 v[4:5], null, s15, v7, v[0:1]
	v_add_nc_u32_e32 v0, s12, v0
	v_mul_lo_u32 v9, v8, s14
	v_cmp_le_u32_e32 vcc_lo, s7, v0
	v_mul_lo_u32 v10, v4, s10
	v_mad_u64_u32 v[4:5], null, v8, s8, s[6:7]
	v_mov_b32_e32 v5, v1
	v_sub_nc_u32_e32 v7, v7, v9
	s_or_b32 s1, vcc_lo, s1
	v_mul_lo_u32 v7, v7, s9
	v_add3_u32 v4, v4, v10, v7
	v_lshlrev_b64 v[4:5], 2, v[4:5]
	v_add_co_u32 v4, s0, s2, v4
	v_add_co_ci_u32_e64 v5, null, s3, v5, s0
	s_waitcnt vmcnt(0)
	global_store_dword v[4:5], v6, off
	s_andn2_b32 exec_lo, exec_lo, s1
	s_cbranch_execnz .LBB153_2
.LBB153_3:
	s_endpgm
	.section	.rodata,"a",@progbits
	.p2align	6, 0x0
	.amdhsa_kernel _ZN2at6native12_GLOBAL__N_126CatArrayBatchedCopy_contigINS1_10OpaqueTypeILj4EEEjLi3ELi64ELi64EEEvPT_NS1_25CatArrInputTensorMetadataIS5_T0_XT2_EXT3_EEENS1_16TensorSizeStrideIS8_Lj4EEEiS8_
		.amdhsa_group_segment_fixed_size 0
		.amdhsa_private_segment_fixed_size 0
		.amdhsa_kernarg_size 3696
		.amdhsa_user_sgpr_count 6
		.amdhsa_user_sgpr_private_segment_buffer 1
		.amdhsa_user_sgpr_dispatch_ptr 0
		.amdhsa_user_sgpr_queue_ptr 0
		.amdhsa_user_sgpr_kernarg_segment_ptr 1
		.amdhsa_user_sgpr_dispatch_id 0
		.amdhsa_user_sgpr_flat_scratch_init 0
		.amdhsa_user_sgpr_private_segment_size 0
		.amdhsa_wavefront_size32 1
		.amdhsa_uses_dynamic_stack 0
		.amdhsa_system_sgpr_private_segment_wavefront_offset 0
		.amdhsa_system_sgpr_workgroup_id_x 1
		.amdhsa_system_sgpr_workgroup_id_y 1
		.amdhsa_system_sgpr_workgroup_id_z 0
		.amdhsa_system_sgpr_workgroup_info 0
		.amdhsa_system_vgpr_workitem_id 0
		.amdhsa_next_free_vgpr 11
		.amdhsa_next_free_sgpr 22
		.amdhsa_reserve_vcc 1
		.amdhsa_reserve_flat_scratch 0
		.amdhsa_float_round_mode_32 0
		.amdhsa_float_round_mode_16_64 0
		.amdhsa_float_denorm_mode_32 3
		.amdhsa_float_denorm_mode_16_64 3
		.amdhsa_dx10_clamp 1
		.amdhsa_ieee_mode 1
		.amdhsa_fp16_overflow 0
		.amdhsa_workgroup_processor_mode 1
		.amdhsa_memory_ordered 1
		.amdhsa_forward_progress 1
		.amdhsa_shared_vgpr_count 0
		.amdhsa_exception_fp_ieee_invalid_op 0
		.amdhsa_exception_fp_denorm_src 0
		.amdhsa_exception_fp_ieee_div_zero 0
		.amdhsa_exception_fp_ieee_overflow 0
		.amdhsa_exception_fp_ieee_underflow 0
		.amdhsa_exception_fp_ieee_inexact 0
		.amdhsa_exception_int_div_zero 0
	.end_amdhsa_kernel
	.section	.text._ZN2at6native12_GLOBAL__N_126CatArrayBatchedCopy_contigINS1_10OpaqueTypeILj4EEEjLi3ELi64ELi64EEEvPT_NS1_25CatArrInputTensorMetadataIS5_T0_XT2_EXT3_EEENS1_16TensorSizeStrideIS8_Lj4EEEiS8_,"axG",@progbits,_ZN2at6native12_GLOBAL__N_126CatArrayBatchedCopy_contigINS1_10OpaqueTypeILj4EEEjLi3ELi64ELi64EEEvPT_NS1_25CatArrInputTensorMetadataIS5_T0_XT2_EXT3_EEENS1_16TensorSizeStrideIS8_Lj4EEEiS8_,comdat
.Lfunc_end153:
	.size	_ZN2at6native12_GLOBAL__N_126CatArrayBatchedCopy_contigINS1_10OpaqueTypeILj4EEEjLi3ELi64ELi64EEEvPT_NS1_25CatArrInputTensorMetadataIS5_T0_XT2_EXT3_EEENS1_16TensorSizeStrideIS8_Lj4EEEiS8_, .Lfunc_end153-_ZN2at6native12_GLOBAL__N_126CatArrayBatchedCopy_contigINS1_10OpaqueTypeILj4EEEjLi3ELi64ELi64EEEvPT_NS1_25CatArrInputTensorMetadataIS5_T0_XT2_EXT3_EEENS1_16TensorSizeStrideIS8_Lj4EEEiS8_
                                        ; -- End function
	.set _ZN2at6native12_GLOBAL__N_126CatArrayBatchedCopy_contigINS1_10OpaqueTypeILj4EEEjLi3ELi64ELi64EEEvPT_NS1_25CatArrInputTensorMetadataIS5_T0_XT2_EXT3_EEENS1_16TensorSizeStrideIS8_Lj4EEEiS8_.num_vgpr, 11
	.set _ZN2at6native12_GLOBAL__N_126CatArrayBatchedCopy_contigINS1_10OpaqueTypeILj4EEEjLi3ELi64ELi64EEEvPT_NS1_25CatArrInputTensorMetadataIS5_T0_XT2_EXT3_EEENS1_16TensorSizeStrideIS8_Lj4EEEiS8_.num_agpr, 0
	.set _ZN2at6native12_GLOBAL__N_126CatArrayBatchedCopy_contigINS1_10OpaqueTypeILj4EEEjLi3ELi64ELi64EEEvPT_NS1_25CatArrInputTensorMetadataIS5_T0_XT2_EXT3_EEENS1_16TensorSizeStrideIS8_Lj4EEEiS8_.numbered_sgpr, 22
	.set _ZN2at6native12_GLOBAL__N_126CatArrayBatchedCopy_contigINS1_10OpaqueTypeILj4EEEjLi3ELi64ELi64EEEvPT_NS1_25CatArrInputTensorMetadataIS5_T0_XT2_EXT3_EEENS1_16TensorSizeStrideIS8_Lj4EEEiS8_.num_named_barrier, 0
	.set _ZN2at6native12_GLOBAL__N_126CatArrayBatchedCopy_contigINS1_10OpaqueTypeILj4EEEjLi3ELi64ELi64EEEvPT_NS1_25CatArrInputTensorMetadataIS5_T0_XT2_EXT3_EEENS1_16TensorSizeStrideIS8_Lj4EEEiS8_.private_seg_size, 0
	.set _ZN2at6native12_GLOBAL__N_126CatArrayBatchedCopy_contigINS1_10OpaqueTypeILj4EEEjLi3ELi64ELi64EEEvPT_NS1_25CatArrInputTensorMetadataIS5_T0_XT2_EXT3_EEENS1_16TensorSizeStrideIS8_Lj4EEEiS8_.uses_vcc, 1
	.set _ZN2at6native12_GLOBAL__N_126CatArrayBatchedCopy_contigINS1_10OpaqueTypeILj4EEEjLi3ELi64ELi64EEEvPT_NS1_25CatArrInputTensorMetadataIS5_T0_XT2_EXT3_EEENS1_16TensorSizeStrideIS8_Lj4EEEiS8_.uses_flat_scratch, 0
	.set _ZN2at6native12_GLOBAL__N_126CatArrayBatchedCopy_contigINS1_10OpaqueTypeILj4EEEjLi3ELi64ELi64EEEvPT_NS1_25CatArrInputTensorMetadataIS5_T0_XT2_EXT3_EEENS1_16TensorSizeStrideIS8_Lj4EEEiS8_.has_dyn_sized_stack, 0
	.set _ZN2at6native12_GLOBAL__N_126CatArrayBatchedCopy_contigINS1_10OpaqueTypeILj4EEEjLi3ELi64ELi64EEEvPT_NS1_25CatArrInputTensorMetadataIS5_T0_XT2_EXT3_EEENS1_16TensorSizeStrideIS8_Lj4EEEiS8_.has_recursion, 0
	.set _ZN2at6native12_GLOBAL__N_126CatArrayBatchedCopy_contigINS1_10OpaqueTypeILj4EEEjLi3ELi64ELi64EEEvPT_NS1_25CatArrInputTensorMetadataIS5_T0_XT2_EXT3_EEENS1_16TensorSizeStrideIS8_Lj4EEEiS8_.has_indirect_call, 0
	.section	.AMDGPU.csdata,"",@progbits
; Kernel info:
; codeLenInByte = 572
; TotalNumSgprs: 24
; NumVgprs: 11
; ScratchSize: 0
; MemoryBound: 0
; FloatMode: 240
; IeeeMode: 1
; LDSByteSize: 0 bytes/workgroup (compile time only)
; SGPRBlocks: 0
; VGPRBlocks: 1
; NumSGPRsForWavesPerEU: 24
; NumVGPRsForWavesPerEU: 11
; Occupancy: 16
; WaveLimiterHint : 1
; COMPUTE_PGM_RSRC2:SCRATCH_EN: 0
; COMPUTE_PGM_RSRC2:USER_SGPR: 6
; COMPUTE_PGM_RSRC2:TRAP_HANDLER: 0
; COMPUTE_PGM_RSRC2:TGID_X_EN: 1
; COMPUTE_PGM_RSRC2:TGID_Y_EN: 1
; COMPUTE_PGM_RSRC2:TGID_Z_EN: 0
; COMPUTE_PGM_RSRC2:TIDIG_COMP_CNT: 0
	.section	.text._ZN2at6native12_GLOBAL__N_119CatArrayBatchedCopyINS1_10OpaqueTypeILj4EEEjLi3ELi64ELi64EEEvPT_NS1_25CatArrInputTensorMetadataIS5_T0_XT2_EXT3_EEENS1_16TensorSizeStrideIS8_Lj4EEEiS8_,"axG",@progbits,_ZN2at6native12_GLOBAL__N_119CatArrayBatchedCopyINS1_10OpaqueTypeILj4EEEjLi3ELi64ELi64EEEvPT_NS1_25CatArrInputTensorMetadataIS5_T0_XT2_EXT3_EEENS1_16TensorSizeStrideIS8_Lj4EEEiS8_,comdat
	.globl	_ZN2at6native12_GLOBAL__N_119CatArrayBatchedCopyINS1_10OpaqueTypeILj4EEEjLi3ELi64ELi64EEEvPT_NS1_25CatArrInputTensorMetadataIS5_T0_XT2_EXT3_EEENS1_16TensorSizeStrideIS8_Lj4EEEiS8_ ; -- Begin function _ZN2at6native12_GLOBAL__N_119CatArrayBatchedCopyINS1_10OpaqueTypeILj4EEEjLi3ELi64ELi64EEEvPT_NS1_25CatArrInputTensorMetadataIS5_T0_XT2_EXT3_EEENS1_16TensorSizeStrideIS8_Lj4EEEiS8_
	.p2align	8
	.type	_ZN2at6native12_GLOBAL__N_119CatArrayBatchedCopyINS1_10OpaqueTypeILj4EEEjLi3ELi64ELi64EEEvPT_NS1_25CatArrInputTensorMetadataIS5_T0_XT2_EXT3_EEENS1_16TensorSizeStrideIS8_Lj4EEEiS8_,@function
_ZN2at6native12_GLOBAL__N_119CatArrayBatchedCopyINS1_10OpaqueTypeILj4EEEjLi3ELi64ELi64EEEvPT_NS1_25CatArrInputTensorMetadataIS5_T0_XT2_EXT3_EEENS1_16TensorSizeStrideIS8_Lj4EEEiS8_: ; @_ZN2at6native12_GLOBAL__N_119CatArrayBatchedCopyINS1_10OpaqueTypeILj4EEEjLi3ELi64ELi64EEEvPT_NS1_25CatArrInputTensorMetadataIS5_T0_XT2_EXT3_EEENS1_16TensorSizeStrideIS8_Lj4EEEiS8_
; %bb.0:
	s_mov_b32 s0, s7
	s_load_dword s7, s[4:5], 0xd7c
	s_or_b32 s12, s4, 8
	s_mov_b32 s1, 0
	s_add_u32 s2, s4, 0xd70
	s_addc_u32 s3, s5, 0
	s_lshl_b64 s[8:9], s[0:1], 2
	s_mov_b32 s13, exec_lo
	s_waitcnt lgkmcnt(0)
	s_and_b32 s21, s7, 0xffff
	s_add_u32 s10, s12, s8
	s_addc_u32 s11, s5, s9
	v_mad_u64_u32 v[0:1], null, s6, s21, v[0:1]
	s_load_dword s7, s[10:11], 0x400
	s_waitcnt lgkmcnt(0)
	v_cmpx_gt_u32_e64 s7, v0
	s_cbranch_execz .LBB154_5
; %bb.1:
	s_mul_i32 s13, s0, 28
	s_mul_hi_u32 s15, s0, 28
	s_add_u32 s14, s10, s13
	v_mov_b32_e32 v1, 0
	s_addc_u32 s15, s11, s15
	s_add_u32 s10, s12, s0
	s_addc_u32 s11, s5, 0
	s_load_dwordx2 s[22:23], s[4:5], 0xd68
	global_load_ubyte v2, v1, s[10:11] offset:1280
	s_mul_hi_u32 s12, s0, 7
	s_mul_i32 s0, s0, 7
	s_waitcnt vmcnt(0)
	v_and_b32_e32 v2, 1, v2
	v_cmp_eq_u32_e32 vcc_lo, 1, v2
	s_xor_b32 s6, vcc_lo, -1
	s_add_u32 s24, s10, s0
	s_addc_u32 s25, s11, s12
	s_sub_u32 s0, 0, s8
	s_subb_u32 s8, 0, s9
	s_add_u32 s18, s24, s0
	s_addc_u32 s19, s25, s8
	s_clause 0x3
	s_load_dwordx2 s[16:17], s[4:5], 0xd4c
	s_load_dword s0, s[18:19], 0x300
	s_load_dwordx2 s[26:27], s[14:15], 0x544
	s_load_dwordx4 s[8:11], s[4:5], 0xd58
	s_waitcnt lgkmcnt(0)
	s_cmp_eq_u32 s22, 2
	s_load_dwordx4 s[12:15], s[14:15], 0x550
	s_cselect_b32 s11, s0, s17
	s_waitcnt lgkmcnt(0)
	s_cselect_b32 s15, s0, s27
	s_cmp_eq_u32 s22, 1
	v_cvt_f32_u32_e32 v2, s11
	s_cselect_b32 s16, s0, s16
	s_cselect_b32 s17, s0, s26
	v_cvt_f32_u32_e32 v3, s15
	v_cvt_f32_u32_e32 v4, s16
	;; [unrolled: 1-line block ×3, first 2 shown]
	v_rcp_iflag_f32_e32 v2, v2
	s_load_dword s20, s[18:19], 0x200
	s_load_dword s0, s[2:3], 0x0
	v_rcp_iflag_f32_e32 v3, v3
	v_rcp_iflag_f32_e32 v4, v4
	;; [unrolled: 1-line block ×3, first 2 shown]
	s_sub_i32 s18, 0, s11
	s_sub_i32 s19, 0, s15
	;; [unrolled: 1-line block ×4, first 2 shown]
	v_mul_f32_e32 v2, 0x4f7ffffe, v2
	v_mul_f32_e32 v3, 0x4f7ffffe, v3
	;; [unrolled: 1-line block ×4, first 2 shown]
	v_cvt_u32_f32_e32 v2, v2
	v_cvt_u32_f32_e32 v3, v3
	;; [unrolled: 1-line block ×4, first 2 shown]
	v_mul_lo_u32 v4, s18, v2
	s_waitcnt lgkmcnt(0)
	s_mul_i32 s20, s20, s23
	v_mul_lo_u32 v5, s19, v3
	v_mul_lo_u32 v8, s2, v6
	;; [unrolled: 1-line block ×3, first 2 shown]
	s_clause 0x1
	s_load_dwordx2 s[2:3], s[4:5], 0x0
	s_load_dwordx2 s[4:5], s[24:25], 0x0
	s_mul_i32 s21, s0, s21
	v_mul_hi_u32 v4, v2, v4
	v_mul_hi_u32 v5, v3, v5
	;; [unrolled: 1-line block ×4, first 2 shown]
	v_add_nc_u32_e32 v4, v2, v4
	v_add_nc_u32_e32 v5, v3, v5
	;; [unrolled: 1-line block ×4, first 2 shown]
	s_branch .LBB154_3
.LBB154_2:                              ;   in Loop: Header=BB154_3 Depth=1
	v_lshlrev_b64 v[2:3], 2, v[2:3]
	v_mul_hi_u32 v11, v4, v0
	s_waitcnt lgkmcnt(0)
	v_add_co_u32 v2, vcc_lo, s4, v2
	v_add_co_ci_u32_e64 v3, null, s5, v3, vcc_lo
	v_not_b32_e32 v8, v11
	global_load_dword v10, v[2:3], off
	v_mad_u64_u32 v[2:3], null, s18, v11, v[0:1]
	v_mad_u64_u32 v[8:9], null, s11, v8, v[0:1]
	v_add_nc_u32_e32 v3, 1, v11
	v_cmp_le_u32_e32 vcc_lo, s11, v2
	v_cndmask_b32_e32 v3, v11, v3, vcc_lo
	v_cndmask_b32_e32 v2, v2, v8, vcc_lo
	v_add_nc_u32_e32 v8, 1, v3
	v_cmp_le_u32_e32 vcc_lo, s11, v2
	v_cndmask_b32_e32 v8, v3, v8, vcc_lo
	v_mul_hi_u32 v2, v8, v6
	v_mul_lo_u32 v3, v2, s16
	v_add_nc_u32_e32 v9, 1, v2
	v_sub_nc_u32_e32 v3, v8, v3
	v_subrev_nc_u32_e32 v11, s16, v3
	v_cmp_le_u32_e32 vcc_lo, s16, v3
	v_cndmask_b32_e32 v2, v2, v9, vcc_lo
	v_cndmask_b32_e32 v3, v3, v11, vcc_lo
	v_add_nc_u32_e32 v9, 1, v2
	v_cmp_le_u32_e32 vcc_lo, s16, v3
	v_cndmask_b32_e32 v9, v2, v9, vcc_lo
	v_mad_u64_u32 v[2:3], null, s18, v8, v[0:1]
	v_add_nc_u32_e32 v0, s21, v0
	v_mul_lo_u32 v11, v9, s16
	v_mul_lo_u32 v3, v9, s8
	v_cmp_le_u32_e32 vcc_lo, s7, v0
	v_sub_nc_u32_e32 v8, v8, v11
	v_mad_u64_u32 v[2:3], null, v2, s10, v[3:4]
	v_mov_b32_e32 v3, v1
	s_or_b32 s1, vcc_lo, s1
	v_mul_lo_u32 v8, v8, s9
	v_add3_u32 v2, v2, v8, s20
	v_lshlrev_b64 v[2:3], 2, v[2:3]
	v_add_co_u32 v2, s0, s2, v2
	v_add_co_ci_u32_e64 v3, null, s3, v3, s0
	s_waitcnt vmcnt(0)
	global_store_dword v[2:3], v10, off
	s_andn2_b32 exec_lo, exec_lo, s1
	s_cbranch_execz .LBB154_5
.LBB154_3:                              ; =>This Inner Loop Header: Depth=1
	v_mov_b32_e32 v3, v1
	v_mov_b32_e32 v2, v0
	s_andn2_b32 vcc_lo, exec_lo, s6
	s_cbranch_vccnz .LBB154_2
; %bb.4:                                ;   in Loop: Header=BB154_3 Depth=1
	v_mul_hi_u32 v10, v5, v0
	v_not_b32_e32 v8, v10
	v_mad_u64_u32 v[2:3], null, s19, v10, v[0:1]
	v_add_nc_u32_e32 v3, 1, v10
	v_mad_u64_u32 v[8:9], null, s15, v8, v[0:1]
	v_cmp_le_u32_e32 vcc_lo, s15, v2
	v_cndmask_b32_e32 v3, v10, v3, vcc_lo
	v_cndmask_b32_e32 v2, v2, v8, vcc_lo
	v_add_nc_u32_e32 v8, 1, v3
	v_cmp_le_u32_e32 vcc_lo, s15, v2
	v_cndmask_b32_e32 v8, v3, v8, vcc_lo
	v_mul_hi_u32 v2, v8, v7
	v_mul_lo_u32 v3, v2, s17
	v_add_nc_u32_e32 v9, 1, v2
	v_sub_nc_u32_e32 v3, v8, v3
	v_subrev_nc_u32_e32 v10, s17, v3
	v_cmp_le_u32_e32 vcc_lo, s17, v3
	v_cndmask_b32_e32 v2, v2, v9, vcc_lo
	v_cndmask_b32_e32 v3, v3, v10, vcc_lo
	v_add_nc_u32_e32 v9, 1, v2
	v_cmp_le_u32_e32 vcc_lo, s17, v3
	v_cndmask_b32_e32 v9, v2, v9, vcc_lo
	v_mad_u64_u32 v[2:3], null, s19, v8, v[0:1]
	v_mul_lo_u32 v10, v9, s17
	v_mul_lo_u32 v2, v2, s14
	v_sub_nc_u32_e32 v3, v8, v10
	v_mul_lo_u32 v8, v9, s12
	v_mul_lo_u32 v3, v3, s13
	v_add3_u32 v2, v2, v8, v3
	v_mov_b32_e32 v3, v1
	s_branch .LBB154_2
.LBB154_5:
	s_endpgm
	.section	.rodata,"a",@progbits
	.p2align	6, 0x0
	.amdhsa_kernel _ZN2at6native12_GLOBAL__N_119CatArrayBatchedCopyINS1_10OpaqueTypeILj4EEEjLi3ELi64ELi64EEEvPT_NS1_25CatArrInputTensorMetadataIS5_T0_XT2_EXT3_EEENS1_16TensorSizeStrideIS8_Lj4EEEiS8_
		.amdhsa_group_segment_fixed_size 0
		.amdhsa_private_segment_fixed_size 0
		.amdhsa_kernarg_size 3696
		.amdhsa_user_sgpr_count 6
		.amdhsa_user_sgpr_private_segment_buffer 1
		.amdhsa_user_sgpr_dispatch_ptr 0
		.amdhsa_user_sgpr_queue_ptr 0
		.amdhsa_user_sgpr_kernarg_segment_ptr 1
		.amdhsa_user_sgpr_dispatch_id 0
		.amdhsa_user_sgpr_flat_scratch_init 0
		.amdhsa_user_sgpr_private_segment_size 0
		.amdhsa_wavefront_size32 1
		.amdhsa_uses_dynamic_stack 0
		.amdhsa_system_sgpr_private_segment_wavefront_offset 0
		.amdhsa_system_sgpr_workgroup_id_x 1
		.amdhsa_system_sgpr_workgroup_id_y 1
		.amdhsa_system_sgpr_workgroup_id_z 0
		.amdhsa_system_sgpr_workgroup_info 0
		.amdhsa_system_vgpr_workitem_id 0
		.amdhsa_next_free_vgpr 12
		.amdhsa_next_free_sgpr 28
		.amdhsa_reserve_vcc 1
		.amdhsa_reserve_flat_scratch 0
		.amdhsa_float_round_mode_32 0
		.amdhsa_float_round_mode_16_64 0
		.amdhsa_float_denorm_mode_32 3
		.amdhsa_float_denorm_mode_16_64 3
		.amdhsa_dx10_clamp 1
		.amdhsa_ieee_mode 1
		.amdhsa_fp16_overflow 0
		.amdhsa_workgroup_processor_mode 1
		.amdhsa_memory_ordered 1
		.amdhsa_forward_progress 1
		.amdhsa_shared_vgpr_count 0
		.amdhsa_exception_fp_ieee_invalid_op 0
		.amdhsa_exception_fp_denorm_src 0
		.amdhsa_exception_fp_ieee_div_zero 0
		.amdhsa_exception_fp_ieee_overflow 0
		.amdhsa_exception_fp_ieee_underflow 0
		.amdhsa_exception_fp_ieee_inexact 0
		.amdhsa_exception_int_div_zero 0
	.end_amdhsa_kernel
	.section	.text._ZN2at6native12_GLOBAL__N_119CatArrayBatchedCopyINS1_10OpaqueTypeILj4EEEjLi3ELi64ELi64EEEvPT_NS1_25CatArrInputTensorMetadataIS5_T0_XT2_EXT3_EEENS1_16TensorSizeStrideIS8_Lj4EEEiS8_,"axG",@progbits,_ZN2at6native12_GLOBAL__N_119CatArrayBatchedCopyINS1_10OpaqueTypeILj4EEEjLi3ELi64ELi64EEEvPT_NS1_25CatArrInputTensorMetadataIS5_T0_XT2_EXT3_EEENS1_16TensorSizeStrideIS8_Lj4EEEiS8_,comdat
.Lfunc_end154:
	.size	_ZN2at6native12_GLOBAL__N_119CatArrayBatchedCopyINS1_10OpaqueTypeILj4EEEjLi3ELi64ELi64EEEvPT_NS1_25CatArrInputTensorMetadataIS5_T0_XT2_EXT3_EEENS1_16TensorSizeStrideIS8_Lj4EEEiS8_, .Lfunc_end154-_ZN2at6native12_GLOBAL__N_119CatArrayBatchedCopyINS1_10OpaqueTypeILj4EEEjLi3ELi64ELi64EEEvPT_NS1_25CatArrInputTensorMetadataIS5_T0_XT2_EXT3_EEENS1_16TensorSizeStrideIS8_Lj4EEEiS8_
                                        ; -- End function
	.set _ZN2at6native12_GLOBAL__N_119CatArrayBatchedCopyINS1_10OpaqueTypeILj4EEEjLi3ELi64ELi64EEEvPT_NS1_25CatArrInputTensorMetadataIS5_T0_XT2_EXT3_EEENS1_16TensorSizeStrideIS8_Lj4EEEiS8_.num_vgpr, 12
	.set _ZN2at6native12_GLOBAL__N_119CatArrayBatchedCopyINS1_10OpaqueTypeILj4EEEjLi3ELi64ELi64EEEvPT_NS1_25CatArrInputTensorMetadataIS5_T0_XT2_EXT3_EEENS1_16TensorSizeStrideIS8_Lj4EEEiS8_.num_agpr, 0
	.set _ZN2at6native12_GLOBAL__N_119CatArrayBatchedCopyINS1_10OpaqueTypeILj4EEEjLi3ELi64ELi64EEEvPT_NS1_25CatArrInputTensorMetadataIS5_T0_XT2_EXT3_EEENS1_16TensorSizeStrideIS8_Lj4EEEiS8_.numbered_sgpr, 28
	.set _ZN2at6native12_GLOBAL__N_119CatArrayBatchedCopyINS1_10OpaqueTypeILj4EEEjLi3ELi64ELi64EEEvPT_NS1_25CatArrInputTensorMetadataIS5_T0_XT2_EXT3_EEENS1_16TensorSizeStrideIS8_Lj4EEEiS8_.num_named_barrier, 0
	.set _ZN2at6native12_GLOBAL__N_119CatArrayBatchedCopyINS1_10OpaqueTypeILj4EEEjLi3ELi64ELi64EEEvPT_NS1_25CatArrInputTensorMetadataIS5_T0_XT2_EXT3_EEENS1_16TensorSizeStrideIS8_Lj4EEEiS8_.private_seg_size, 0
	.set _ZN2at6native12_GLOBAL__N_119CatArrayBatchedCopyINS1_10OpaqueTypeILj4EEEjLi3ELi64ELi64EEEvPT_NS1_25CatArrInputTensorMetadataIS5_T0_XT2_EXT3_EEENS1_16TensorSizeStrideIS8_Lj4EEEiS8_.uses_vcc, 1
	.set _ZN2at6native12_GLOBAL__N_119CatArrayBatchedCopyINS1_10OpaqueTypeILj4EEEjLi3ELi64ELi64EEEvPT_NS1_25CatArrInputTensorMetadataIS5_T0_XT2_EXT3_EEENS1_16TensorSizeStrideIS8_Lj4EEEiS8_.uses_flat_scratch, 0
	.set _ZN2at6native12_GLOBAL__N_119CatArrayBatchedCopyINS1_10OpaqueTypeILj4EEEjLi3ELi64ELi64EEEvPT_NS1_25CatArrInputTensorMetadataIS5_T0_XT2_EXT3_EEENS1_16TensorSizeStrideIS8_Lj4EEEiS8_.has_dyn_sized_stack, 0
	.set _ZN2at6native12_GLOBAL__N_119CatArrayBatchedCopyINS1_10OpaqueTypeILj4EEEjLi3ELi64ELi64EEEvPT_NS1_25CatArrInputTensorMetadataIS5_T0_XT2_EXT3_EEENS1_16TensorSizeStrideIS8_Lj4EEEiS8_.has_recursion, 0
	.set _ZN2at6native12_GLOBAL__N_119CatArrayBatchedCopyINS1_10OpaqueTypeILj4EEEjLi3ELi64ELi64EEEvPT_NS1_25CatArrInputTensorMetadataIS5_T0_XT2_EXT3_EEENS1_16TensorSizeStrideIS8_Lj4EEEiS8_.has_indirect_call, 0
	.section	.AMDGPU.csdata,"",@progbits
; Kernel info:
; codeLenInByte = 932
; TotalNumSgprs: 30
; NumVgprs: 12
; ScratchSize: 0
; MemoryBound: 0
; FloatMode: 240
; IeeeMode: 1
; LDSByteSize: 0 bytes/workgroup (compile time only)
; SGPRBlocks: 0
; VGPRBlocks: 1
; NumSGPRsForWavesPerEU: 30
; NumVGPRsForWavesPerEU: 12
; Occupancy: 16
; WaveLimiterHint : 1
; COMPUTE_PGM_RSRC2:SCRATCH_EN: 0
; COMPUTE_PGM_RSRC2:USER_SGPR: 6
; COMPUTE_PGM_RSRC2:TRAP_HANDLER: 0
; COMPUTE_PGM_RSRC2:TGID_X_EN: 1
; COMPUTE_PGM_RSRC2:TGID_Y_EN: 1
; COMPUTE_PGM_RSRC2:TGID_Z_EN: 0
; COMPUTE_PGM_RSRC2:TIDIG_COMP_CNT: 0
	.section	.text._ZN2at6native12_GLOBAL__N_130CatArrayBatchedCopy_vectorizedINS1_10OpaqueTypeILj4EEEjLi4ELi64ELi64ELi16ELi4EEEvPcNS1_25CatArrInputTensorMetadataIT_T0_XT2_EXT3_EEENS1_16TensorSizeStrideIS8_Lj4EEEiS8_,"axG",@progbits,_ZN2at6native12_GLOBAL__N_130CatArrayBatchedCopy_vectorizedINS1_10OpaqueTypeILj4EEEjLi4ELi64ELi64ELi16ELi4EEEvPcNS1_25CatArrInputTensorMetadataIT_T0_XT2_EXT3_EEENS1_16TensorSizeStrideIS8_Lj4EEEiS8_,comdat
	.globl	_ZN2at6native12_GLOBAL__N_130CatArrayBatchedCopy_vectorizedINS1_10OpaqueTypeILj4EEEjLi4ELi64ELi64ELi16ELi4EEEvPcNS1_25CatArrInputTensorMetadataIT_T0_XT2_EXT3_EEENS1_16TensorSizeStrideIS8_Lj4EEEiS8_ ; -- Begin function _ZN2at6native12_GLOBAL__N_130CatArrayBatchedCopy_vectorizedINS1_10OpaqueTypeILj4EEEjLi4ELi64ELi64ELi16ELi4EEEvPcNS1_25CatArrInputTensorMetadataIT_T0_XT2_EXT3_EEENS1_16TensorSizeStrideIS8_Lj4EEEiS8_
	.p2align	8
	.type	_ZN2at6native12_GLOBAL__N_130CatArrayBatchedCopy_vectorizedINS1_10OpaqueTypeILj4EEEjLi4ELi64ELi64ELi16ELi4EEEvPcNS1_25CatArrInputTensorMetadataIT_T0_XT2_EXT3_EEENS1_16TensorSizeStrideIS8_Lj4EEEiS8_,@function
_ZN2at6native12_GLOBAL__N_130CatArrayBatchedCopy_vectorizedINS1_10OpaqueTypeILj4EEEjLi4ELi64ELi64ELi16ELi4EEEvPcNS1_25CatArrInputTensorMetadataIT_T0_XT2_EXT3_EEENS1_16TensorSizeStrideIS8_Lj4EEEiS8_: ; @_ZN2at6native12_GLOBAL__N_130CatArrayBatchedCopy_vectorizedINS1_10OpaqueTypeILj4EEEjLi4ELi64ELi64ELi16ELi4EEEvPcNS1_25CatArrInputTensorMetadataIT_T0_XT2_EXT3_EEENS1_16TensorSizeStrideIS8_Lj4EEEiS8_
; %bb.0:
	s_mov_b32 s0, s7
	s_load_dword s7, s[4:5], 0xd7c
	s_mov_b32 s1, 0
	s_add_u32 s2, s4, 0xd70
	s_addc_u32 s3, s5, 0
	s_lshl_b64 s[8:9], s[0:1], 2
	s_waitcnt lgkmcnt(0)
	s_and_b32 s15, s7, 0xffff
	s_add_u32 s10, s4, s8
	s_addc_u32 s11, s5, s9
	v_mad_u64_u32 v[0:1], null, s6, s15, v[0:1]
	s_load_dword s7, s[10:11], 0x408
	s_add_u32 s0, s10, 8
	s_addc_u32 s6, s11, 0
	s_waitcnt lgkmcnt(0)
	s_lshr_b32 s10, s7, 2
	s_mov_b32 s7, exec_lo
	v_cmpx_gt_u32_e64 s10, v0
	s_cbranch_execz .LBB155_3
; %bb.1:
	s_add_u32 s20, s0, s8
	s_addc_u32 s21, s6, s9
	s_sub_u32 s0, 0, s8
	s_subb_u32 s7, 0, s9
	s_add_u32 s6, s20, s0
	s_addc_u32 s7, s21, s7
	s_clause 0x3
	s_load_dwordx2 s[12:13], s[4:5], 0xd68
	s_load_dword s0, s[6:7], 0x200
	s_load_dword s6, s[6:7], 0x300
	s_load_dwordx4 s[16:19], s[4:5], 0xd4c
	s_waitcnt lgkmcnt(0)
	s_mul_i32 s0, s0, s13
	s_mul_i32 s6, s6, s13
	s_lshr_b32 s0, s0, 2
	s_lshr_b32 s6, s6, 2
	s_lshl_b64 s[22:23], s[0:1], 4
	s_cmp_eq_u32 s12, 3
	s_load_dword s0, s[2:3], 0x0
	s_cselect_b32 s8, s6, s18
	s_cmp_eq_u32 s12, 2
	v_cvt_f32_u32_e32 v1, s8
	s_cselect_b32 s9, s6, s17
	s_cmp_eq_u32 s12, 1
	v_cvt_f32_u32_e32 v2, s9
	s_cselect_b32 s11, s6, s16
	s_load_dwordx2 s[18:19], s[4:5], 0x0
	v_cvt_f32_u32_e32 v3, s11
	v_rcp_iflag_f32_e32 v1, v1
	v_rcp_iflag_f32_e32 v2, v2
	s_load_dwordx4 s[4:7], s[4:5], 0xd58
	v_rcp_iflag_f32_e32 v3, v3
	v_mul_f32_e32 v1, 0x4f7ffffe, v1
	v_mul_f32_e32 v2, 0x4f7ffffe, v2
	s_waitcnt lgkmcnt(0)
	s_mul_i32 s15, s0, s15
	v_mul_f32_e32 v3, 0x4f7ffffe, v3
	v_cvt_u32_f32_e32 v1, v1
	v_cvt_u32_f32_e32 v4, v2
	s_add_u32 s12, s18, s22
	v_cvt_u32_f32_e32 v5, v3
	s_addc_u32 s13, s19, s23
	s_sub_i32 s14, 0, s8
	s_sub_i32 s2, 0, s9
	s_sub_i32 s3, 0, s11
	v_mul_lo_u32 v2, s14, v1
	v_mul_lo_u32 v3, s2, v4
	v_mul_lo_u32 v6, s3, v5
	s_load_dwordx2 s[2:3], s[20:21], 0x0
	v_mul_hi_u32 v2, v1, v2
	v_mul_hi_u32 v3, v4, v3
	;; [unrolled: 1-line block ×3, first 2 shown]
	v_add_nc_u32_e32 v2, v1, v2
	v_mov_b32_e32 v1, 0
	v_add_nc_u32_e32 v3, v4, v3
	v_add_nc_u32_e32 v4, v5, v6
.LBB155_2:                              ; =>This Inner Loop Header: Depth=1
	v_lshlrev_b64 v[5:6], 4, v[0:1]
	v_mul_hi_u32 v11, v2, v0
	s_waitcnt lgkmcnt(0)
	v_add_co_u32 v5, vcc_lo, s2, v5
	v_add_co_ci_u32_e64 v6, null, s3, v6, vcc_lo
	v_mul_lo_u32 v12, s8, v11
	v_not_b32_e32 v9, v11
	v_add_nc_u32_e32 v13, 1, v11
	global_load_dwordx4 v[5:8], v[5:6], off
	v_mad_u64_u32 v[9:10], null, s8, v9, v[0:1]
	v_sub_nc_u32_e32 v10, v0, v12
	v_cmp_le_u32_e32 vcc_lo, s8, v10
	v_cndmask_b32_e32 v11, v11, v13, vcc_lo
	v_cndmask_b32_e32 v9, v10, v9, vcc_lo
	v_add_nc_u32_e32 v10, 1, v11
	v_cmp_le_u32_e32 vcc_lo, s8, v9
	v_cndmask_b32_e32 v11, v11, v10, vcc_lo
	v_mul_hi_u32 v12, v11, v3
	v_mad_u64_u32 v[9:10], null, s14, v11, v[0:1]
	v_add_nc_u32_e32 v0, s15, v0
	v_mul_lo_u32 v10, v12, s9
	v_add_nc_u32_e32 v13, 1, v12
	v_mul_lo_u32 v9, v9, s7
	v_sub_nc_u32_e32 v10, v11, v10
	v_subrev_nc_u32_e32 v14, s9, v10
	v_cmp_le_u32_e32 vcc_lo, s9, v10
	v_cndmask_b32_e32 v12, v12, v13, vcc_lo
	v_cndmask_b32_e32 v10, v10, v14, vcc_lo
	v_add_nc_u32_e32 v13, 1, v12
	v_cmp_le_u32_e32 vcc_lo, s9, v10
	v_cndmask_b32_e32 v10, v12, v13, vcc_lo
	v_mul_hi_u32 v12, v10, v4
	v_mul_lo_u32 v13, v12, s11
	v_add_nc_u32_e32 v14, 1, v12
	v_sub_nc_u32_e32 v13, v10, v13
	v_subrev_nc_u32_e32 v15, s11, v13
	v_cmp_le_u32_e32 vcc_lo, s11, v13
	v_cndmask_b32_e32 v12, v12, v14, vcc_lo
	v_cndmask_b32_e32 v13, v13, v15, vcc_lo
	v_add_nc_u32_e32 v14, 1, v12
	v_cmp_le_u32_e32 vcc_lo, s11, v13
	v_mul_lo_u32 v13, v10, s9
	v_cndmask_b32_e32 v12, v12, v14, vcc_lo
	v_cmp_le_u32_e32 vcc_lo, s10, v0
	v_sub_nc_u32_e32 v11, v11, v13
	v_mul_lo_u32 v14, v12, s11
	s_or_b32 s1, vcc_lo, s1
	v_mul_lo_u32 v11, v11, s6
	v_sub_nc_u32_e32 v13, v10, v14
	v_mad_u64_u32 v[9:10], null, v12, s4, v[9:10]
	v_mov_b32_e32 v10, v1
	v_mul_lo_u32 v12, v13, s5
	v_add3_u32 v9, v9, v11, v12
	v_lshlrev_b64 v[9:10], 4, v[9:10]
	v_add_co_u32 v9, s0, s12, v9
	v_add_co_ci_u32_e64 v10, null, s13, v10, s0
	s_waitcnt vmcnt(0)
	global_store_dwordx4 v[9:10], v[5:8], off
	s_andn2_b32 exec_lo, exec_lo, s1
	s_cbranch_execnz .LBB155_2
.LBB155_3:
	s_endpgm
	.section	.rodata,"a",@progbits
	.p2align	6, 0x0
	.amdhsa_kernel _ZN2at6native12_GLOBAL__N_130CatArrayBatchedCopy_vectorizedINS1_10OpaqueTypeILj4EEEjLi4ELi64ELi64ELi16ELi4EEEvPcNS1_25CatArrInputTensorMetadataIT_T0_XT2_EXT3_EEENS1_16TensorSizeStrideIS8_Lj4EEEiS8_
		.amdhsa_group_segment_fixed_size 0
		.amdhsa_private_segment_fixed_size 0
		.amdhsa_kernarg_size 3696
		.amdhsa_user_sgpr_count 6
		.amdhsa_user_sgpr_private_segment_buffer 1
		.amdhsa_user_sgpr_dispatch_ptr 0
		.amdhsa_user_sgpr_queue_ptr 0
		.amdhsa_user_sgpr_kernarg_segment_ptr 1
		.amdhsa_user_sgpr_dispatch_id 0
		.amdhsa_user_sgpr_flat_scratch_init 0
		.amdhsa_user_sgpr_private_segment_size 0
		.amdhsa_wavefront_size32 1
		.amdhsa_uses_dynamic_stack 0
		.amdhsa_system_sgpr_private_segment_wavefront_offset 0
		.amdhsa_system_sgpr_workgroup_id_x 1
		.amdhsa_system_sgpr_workgroup_id_y 1
		.amdhsa_system_sgpr_workgroup_id_z 0
		.amdhsa_system_sgpr_workgroup_info 0
		.amdhsa_system_vgpr_workitem_id 0
		.amdhsa_next_free_vgpr 16
		.amdhsa_next_free_sgpr 24
		.amdhsa_reserve_vcc 1
		.amdhsa_reserve_flat_scratch 0
		.amdhsa_float_round_mode_32 0
		.amdhsa_float_round_mode_16_64 0
		.amdhsa_float_denorm_mode_32 3
		.amdhsa_float_denorm_mode_16_64 3
		.amdhsa_dx10_clamp 1
		.amdhsa_ieee_mode 1
		.amdhsa_fp16_overflow 0
		.amdhsa_workgroup_processor_mode 1
		.amdhsa_memory_ordered 1
		.amdhsa_forward_progress 1
		.amdhsa_shared_vgpr_count 0
		.amdhsa_exception_fp_ieee_invalid_op 0
		.amdhsa_exception_fp_denorm_src 0
		.amdhsa_exception_fp_ieee_div_zero 0
		.amdhsa_exception_fp_ieee_overflow 0
		.amdhsa_exception_fp_ieee_underflow 0
		.amdhsa_exception_fp_ieee_inexact 0
		.amdhsa_exception_int_div_zero 0
	.end_amdhsa_kernel
	.section	.text._ZN2at6native12_GLOBAL__N_130CatArrayBatchedCopy_vectorizedINS1_10OpaqueTypeILj4EEEjLi4ELi64ELi64ELi16ELi4EEEvPcNS1_25CatArrInputTensorMetadataIT_T0_XT2_EXT3_EEENS1_16TensorSizeStrideIS8_Lj4EEEiS8_,"axG",@progbits,_ZN2at6native12_GLOBAL__N_130CatArrayBatchedCopy_vectorizedINS1_10OpaqueTypeILj4EEEjLi4ELi64ELi64ELi16ELi4EEEvPcNS1_25CatArrInputTensorMetadataIT_T0_XT2_EXT3_EEENS1_16TensorSizeStrideIS8_Lj4EEEiS8_,comdat
.Lfunc_end155:
	.size	_ZN2at6native12_GLOBAL__N_130CatArrayBatchedCopy_vectorizedINS1_10OpaqueTypeILj4EEEjLi4ELi64ELi64ELi16ELi4EEEvPcNS1_25CatArrInputTensorMetadataIT_T0_XT2_EXT3_EEENS1_16TensorSizeStrideIS8_Lj4EEEiS8_, .Lfunc_end155-_ZN2at6native12_GLOBAL__N_130CatArrayBatchedCopy_vectorizedINS1_10OpaqueTypeILj4EEEjLi4ELi64ELi64ELi16ELi4EEEvPcNS1_25CatArrInputTensorMetadataIT_T0_XT2_EXT3_EEENS1_16TensorSizeStrideIS8_Lj4EEEiS8_
                                        ; -- End function
	.set _ZN2at6native12_GLOBAL__N_130CatArrayBatchedCopy_vectorizedINS1_10OpaqueTypeILj4EEEjLi4ELi64ELi64ELi16ELi4EEEvPcNS1_25CatArrInputTensorMetadataIT_T0_XT2_EXT3_EEENS1_16TensorSizeStrideIS8_Lj4EEEiS8_.num_vgpr, 16
	.set _ZN2at6native12_GLOBAL__N_130CatArrayBatchedCopy_vectorizedINS1_10OpaqueTypeILj4EEEjLi4ELi64ELi64ELi16ELi4EEEvPcNS1_25CatArrInputTensorMetadataIT_T0_XT2_EXT3_EEENS1_16TensorSizeStrideIS8_Lj4EEEiS8_.num_agpr, 0
	.set _ZN2at6native12_GLOBAL__N_130CatArrayBatchedCopy_vectorizedINS1_10OpaqueTypeILj4EEEjLi4ELi64ELi64ELi16ELi4EEEvPcNS1_25CatArrInputTensorMetadataIT_T0_XT2_EXT3_EEENS1_16TensorSizeStrideIS8_Lj4EEEiS8_.numbered_sgpr, 24
	.set _ZN2at6native12_GLOBAL__N_130CatArrayBatchedCopy_vectorizedINS1_10OpaqueTypeILj4EEEjLi4ELi64ELi64ELi16ELi4EEEvPcNS1_25CatArrInputTensorMetadataIT_T0_XT2_EXT3_EEENS1_16TensorSizeStrideIS8_Lj4EEEiS8_.num_named_barrier, 0
	.set _ZN2at6native12_GLOBAL__N_130CatArrayBatchedCopy_vectorizedINS1_10OpaqueTypeILj4EEEjLi4ELi64ELi64ELi16ELi4EEEvPcNS1_25CatArrInputTensorMetadataIT_T0_XT2_EXT3_EEENS1_16TensorSizeStrideIS8_Lj4EEEiS8_.private_seg_size, 0
	.set _ZN2at6native12_GLOBAL__N_130CatArrayBatchedCopy_vectorizedINS1_10OpaqueTypeILj4EEEjLi4ELi64ELi64ELi16ELi4EEEvPcNS1_25CatArrInputTensorMetadataIT_T0_XT2_EXT3_EEENS1_16TensorSizeStrideIS8_Lj4EEEiS8_.uses_vcc, 1
	.set _ZN2at6native12_GLOBAL__N_130CatArrayBatchedCopy_vectorizedINS1_10OpaqueTypeILj4EEEjLi4ELi64ELi64ELi16ELi4EEEvPcNS1_25CatArrInputTensorMetadataIT_T0_XT2_EXT3_EEENS1_16TensorSizeStrideIS8_Lj4EEEiS8_.uses_flat_scratch, 0
	.set _ZN2at6native12_GLOBAL__N_130CatArrayBatchedCopy_vectorizedINS1_10OpaqueTypeILj4EEEjLi4ELi64ELi64ELi16ELi4EEEvPcNS1_25CatArrInputTensorMetadataIT_T0_XT2_EXT3_EEENS1_16TensorSizeStrideIS8_Lj4EEEiS8_.has_dyn_sized_stack, 0
	.set _ZN2at6native12_GLOBAL__N_130CatArrayBatchedCopy_vectorizedINS1_10OpaqueTypeILj4EEEjLi4ELi64ELi64ELi16ELi4EEEvPcNS1_25CatArrInputTensorMetadataIT_T0_XT2_EXT3_EEENS1_16TensorSizeStrideIS8_Lj4EEEiS8_.has_recursion, 0
	.set _ZN2at6native12_GLOBAL__N_130CatArrayBatchedCopy_vectorizedINS1_10OpaqueTypeILj4EEEjLi4ELi64ELi64ELi16ELi4EEEvPcNS1_25CatArrInputTensorMetadataIT_T0_XT2_EXT3_EEENS1_16TensorSizeStrideIS8_Lj4EEEiS8_.has_indirect_call, 0
	.section	.AMDGPU.csdata,"",@progbits
; Kernel info:
; codeLenInByte = 728
; TotalNumSgprs: 26
; NumVgprs: 16
; ScratchSize: 0
; MemoryBound: 0
; FloatMode: 240
; IeeeMode: 1
; LDSByteSize: 0 bytes/workgroup (compile time only)
; SGPRBlocks: 0
; VGPRBlocks: 1
; NumSGPRsForWavesPerEU: 26
; NumVGPRsForWavesPerEU: 16
; Occupancy: 16
; WaveLimiterHint : 1
; COMPUTE_PGM_RSRC2:SCRATCH_EN: 0
; COMPUTE_PGM_RSRC2:USER_SGPR: 6
; COMPUTE_PGM_RSRC2:TRAP_HANDLER: 0
; COMPUTE_PGM_RSRC2:TGID_X_EN: 1
; COMPUTE_PGM_RSRC2:TGID_Y_EN: 1
; COMPUTE_PGM_RSRC2:TGID_Z_EN: 0
; COMPUTE_PGM_RSRC2:TIDIG_COMP_CNT: 0
	.section	.text._ZN2at6native12_GLOBAL__N_135CatArrayBatchedCopy_alignedK_contigINS1_10OpaqueTypeILj4EEEjLi4ELi64ELi64ELi16EEEvPT_NS1_25CatArrInputTensorMetadataIS5_T0_XT2_EXT3_EEENS1_16TensorSizeStrideIS8_Lj4EEEiS8_,"axG",@progbits,_ZN2at6native12_GLOBAL__N_135CatArrayBatchedCopy_alignedK_contigINS1_10OpaqueTypeILj4EEEjLi4ELi64ELi64ELi16EEEvPT_NS1_25CatArrInputTensorMetadataIS5_T0_XT2_EXT3_EEENS1_16TensorSizeStrideIS8_Lj4EEEiS8_,comdat
	.globl	_ZN2at6native12_GLOBAL__N_135CatArrayBatchedCopy_alignedK_contigINS1_10OpaqueTypeILj4EEEjLi4ELi64ELi64ELi16EEEvPT_NS1_25CatArrInputTensorMetadataIS5_T0_XT2_EXT3_EEENS1_16TensorSizeStrideIS8_Lj4EEEiS8_ ; -- Begin function _ZN2at6native12_GLOBAL__N_135CatArrayBatchedCopy_alignedK_contigINS1_10OpaqueTypeILj4EEEjLi4ELi64ELi64ELi16EEEvPT_NS1_25CatArrInputTensorMetadataIS5_T0_XT2_EXT3_EEENS1_16TensorSizeStrideIS8_Lj4EEEiS8_
	.p2align	8
	.type	_ZN2at6native12_GLOBAL__N_135CatArrayBatchedCopy_alignedK_contigINS1_10OpaqueTypeILj4EEEjLi4ELi64ELi64ELi16EEEvPT_NS1_25CatArrInputTensorMetadataIS5_T0_XT2_EXT3_EEENS1_16TensorSizeStrideIS8_Lj4EEEiS8_,@function
_ZN2at6native12_GLOBAL__N_135CatArrayBatchedCopy_alignedK_contigINS1_10OpaqueTypeILj4EEEjLi4ELi64ELi64ELi16EEEvPT_NS1_25CatArrInputTensorMetadataIS5_T0_XT2_EXT3_EEENS1_16TensorSizeStrideIS8_Lj4EEEiS8_: ; @_ZN2at6native12_GLOBAL__N_135CatArrayBatchedCopy_alignedK_contigINS1_10OpaqueTypeILj4EEEjLi4ELi64ELi64ELi16EEEvPT_NS1_25CatArrInputTensorMetadataIS5_T0_XT2_EXT3_EEENS1_16TensorSizeStrideIS8_Lj4EEEiS8_
; %bb.0:
	s_mov_b32 s2, s7
	s_load_dword s7, s[4:5], 0xd7c
	s_mov_b32 s3, 0
	s_add_u32 s0, s4, 0xd70
	s_addc_u32 s1, s5, 0
	s_lshl_b64 s[2:3], s[2:3], 2
	s_waitcnt lgkmcnt(0)
	s_and_b32 s20, s7, 0xffff
	s_add_u32 s8, s4, s2
	s_addc_u32 s9, s5, s3
	s_mul_i32 s6, s6, s20
	s_load_dword s16, s[8:9], 0x408
	v_add_lshl_u32 v0, s6, v0, 2
	s_add_u32 s17, s8, 8
	s_addc_u32 s18, s9, 0
	s_mov_b32 s6, exec_lo
	s_waitcnt lgkmcnt(0)
	v_cmpx_gt_u32_e64 s16, v0
	s_cbranch_execz .LBB156_8
; %bb.1:
	s_add_u32 s22, s17, s2
	s_addc_u32 s23, s18, s3
	s_sub_u32 s2, 0, s2
	s_subb_u32 s3, 0, s3
	s_add_u32 s2, s22, s2
	s_addc_u32 s3, s23, s3
	s_clause 0x5
	s_load_dwordx2 s[6:7], s[4:5], 0x0
	s_load_dwordx8 s[8:15], s[4:5], 0xd4c
	s_load_dword s17, s[4:5], 0xd6c
	s_load_dword s19, s[2:3], 0x200
	s_load_dwordx2 s[4:5], s[22:23], 0x0
	s_load_dword s18, s[2:3], 0x300
	v_add_nc_u32_e32 v1, 4, v0
	s_waitcnt lgkmcnt(0)
	s_mul_i32 s17, s19, s17
	s_mov_b32 s19, exec_lo
	v_cmpx_ge_u32_e64 s16, v1
	s_cbranch_execz .LBB156_5
; %bb.2:
	s_load_dword s0, s[0:1], 0x0
	s_mov_b32 s25, 0
	s_waitcnt lgkmcnt(0)
	s_mul_i32 s0, s0, s20
	s_lshl_b32 s20, s0, 2
	s_cmp_eq_u32 s15, 3
	s_cselect_b32 s21, s18, s10
	s_cmp_eq_u32 s15, 2
	v_cvt_f32_u32_e32 v1, s21
	s_cselect_b32 s22, s18, s9
	s_cmp_eq_u32 s15, 1
	v_cvt_f32_u32_e32 v2, s22
	s_cselect_b32 s23, s18, s8
	v_rcp_iflag_f32_e32 v1, v1
	v_cvt_f32_u32_e32 v3, s23
	s_sub_i32 s24, 0, s21
	v_rcp_iflag_f32_e32 v2, v2
	s_sub_i32 s0, 0, s22
	s_sub_i32 s1, 0, s23
	v_rcp_iflag_f32_e32 v3, v3
	v_mul_f32_e32 v1, 0x4f7ffffe, v1
	v_mul_f32_e32 v2, 0x4f7ffffe, v2
	v_cvt_u32_f32_e32 v4, v1
	v_mul_f32_e32 v3, 0x4f7ffffe, v3
	v_cvt_u32_f32_e32 v5, v2
	v_mul_lo_u32 v1, s24, v4
	v_cvt_u32_f32_e32 v6, v3
	v_mul_lo_u32 v2, s0, v5
	v_mul_lo_u32 v3, s1, v6
	v_mul_hi_u32 v7, v4, v1
	v_mov_b32_e32 v1, 0
	v_mul_hi_u32 v8, v5, v2
	v_add_nc_u32_e32 v2, 3, v0
	v_mul_hi_u32 v9, v6, v3
	v_add_nc_u32_e32 v3, 2, v0
	v_add_nc_u32_e32 v4, v4, v7
	;; [unrolled: 1-line block ×5, first 2 shown]
.LBB156_3:                              ; =>This Inner Loop Header: Depth=1
	v_lshlrev_b64 v[8:9], 2, v[0:1]
	v_mul_hi_u32 v16, v4, v0
	v_mul_hi_u32 v24, v4, v7
	;; [unrolled: 1-line block ×4, first 2 shown]
	v_add_nc_u32_e32 v12, 1, v0
	v_add_co_u32 v8, vcc_lo, s4, v8
	v_add_co_ci_u32_e64 v9, null, s5, v9, vcc_lo
	v_add_nc_u32_e32 v13, 2, v0
	v_add_nc_u32_e32 v14, 3, v0
	v_mov_b32_e32 v15, v1
	global_load_dwordx4 v[8:11], v[8:9], off
	v_not_b32_e32 v27, v16
	v_mad_u64_u32 v[22:23], null, s24, v16, v[0:1]
	v_not_b32_e32 v28, v24
	v_mad_u64_u32 v[23:24], null, s24, v24, v[12:13]
	v_mad_u64_u32 v[24:25], null, s24, v20, v[13:14]
	;; [unrolled: 1-line block ×3, first 2 shown]
	v_mul_hi_u32 v31, v12, v4
	v_mad_u64_u32 v[26:27], null, s21, v27, v[0:1]
	v_add_nc_u32_e32 v34, 1, v16
	v_cmp_le_u32_e32 vcc_lo, s21, v22
	v_mul_hi_u32 v32, v13, v4
	v_not_b32_e32 v29, v20
	v_mul_hi_u32 v33, v14, v4
	v_not_b32_e32 v30, v18
	v_mad_u64_u32 v[27:28], null, s21, v28, v[12:13]
	v_add_nc_u32_e32 v18, 1, v31
	v_cndmask_b32_e32 v16, v16, v34, vcc_lo
	v_cmp_le_u32_e64 s2, s21, v23
	v_cndmask_b32_e32 v22, v22, v26, vcc_lo
	v_mad_u64_u32 v[28:29], null, s21, v29, v[13:14]
	v_mad_u64_u32 v[29:30], null, s21, v30, v[14:15]
	v_add_nc_u32_e32 v12, 1, v32
	v_cmp_le_u32_e64 s0, s21, v24
	v_add_nc_u32_e32 v20, 1, v33
	v_cmp_le_u32_e64 s1, s21, v25
	v_cndmask_b32_e64 v18, v31, v18, s2
	v_add_nc_u32_e32 v26, 1, v16
	v_cndmask_b32_e64 v23, v23, v27, s2
	v_cmp_le_u32_e32 vcc_lo, s21, v22
	v_cndmask_b32_e64 v12, v32, v12, s0
	v_cndmask_b32_e64 v24, v24, v28, s0
	;; [unrolled: 1-line block ×4, first 2 shown]
	v_add_nc_u32_e32 v27, 1, v18
	v_cndmask_b32_e32 v16, v16, v26, vcc_lo
	v_cmp_le_u32_e64 s1, s21, v23
	v_add_nc_u32_e32 v28, 1, v12
	v_cmp_le_u32_e32 vcc_lo, s21, v24
	v_add_nc_u32_e32 v29, 1, v20
	v_cmp_le_u32_e64 s0, s21, v25
	v_cndmask_b32_e64 v18, v18, v27, s1
	v_mul_hi_u32 v26, v16, v5
	v_cndmask_b32_e32 v25, v12, v28, vcc_lo
	v_mad_u64_u32 v[22:23], null, s24, v16, v[0:1]
	v_cndmask_b32_e64 v20, v20, v29, s0
	v_mul_hi_u32 v27, v18, v5
	v_mad_u64_u32 v[23:24], null, s24, v18, v[0:1]
	v_add_nc_u32_e32 v0, s20, v0
	v_mul_lo_u32 v29, v26, s22
	v_mad_u64_u32 v[12:13], null, s24, v25, v[13:14]
	v_mul_hi_u32 v24, v25, v5
	v_mad_u64_u32 v[13:14], null, s24, v20, v[14:15]
	v_add_nc_u32_e32 v14, 4, v0
	v_mul_lo_u32 v32, v27, s22
	v_mul_lo_u32 v31, v22, s14
	v_mad_u64_u32 v[22:23], null, s14, v23, s[14:15]
	v_cmp_lt_u32_e32 vcc_lo, s16, v14
	v_sub_nc_u32_e32 v14, v16, v29
	v_mul_lo_u32 v23, v24, s22
	v_mul_hi_u32 v28, v20, v5
	v_add_nc_u32_e32 v30, 1, v26
	v_sub_nc_u32_e32 v29, v18, v32
	v_cmp_le_u32_e64 s0, s22, v14
	v_add_nc_u32_e32 v33, 1, v27
	v_add_nc_u32_e32 v34, 1, v24
	v_mul_lo_u32 v13, v13, s14
	v_sub_nc_u32_e32 v23, v25, v23
	v_cndmask_b32_e64 v26, v26, v30, s0
	v_subrev_nc_u32_e32 v30, s22, v14
	v_cmp_le_u32_e64 s1, s22, v29
	v_mul_lo_u32 v35, v28, s22
	v_cmp_le_u32_e64 s2, s22, v23
	v_add_nc_u32_e32 v36, 1, v28
	v_cndmask_b32_e64 v14, v14, v30, s0
	v_cndmask_b32_e64 v27, v27, v33, s1
	v_subrev_nc_u32_e32 v33, s22, v29
	v_cndmask_b32_e64 v24, v24, v34, s2
	v_subrev_nc_u32_e32 v34, s22, v23
	v_sub_nc_u32_e32 v32, v20, v35
	v_add_nc_u32_e32 v30, 1, v26
	v_cndmask_b32_e64 v29, v29, v33, s1
	v_cmp_le_u32_e64 s0, s22, v14
	v_add_nc_u32_e32 v33, 1, v27
	v_cmp_le_u32_e64 s3, s22, v32
	v_subrev_nc_u32_e32 v35, s22, v32
	v_cndmask_b32_e64 v23, v23, v34, s2
	v_cndmask_b32_e64 v14, v26, v30, s0
	v_cmp_le_u32_e64 s0, s22, v29
	v_cndmask_b32_e64 v28, v28, v36, s3
	v_add_nc_u32_e32 v34, 1, v24
	v_cndmask_b32_e64 v32, v32, v35, s3
	v_mul_lo_u32 v12, v12, s14
	v_cndmask_b32_e64 v26, v27, v33, s0
	v_cmp_le_u32_e64 s0, s22, v23
	v_add_nc_u32_e32 v35, 1, v28
	v_mul_lo_u32 v27, v14, s22
	v_mov_b32_e32 v17, v1
	v_mul_lo_u32 v29, v26, s22
	v_cndmask_b32_e64 v23, v24, v34, s0
	v_cmp_le_u32_e64 s0, s22, v32
	v_mul_hi_u32 v30, v26, v6
	v_mov_b32_e32 v19, v1
	v_mov_b32_e32 v21, v1
	v_sub_nc_u32_e32 v16, v16, v27
	v_cndmask_b32_e64 v24, v28, v35, s0
	v_mul_hi_u32 v28, v14, v6
	v_mul_lo_u32 v32, v23, s22
	v_mul_hi_u32 v33, v23, v6
	v_sub_nc_u32_e32 v18, v18, v29
	v_mul_lo_u32 v29, v30, s23
	v_mul_lo_u32 v34, v24, s22
	v_mul_hi_u32 v35, v24, v6
	v_add_nc_u32_e32 v37, 1, v30
	v_mul_lo_u32 v27, v28, s23
	v_sub_nc_u32_e32 v25, v25, v32
	v_mul_lo_u32 v32, v33, s23
	v_add_nc_u32_e32 v36, 1, v28
	v_sub_nc_u32_e32 v29, v26, v29
	v_sub_nc_u32_e32 v20, v20, v34
	v_mul_lo_u32 v34, v35, s23
	v_add_nc_u32_e32 v38, 1, v33
	v_sub_nc_u32_e32 v27, v14, v27
	v_cmp_le_u32_e64 s1, s23, v29
	v_sub_nc_u32_e32 v32, v23, v32
	v_add_nc_u32_e32 v39, 1, v35
	v_mul_lo_u32 v18, v18, s13
	v_cmp_le_u32_e64 s0, s23, v27
	v_sub_nc_u32_e32 v34, v24, v34
	v_cndmask_b32_e64 v30, v30, v37, s1
	v_subrev_nc_u32_e32 v37, s23, v29
	v_cmp_le_u32_e64 s2, s23, v32
	v_cndmask_b32_e64 v28, v28, v36, s0
	v_subrev_nc_u32_e32 v36, s23, v27
	v_cmp_le_u32_e64 s3, s23, v34
	v_cndmask_b32_e64 v29, v29, v37, s1
	v_cndmask_b32_e64 v33, v33, v38, s2
	v_subrev_nc_u32_e32 v38, s23, v32
	v_cndmask_b32_e64 v27, v27, v36, s0
	v_add_nc_u32_e32 v36, 1, v28
	v_cndmask_b32_e64 v35, v35, v39, s3
	v_subrev_nc_u32_e32 v39, s23, v34
	v_add_nc_u32_e32 v37, 1, v30
	v_cmp_le_u32_e64 s0, s23, v27
	v_cndmask_b32_e64 v32, v32, v38, s2
	v_add_nc_u32_e32 v38, 1, v33
	v_cndmask_b32_e64 v34, v34, v39, s3
	v_add_nc_u32_e32 v39, 1, v35
	v_cndmask_b32_e64 v27, v28, v36, s0
	v_cmp_le_u32_e64 s0, s23, v29
	v_mul_lo_u32 v20, v20, s13
	v_mul_lo_u32 v16, v16, s13
	;; [unrolled: 1-line block ×3, first 2 shown]
	v_add_nc_u32_e32 v2, s20, v2
	v_cndmask_b32_e64 v28, v30, v37, s0
	v_cmp_le_u32_e64 s0, s23, v32
	v_mul_lo_u32 v32, v27, s23
	v_mul_lo_u32 v27, v27, s11
	v_add_nc_u32_e32 v3, s20, v3
	v_add_nc_u32_e32 v7, s20, v7
	v_cndmask_b32_e64 v29, v33, v38, s0
	v_cmp_le_u32_e64 s0, s23, v34
	v_mul_lo_u32 v33, v28, s23
	v_mul_lo_u32 v28, v28, s11
	v_sub_nc_u32_e32 v14, v14, v32
	v_mul_lo_u32 v34, v29, s23
	v_cndmask_b32_e64 v30, v35, v39, s0
	v_mul_lo_u32 v29, v29, s11
	v_add3_u32 v16, v27, v31, v16
	v_mul_lo_u32 v14, v14, s12
	v_sub_nc_u32_e32 v26, v26, v33
	v_mul_lo_u32 v35, v30, s23
	v_mul_lo_u32 v30, v30, s11
	v_add3_u32 v18, v28, v22, v18
	v_sub_nc_u32_e32 v22, v23, v34
	v_add3_u32 v12, v29, v12, v25
	s_or_b32 s25, vcc_lo, s25
	v_add3_u32 v14, v16, v14, s17
	v_sub_nc_u32_e32 v23, v24, v35
	v_add3_u32 v13, v30, v13, v20
	v_mul_lo_u32 v20, v26, s12
	v_mul_lo_u32 v22, v22, s12
	;; [unrolled: 1-line block ×3, first 2 shown]
	v_add3_u32 v16, v18, v20, s17
	v_add3_u32 v18, v12, v22, s17
	;; [unrolled: 1-line block ×3, first 2 shown]
	v_lshlrev_b64 v[12:13], 2, v[14:15]
	v_lshlrev_b64 v[14:15], 2, v[16:17]
	v_lshlrev_b64 v[16:17], 2, v[18:19]
	v_lshlrev_b64 v[18:19], 2, v[20:21]
	v_add_co_u32 v12, s0, s6, v12
	v_add_co_ci_u32_e64 v13, null, s7, v13, s0
	v_add_co_u32 v14, s0, s6, v14
	v_add_co_ci_u32_e64 v15, null, s7, v15, s0
	;; [unrolled: 2-line block ×4, first 2 shown]
	s_waitcnt vmcnt(0)
	global_store_dword v[12:13], v8, off
	global_store_dword v[14:15], v9, off
	;; [unrolled: 1-line block ×4, first 2 shown]
	s_andn2_b32 exec_lo, exec_lo, s25
	s_cbranch_execnz .LBB156_3
; %bb.4:
	s_or_b32 exec_lo, exec_lo, s25
.LBB156_5:
	s_or_b32 exec_lo, exec_lo, s19
	v_cmp_gt_u32_e32 vcc_lo, s16, v0
	s_and_b32 exec_lo, exec_lo, vcc_lo
	s_cbranch_execz .LBB156_8
; %bb.6:
	s_cmp_eq_u32 s15, 3
	s_cselect_b32 s2, s18, s10
	s_cmp_eq_u32 s15, 2
	v_cvt_f32_u32_e32 v1, s2
	s_cselect_b32 s3, s18, s9
	s_cmp_eq_u32 s15, 1
	v_cvt_f32_u32_e32 v2, s3
	s_cselect_b32 s8, s18, s8
	v_rcp_iflag_f32_e32 v1, v1
	v_cvt_f32_u32_e32 v3, s8
	s_sub_i32 s9, 0, s2
	v_rcp_iflag_f32_e32 v2, v2
	s_sub_i32 s0, 0, s3
	s_sub_i32 s1, 0, s8
	v_rcp_iflag_f32_e32 v3, v3
	v_mul_f32_e32 v1, 0x4f7ffffe, v1
	v_mul_f32_e32 v2, 0x4f7ffffe, v2
	v_cvt_u32_f32_e32 v4, v1
	v_mul_f32_e32 v3, 0x4f7ffffe, v3
	v_cvt_u32_f32_e32 v8, v2
	v_mov_b32_e32 v2, 0
	v_mul_lo_u32 v1, s9, v4
	v_cvt_u32_f32_e32 v3, v3
	v_mul_lo_u32 v5, s0, v8
	v_mul_lo_u32 v6, s1, v3
	v_mul_hi_u32 v7, v4, v1
	v_mov_b32_e32 v1, v2
	v_mul_hi_u32 v9, v8, v5
	v_mul_hi_u32 v10, v3, v6
	v_lshlrev_b64 v[5:6], 2, v[0:1]
	v_add_nc_u32_e32 v7, v4, v7
	v_add_nc_u32_e32 v8, v8, v9
	v_add_co_u32 v5, vcc_lo, s4, v5
	v_add_nc_u32_e32 v9, v3, v10
	v_mad_u64_u32 v[3:4], null, v0, v7, 0
	v_add_co_ci_u32_e64 v6, null, s5, v6, vcc_lo
	s_mov_b32 s4, 0
.LBB156_7:                              ; =>This Inner Loop Header: Depth=1
	global_load_dword v12, v[5:6], off
	v_mul_lo_u32 v1, s2, v4
	v_not_b32_e32 v10, v4
	v_add_nc_u32_e32 v13, 1, v4
	v_add_co_u32 v3, vcc_lo, v3, v7
	v_mad_u64_u32 v[10:11], null, s2, v10, v[0:1]
	v_sub_nc_u32_e32 v1, v0, v1
	v_cmp_le_u32_e64 s0, s2, v1
	v_cndmask_b32_e64 v11, v4, v13, s0
	v_cndmask_b32_e64 v1, v1, v10, s0
	v_add_co_ci_u32_e64 v4, null, 0, v4, vcc_lo
	v_add_nc_u32_e32 v10, 1, v11
	v_cmp_le_u32_e64 s0, s2, v1
	v_cndmask_b32_e64 v1, v11, v10, s0
	v_mul_hi_u32 v10, v1, v8
	v_mul_lo_u32 v11, v10, s3
	v_add_nc_u32_e32 v13, 1, v10
	v_sub_nc_u32_e32 v11, v1, v11
	v_subrev_nc_u32_e32 v14, s3, v11
	v_cmp_le_u32_e64 s0, s3, v11
	v_cndmask_b32_e64 v10, v10, v13, s0
	v_cndmask_b32_e64 v11, v11, v14, s0
	v_add_nc_u32_e32 v13, 1, v10
	v_cmp_le_u32_e64 s0, s3, v11
	v_cndmask_b32_e64 v13, v10, v13, s0
	v_mad_u64_u32 v[10:11], null, s9, v1, v[0:1]
	v_add_nc_u32_e32 v0, 1, v0
	v_mul_hi_u32 v14, v13, v9
	v_mul_lo_u32 v15, v13, s3
	v_mul_lo_u32 v10, v10, s14
	;; [unrolled: 1-line block ×3, first 2 shown]
	v_add_nc_u32_e32 v16, 1, v14
	v_sub_nc_u32_e32 v1, v1, v15
	v_mul_lo_u32 v1, v1, s13
	v_sub_nc_u32_e32 v11, v13, v11
	v_subrev_nc_u32_e32 v17, s8, v11
	v_cmp_le_u32_e64 s0, s8, v11
	v_cndmask_b32_e64 v14, v14, v16, s0
	v_cndmask_b32_e64 v11, v11, v17, s0
	v_add_nc_u32_e32 v16, 1, v14
	v_cmp_le_u32_e64 s0, s8, v11
	v_cndmask_b32_e64 v11, v14, v16, s0
	v_add_co_u32 v5, s0, v5, 4
	v_add_co_ci_u32_e64 v6, null, 0, v6, s0
	v_mul_lo_u32 v14, v11, s8
	v_mul_lo_u32 v11, v11, s11
	v_cmp_le_u32_e64 s0, s16, v0
	s_or_b32 s4, s0, s4
	v_sub_nc_u32_e32 v13, v13, v14
	v_add3_u32 v1, v11, v10, v1
	v_mul_lo_u32 v13, v13, s12
	v_add3_u32 v1, v1, v13, s17
	v_lshlrev_b64 v[10:11], 2, v[1:2]
	v_add_co_u32 v10, s1, s6, v10
	v_add_co_ci_u32_e64 v11, null, s7, v11, s1
	s_waitcnt vmcnt(0)
	global_store_dword v[10:11], v12, off
	s_andn2_b32 exec_lo, exec_lo, s4
	s_cbranch_execnz .LBB156_7
.LBB156_8:
	s_endpgm
	.section	.rodata,"a",@progbits
	.p2align	6, 0x0
	.amdhsa_kernel _ZN2at6native12_GLOBAL__N_135CatArrayBatchedCopy_alignedK_contigINS1_10OpaqueTypeILj4EEEjLi4ELi64ELi64ELi16EEEvPT_NS1_25CatArrInputTensorMetadataIS5_T0_XT2_EXT3_EEENS1_16TensorSizeStrideIS8_Lj4EEEiS8_
		.amdhsa_group_segment_fixed_size 0
		.amdhsa_private_segment_fixed_size 0
		.amdhsa_kernarg_size 3696
		.amdhsa_user_sgpr_count 6
		.amdhsa_user_sgpr_private_segment_buffer 1
		.amdhsa_user_sgpr_dispatch_ptr 0
		.amdhsa_user_sgpr_queue_ptr 0
		.amdhsa_user_sgpr_kernarg_segment_ptr 1
		.amdhsa_user_sgpr_dispatch_id 0
		.amdhsa_user_sgpr_flat_scratch_init 0
		.amdhsa_user_sgpr_private_segment_size 0
		.amdhsa_wavefront_size32 1
		.amdhsa_uses_dynamic_stack 0
		.amdhsa_system_sgpr_private_segment_wavefront_offset 0
		.amdhsa_system_sgpr_workgroup_id_x 1
		.amdhsa_system_sgpr_workgroup_id_y 1
		.amdhsa_system_sgpr_workgroup_id_z 0
		.amdhsa_system_sgpr_workgroup_info 0
		.amdhsa_system_vgpr_workitem_id 0
		.amdhsa_next_free_vgpr 40
		.amdhsa_next_free_sgpr 26
		.amdhsa_reserve_vcc 1
		.amdhsa_reserve_flat_scratch 0
		.amdhsa_float_round_mode_32 0
		.amdhsa_float_round_mode_16_64 0
		.amdhsa_float_denorm_mode_32 3
		.amdhsa_float_denorm_mode_16_64 3
		.amdhsa_dx10_clamp 1
		.amdhsa_ieee_mode 1
		.amdhsa_fp16_overflow 0
		.amdhsa_workgroup_processor_mode 1
		.amdhsa_memory_ordered 1
		.amdhsa_forward_progress 1
		.amdhsa_shared_vgpr_count 0
		.amdhsa_exception_fp_ieee_invalid_op 0
		.amdhsa_exception_fp_denorm_src 0
		.amdhsa_exception_fp_ieee_div_zero 0
		.amdhsa_exception_fp_ieee_overflow 0
		.amdhsa_exception_fp_ieee_underflow 0
		.amdhsa_exception_fp_ieee_inexact 0
		.amdhsa_exception_int_div_zero 0
	.end_amdhsa_kernel
	.section	.text._ZN2at6native12_GLOBAL__N_135CatArrayBatchedCopy_alignedK_contigINS1_10OpaqueTypeILj4EEEjLi4ELi64ELi64ELi16EEEvPT_NS1_25CatArrInputTensorMetadataIS5_T0_XT2_EXT3_EEENS1_16TensorSizeStrideIS8_Lj4EEEiS8_,"axG",@progbits,_ZN2at6native12_GLOBAL__N_135CatArrayBatchedCopy_alignedK_contigINS1_10OpaqueTypeILj4EEEjLi4ELi64ELi64ELi16EEEvPT_NS1_25CatArrInputTensorMetadataIS5_T0_XT2_EXT3_EEENS1_16TensorSizeStrideIS8_Lj4EEEiS8_,comdat
.Lfunc_end156:
	.size	_ZN2at6native12_GLOBAL__N_135CatArrayBatchedCopy_alignedK_contigINS1_10OpaqueTypeILj4EEEjLi4ELi64ELi64ELi16EEEvPT_NS1_25CatArrInputTensorMetadataIS5_T0_XT2_EXT3_EEENS1_16TensorSizeStrideIS8_Lj4EEEiS8_, .Lfunc_end156-_ZN2at6native12_GLOBAL__N_135CatArrayBatchedCopy_alignedK_contigINS1_10OpaqueTypeILj4EEEjLi4ELi64ELi64ELi16EEEvPT_NS1_25CatArrInputTensorMetadataIS5_T0_XT2_EXT3_EEENS1_16TensorSizeStrideIS8_Lj4EEEiS8_
                                        ; -- End function
	.set _ZN2at6native12_GLOBAL__N_135CatArrayBatchedCopy_alignedK_contigINS1_10OpaqueTypeILj4EEEjLi4ELi64ELi64ELi16EEEvPT_NS1_25CatArrInputTensorMetadataIS5_T0_XT2_EXT3_EEENS1_16TensorSizeStrideIS8_Lj4EEEiS8_.num_vgpr, 40
	.set _ZN2at6native12_GLOBAL__N_135CatArrayBatchedCopy_alignedK_contigINS1_10OpaqueTypeILj4EEEjLi4ELi64ELi64ELi16EEEvPT_NS1_25CatArrInputTensorMetadataIS5_T0_XT2_EXT3_EEENS1_16TensorSizeStrideIS8_Lj4EEEiS8_.num_agpr, 0
	.set _ZN2at6native12_GLOBAL__N_135CatArrayBatchedCopy_alignedK_contigINS1_10OpaqueTypeILj4EEEjLi4ELi64ELi64ELi16EEEvPT_NS1_25CatArrInputTensorMetadataIS5_T0_XT2_EXT3_EEENS1_16TensorSizeStrideIS8_Lj4EEEiS8_.numbered_sgpr, 26
	.set _ZN2at6native12_GLOBAL__N_135CatArrayBatchedCopy_alignedK_contigINS1_10OpaqueTypeILj4EEEjLi4ELi64ELi64ELi16EEEvPT_NS1_25CatArrInputTensorMetadataIS5_T0_XT2_EXT3_EEENS1_16TensorSizeStrideIS8_Lj4EEEiS8_.num_named_barrier, 0
	.set _ZN2at6native12_GLOBAL__N_135CatArrayBatchedCopy_alignedK_contigINS1_10OpaqueTypeILj4EEEjLi4ELi64ELi64ELi16EEEvPT_NS1_25CatArrInputTensorMetadataIS5_T0_XT2_EXT3_EEENS1_16TensorSizeStrideIS8_Lj4EEEiS8_.private_seg_size, 0
	.set _ZN2at6native12_GLOBAL__N_135CatArrayBatchedCopy_alignedK_contigINS1_10OpaqueTypeILj4EEEjLi4ELi64ELi64ELi16EEEvPT_NS1_25CatArrInputTensorMetadataIS5_T0_XT2_EXT3_EEENS1_16TensorSizeStrideIS8_Lj4EEEiS8_.uses_vcc, 1
	.set _ZN2at6native12_GLOBAL__N_135CatArrayBatchedCopy_alignedK_contigINS1_10OpaqueTypeILj4EEEjLi4ELi64ELi64ELi16EEEvPT_NS1_25CatArrInputTensorMetadataIS5_T0_XT2_EXT3_EEENS1_16TensorSizeStrideIS8_Lj4EEEiS8_.uses_flat_scratch, 0
	.set _ZN2at6native12_GLOBAL__N_135CatArrayBatchedCopy_alignedK_contigINS1_10OpaqueTypeILj4EEEjLi4ELi64ELi64ELi16EEEvPT_NS1_25CatArrInputTensorMetadataIS5_T0_XT2_EXT3_EEENS1_16TensorSizeStrideIS8_Lj4EEEiS8_.has_dyn_sized_stack, 0
	.set _ZN2at6native12_GLOBAL__N_135CatArrayBatchedCopy_alignedK_contigINS1_10OpaqueTypeILj4EEEjLi4ELi64ELi64ELi16EEEvPT_NS1_25CatArrInputTensorMetadataIS5_T0_XT2_EXT3_EEENS1_16TensorSizeStrideIS8_Lj4EEEiS8_.has_recursion, 0
	.set _ZN2at6native12_GLOBAL__N_135CatArrayBatchedCopy_alignedK_contigINS1_10OpaqueTypeILj4EEEjLi4ELi64ELi64ELi16EEEvPT_NS1_25CatArrInputTensorMetadataIS5_T0_XT2_EXT3_EEENS1_16TensorSizeStrideIS8_Lj4EEEiS8_.has_indirect_call, 0
	.section	.AMDGPU.csdata,"",@progbits
; Kernel info:
; codeLenInByte = 2444
; TotalNumSgprs: 28
; NumVgprs: 40
; ScratchSize: 0
; MemoryBound: 0
; FloatMode: 240
; IeeeMode: 1
; LDSByteSize: 0 bytes/workgroup (compile time only)
; SGPRBlocks: 0
; VGPRBlocks: 4
; NumSGPRsForWavesPerEU: 28
; NumVGPRsForWavesPerEU: 40
; Occupancy: 16
; WaveLimiterHint : 1
; COMPUTE_PGM_RSRC2:SCRATCH_EN: 0
; COMPUTE_PGM_RSRC2:USER_SGPR: 6
; COMPUTE_PGM_RSRC2:TRAP_HANDLER: 0
; COMPUTE_PGM_RSRC2:TGID_X_EN: 1
; COMPUTE_PGM_RSRC2:TGID_Y_EN: 1
; COMPUTE_PGM_RSRC2:TGID_Z_EN: 0
; COMPUTE_PGM_RSRC2:TIDIG_COMP_CNT: 0
	.section	.text._ZN2at6native12_GLOBAL__N_135CatArrayBatchedCopy_alignedK_contigINS1_10OpaqueTypeILj4EEEjLi4ELi64ELi64ELi8EEEvPT_NS1_25CatArrInputTensorMetadataIS5_T0_XT2_EXT3_EEENS1_16TensorSizeStrideIS8_Lj4EEEiS8_,"axG",@progbits,_ZN2at6native12_GLOBAL__N_135CatArrayBatchedCopy_alignedK_contigINS1_10OpaqueTypeILj4EEEjLi4ELi64ELi64ELi8EEEvPT_NS1_25CatArrInputTensorMetadataIS5_T0_XT2_EXT3_EEENS1_16TensorSizeStrideIS8_Lj4EEEiS8_,comdat
	.globl	_ZN2at6native12_GLOBAL__N_135CatArrayBatchedCopy_alignedK_contigINS1_10OpaqueTypeILj4EEEjLi4ELi64ELi64ELi8EEEvPT_NS1_25CatArrInputTensorMetadataIS5_T0_XT2_EXT3_EEENS1_16TensorSizeStrideIS8_Lj4EEEiS8_ ; -- Begin function _ZN2at6native12_GLOBAL__N_135CatArrayBatchedCopy_alignedK_contigINS1_10OpaqueTypeILj4EEEjLi4ELi64ELi64ELi8EEEvPT_NS1_25CatArrInputTensorMetadataIS5_T0_XT2_EXT3_EEENS1_16TensorSizeStrideIS8_Lj4EEEiS8_
	.p2align	8
	.type	_ZN2at6native12_GLOBAL__N_135CatArrayBatchedCopy_alignedK_contigINS1_10OpaqueTypeILj4EEEjLi4ELi64ELi64ELi8EEEvPT_NS1_25CatArrInputTensorMetadataIS5_T0_XT2_EXT3_EEENS1_16TensorSizeStrideIS8_Lj4EEEiS8_,@function
_ZN2at6native12_GLOBAL__N_135CatArrayBatchedCopy_alignedK_contigINS1_10OpaqueTypeILj4EEEjLi4ELi64ELi64ELi8EEEvPT_NS1_25CatArrInputTensorMetadataIS5_T0_XT2_EXT3_EEENS1_16TensorSizeStrideIS8_Lj4EEEiS8_: ; @_ZN2at6native12_GLOBAL__N_135CatArrayBatchedCopy_alignedK_contigINS1_10OpaqueTypeILj4EEEjLi4ELi64ELi64ELi8EEEvPT_NS1_25CatArrInputTensorMetadataIS5_T0_XT2_EXT3_EEENS1_16TensorSizeStrideIS8_Lj4EEEiS8_
; %bb.0:
	s_mov_b32 s2, s7
	s_load_dword s7, s[4:5], 0xd7c
	s_mov_b32 s3, 0
	s_add_u32 s0, s4, 0xd70
	s_addc_u32 s1, s5, 0
	s_lshl_b64 s[16:17], s[2:3], 2
	s_waitcnt lgkmcnt(0)
	s_and_b32 s18, s7, 0xffff
	s_add_u32 s2, s4, s16
	s_addc_u32 s3, s5, s17
	s_mul_i32 s6, s6, s18
	s_load_dword s7, s[2:3], 0x408
	v_add_lshl_u32 v0, s6, v0, 1
	s_add_u32 s6, s2, 8
	s_addc_u32 s19, s3, 0
	s_mov_b32 s2, exec_lo
	s_waitcnt lgkmcnt(0)
	v_cmpx_gt_u32_e64 s7, v0
	s_cbranch_execz .LBB157_8
; %bb.1:
	s_add_u32 s20, s6, s16
	s_addc_u32 s21, s19, s17
	s_sub_u32 s6, 0, s16
	s_subb_u32 s17, 0, s17
	s_add_u32 s16, s20, s6
	s_addc_u32 s17, s21, s17
	s_clause 0x5
	s_load_dwordx2 s[2:3], s[4:5], 0x0
	s_load_dwordx8 s[8:15], s[4:5], 0xd4c
	s_load_dword s6, s[4:5], 0xd6c
	s_load_dword s19, s[16:17], 0x200
	s_load_dwordx2 s[4:5], s[20:21], 0x0
	s_load_dword s16, s[16:17], 0x300
	v_add_nc_u32_e32 v1, 2, v0
	s_mov_b32 s17, exec_lo
	s_waitcnt lgkmcnt(0)
	s_mul_i32 s6, s19, s6
	v_cmpx_ge_u32_e64 s7, v1
	s_cbranch_execz .LBB157_5
; %bb.2:
	s_load_dword s0, s[0:1], 0x0
	s_mov_b32 s23, 0
	s_waitcnt lgkmcnt(0)
	s_mul_i32 s0, s0, s18
	s_lshl_b32 s18, s0, 1
	s_cmp_eq_u32 s15, 3
	s_cselect_b32 s19, s16, s10
	s_cmp_eq_u32 s15, 2
	v_cvt_f32_u32_e32 v1, s19
	s_cselect_b32 s20, s16, s9
	s_cmp_eq_u32 s15, 1
	v_cvt_f32_u32_e32 v2, s20
	s_cselect_b32 s21, s16, s8
	v_rcp_iflag_f32_e32 v1, v1
	v_cvt_f32_u32_e32 v3, s21
	s_sub_i32 s22, 0, s19
	v_rcp_iflag_f32_e32 v2, v2
	s_sub_i32 s0, 0, s20
	s_sub_i32 s1, 0, s21
	v_rcp_iflag_f32_e32 v3, v3
	v_mul_f32_e32 v1, 0x4f7ffffe, v1
	v_mul_f32_e32 v2, 0x4f7ffffe, v2
	v_cvt_u32_f32_e32 v4, v1
	v_mul_f32_e32 v3, 0x4f7ffffe, v3
	v_cvt_u32_f32_e32 v5, v2
	v_mul_lo_u32 v1, s22, v4
	v_cvt_u32_f32_e32 v6, v3
	v_mul_lo_u32 v2, s0, v5
	v_mul_lo_u32 v3, s1, v6
	v_mul_hi_u32 v7, v4, v1
	v_mov_b32_e32 v1, 0
	v_mul_hi_u32 v8, v5, v2
	v_mul_hi_u32 v9, v6, v3
	v_add_nc_u32_e32 v2, v4, v7
	v_add_nc_u32_e32 v3, v5, v8
	;; [unrolled: 1-line block ×4, first 2 shown]
.LBB157_3:                              ; =>This Inner Loop Header: Depth=1
	v_lshlrev_b64 v[6:7], 2, v[0:1]
	v_mul_hi_u32 v10, v2, v0
	v_mul_hi_u32 v14, v2, v5
	v_add_nc_u32_e32 v8, 1, v0
	v_mov_b32_e32 v9, v1
	v_mov_b32_e32 v11, v1
	v_add_co_u32 v6, vcc_lo, s4, v6
	v_add_co_ci_u32_e64 v7, null, s5, v7, vcc_lo
	v_not_b32_e32 v15, v10
	v_mad_u64_u32 v[12:13], null, s22, v10, v[0:1]
	global_load_dwordx2 v[6:7], v[6:7], off
	v_not_b32_e32 v16, v14
	v_mad_u64_u32 v[13:14], null, s22, v14, v[8:9]
	v_mul_hi_u32 v17, v8, v2
	v_mad_u64_u32 v[14:15], null, s19, v15, v[0:1]
	v_add_nc_u32_e32 v18, 1, v10
	v_cmp_le_u32_e32 vcc_lo, s19, v12
	v_mad_u64_u32 v[15:16], null, s19, v16, v[8:9]
	v_cmp_le_u32_e64 s0, s19, v13
	v_add_nc_u32_e32 v19, 1, v17
	v_cndmask_b32_e32 v8, v10, v18, vcc_lo
	v_cndmask_b32_e32 v12, v12, v14, vcc_lo
	v_add_nc_u32_e32 v5, s18, v5
	v_cndmask_b32_e64 v10, v17, v19, s0
	v_add_nc_u32_e32 v14, 1, v8
	v_cndmask_b32_e64 v13, v13, v15, s0
	v_cmp_le_u32_e32 vcc_lo, s19, v12
	v_add_nc_u32_e32 v15, 1, v10
	v_cndmask_b32_e32 v8, v8, v14, vcc_lo
	v_cmp_le_u32_e32 vcc_lo, s19, v13
	v_mad_u64_u32 v[12:13], null, s22, v8, v[0:1]
	v_cndmask_b32_e32 v10, v10, v15, vcc_lo
	v_mul_hi_u32 v15, v8, v3
	v_mad_u64_u32 v[13:14], null, s22, v10, v[0:1]
	v_mul_hi_u32 v14, v10, v3
	v_add_nc_u32_e32 v0, s18, v0
	v_mul_lo_u32 v17, v15, s20
	v_mul_lo_u32 v19, v12, s14
	v_add_nc_u32_e32 v18, 1, v15
	v_mad_u64_u32 v[12:13], null, s14, v13, s[14:15]
	v_mul_lo_u32 v20, v14, s20
	v_add_nc_u32_e32 v16, 2, v0
	v_sub_nc_u32_e32 v13, v8, v17
	v_add_nc_u32_e32 v21, 1, v14
	v_cmp_lt_u32_e32 vcc_lo, s7, v16
	v_subrev_nc_u32_e32 v17, s20, v13
	v_sub_nc_u32_e32 v16, v10, v20
	v_cmp_le_u32_e64 s0, s20, v13
	s_or_b32 s23, vcc_lo, s23
	v_cmp_le_u32_e64 s1, s20, v16
	v_cndmask_b32_e64 v15, v15, v18, s0
	v_subrev_nc_u32_e32 v18, s20, v16
	v_cndmask_b32_e64 v13, v13, v17, s0
	v_cndmask_b32_e64 v14, v14, v21, s1
	v_add_nc_u32_e32 v17, 1, v15
	v_cndmask_b32_e64 v16, v16, v18, s1
	v_cmp_le_u32_e64 s0, s20, v13
	v_add_nc_u32_e32 v18, 1, v14
	v_cndmask_b32_e64 v13, v15, v17, s0
	v_cmp_le_u32_e64 s0, s20, v16
	v_mul_lo_u32 v15, v13, s20
	v_cndmask_b32_e64 v14, v14, v18, s0
	v_mul_hi_u32 v16, v13, v4
	v_mul_lo_u32 v17, v14, s20
	v_mul_hi_u32 v18, v14, v4
	v_sub_nc_u32_e32 v8, v8, v15
	v_mul_lo_u32 v15, v16, s21
	v_add_nc_u32_e32 v20, 1, v16
	v_mul_lo_u32 v8, v8, s13
	v_sub_nc_u32_e32 v10, v10, v17
	v_mul_lo_u32 v17, v18, s21
	v_add_nc_u32_e32 v21, 1, v18
	v_sub_nc_u32_e32 v15, v13, v15
	v_mul_lo_u32 v10, v10, s13
	v_sub_nc_u32_e32 v17, v14, v17
	v_subrev_nc_u32_e32 v22, s21, v15
	v_cmp_le_u32_e64 s0, s21, v15
	v_cmp_le_u32_e64 s1, s21, v17
	v_cndmask_b32_e64 v16, v16, v20, s0
	v_subrev_nc_u32_e32 v20, s21, v17
	v_cndmask_b32_e64 v15, v15, v22, s0
	v_cndmask_b32_e64 v18, v18, v21, s1
	v_add_nc_u32_e32 v21, 1, v16
	v_cndmask_b32_e64 v17, v17, v20, s1
	v_cmp_le_u32_e64 s0, s21, v15
	v_add_nc_u32_e32 v20, 1, v18
	v_cndmask_b32_e64 v15, v16, v21, s0
	v_cmp_le_u32_e64 s0, s21, v17
	v_mul_lo_u32 v17, v15, s21
	v_cndmask_b32_e64 v16, v18, v20, s0
	v_mul_lo_u32 v15, v15, s11
	v_mul_lo_u32 v18, v16, s21
	;; [unrolled: 1-line block ×3, first 2 shown]
	v_sub_nc_u32_e32 v13, v13, v17
	v_add3_u32 v8, v15, v19, v8
	v_mul_lo_u32 v13, v13, s12
	v_sub_nc_u32_e32 v14, v14, v18
	v_add3_u32 v10, v16, v12, v10
	v_mul_lo_u32 v14, v14, s12
	v_add3_u32 v8, v8, v13, s6
	v_lshlrev_b64 v[8:9], 2, v[8:9]
	v_add3_u32 v10, v10, v14, s6
	v_lshlrev_b64 v[10:11], 2, v[10:11]
	v_add_co_u32 v8, s0, s2, v8
	v_add_co_ci_u32_e64 v9, null, s3, v9, s0
	v_add_co_u32 v10, s0, s2, v10
	v_add_co_ci_u32_e64 v11, null, s3, v11, s0
	s_waitcnt vmcnt(0)
	global_store_dword v[8:9], v6, off
	global_store_dword v[10:11], v7, off
	s_andn2_b32 exec_lo, exec_lo, s23
	s_cbranch_execnz .LBB157_3
; %bb.4:
	s_or_b32 exec_lo, exec_lo, s23
.LBB157_5:
	s_or_b32 exec_lo, exec_lo, s17
	v_cmp_gt_u32_e32 vcc_lo, s7, v0
	s_and_b32 exec_lo, exec_lo, vcc_lo
	s_cbranch_execz .LBB157_8
; %bb.6:
	s_cmp_eq_u32 s15, 3
	s_cselect_b32 s10, s16, s10
	s_cmp_eq_u32 s15, 2
	v_cvt_f32_u32_e32 v1, s10
	s_cselect_b32 s9, s16, s9
	s_cmp_eq_u32 s15, 1
	v_cvt_f32_u32_e32 v2, s9
	s_cselect_b32 s8, s16, s8
	v_rcp_iflag_f32_e32 v1, v1
	v_cvt_f32_u32_e32 v3, s8
	s_sub_i32 s15, 0, s10
	v_rcp_iflag_f32_e32 v2, v2
	s_sub_i32 s0, 0, s9
	s_sub_i32 s1, 0, s8
	v_rcp_iflag_f32_e32 v3, v3
	v_mul_f32_e32 v1, 0x4f7ffffe, v1
	v_mul_f32_e32 v2, 0x4f7ffffe, v2
	v_cvt_u32_f32_e32 v4, v1
	v_mul_f32_e32 v3, 0x4f7ffffe, v3
	v_cvt_u32_f32_e32 v8, v2
	v_mov_b32_e32 v2, 0
	v_mul_lo_u32 v1, s15, v4
	v_cvt_u32_f32_e32 v3, v3
	v_mul_lo_u32 v5, s0, v8
	v_mul_lo_u32 v6, s1, v3
	v_mul_hi_u32 v7, v4, v1
	v_mov_b32_e32 v1, v2
	v_mul_hi_u32 v9, v8, v5
	v_mul_hi_u32 v10, v3, v6
	v_lshlrev_b64 v[5:6], 2, v[0:1]
	v_add_nc_u32_e32 v7, v4, v7
	v_add_nc_u32_e32 v8, v8, v9
	v_add_co_u32 v5, vcc_lo, s4, v5
	v_add_nc_u32_e32 v9, v3, v10
	v_mad_u64_u32 v[3:4], null, v0, v7, 0
	v_add_co_ci_u32_e64 v6, null, s5, v6, vcc_lo
	s_mov_b32 s4, 0
.LBB157_7:                              ; =>This Inner Loop Header: Depth=1
	global_load_dword v12, v[5:6], off
	v_mul_lo_u32 v1, s10, v4
	v_not_b32_e32 v10, v4
	v_add_nc_u32_e32 v13, 1, v4
	v_add_co_u32 v3, vcc_lo, v3, v7
	v_mad_u64_u32 v[10:11], null, s10, v10, v[0:1]
	v_sub_nc_u32_e32 v1, v0, v1
	v_cmp_le_u32_e64 s0, s10, v1
	v_cndmask_b32_e64 v11, v4, v13, s0
	v_cndmask_b32_e64 v1, v1, v10, s0
	v_add_co_ci_u32_e64 v4, null, 0, v4, vcc_lo
	v_add_nc_u32_e32 v10, 1, v11
	v_cmp_le_u32_e64 s0, s10, v1
	v_cndmask_b32_e64 v1, v11, v10, s0
	v_mul_hi_u32 v10, v1, v8
	v_mul_lo_u32 v11, v10, s9
	v_add_nc_u32_e32 v13, 1, v10
	v_sub_nc_u32_e32 v11, v1, v11
	v_subrev_nc_u32_e32 v14, s9, v11
	v_cmp_le_u32_e64 s0, s9, v11
	v_cndmask_b32_e64 v10, v10, v13, s0
	v_cndmask_b32_e64 v11, v11, v14, s0
	v_add_nc_u32_e32 v13, 1, v10
	v_cmp_le_u32_e64 s0, s9, v11
	v_cndmask_b32_e64 v13, v10, v13, s0
	v_mad_u64_u32 v[10:11], null, s15, v1, v[0:1]
	v_add_nc_u32_e32 v0, 1, v0
	v_mul_hi_u32 v14, v13, v9
	v_mul_lo_u32 v15, v13, s9
	v_mul_lo_u32 v10, v10, s14
	;; [unrolled: 1-line block ×3, first 2 shown]
	v_add_nc_u32_e32 v16, 1, v14
	v_sub_nc_u32_e32 v1, v1, v15
	v_mul_lo_u32 v1, v1, s13
	v_sub_nc_u32_e32 v11, v13, v11
	v_subrev_nc_u32_e32 v17, s8, v11
	v_cmp_le_u32_e64 s0, s8, v11
	v_cndmask_b32_e64 v14, v14, v16, s0
	v_cndmask_b32_e64 v11, v11, v17, s0
	v_add_nc_u32_e32 v16, 1, v14
	v_cmp_le_u32_e64 s0, s8, v11
	v_cndmask_b32_e64 v11, v14, v16, s0
	v_add_co_u32 v5, s0, v5, 4
	v_add_co_ci_u32_e64 v6, null, 0, v6, s0
	v_mul_lo_u32 v14, v11, s8
	v_mul_lo_u32 v11, v11, s11
	v_cmp_le_u32_e64 s0, s7, v0
	s_or_b32 s4, s0, s4
	v_sub_nc_u32_e32 v13, v13, v14
	v_add3_u32 v1, v11, v10, v1
	v_mul_lo_u32 v13, v13, s12
	v_add3_u32 v1, v1, v13, s6
	v_lshlrev_b64 v[10:11], 2, v[1:2]
	v_add_co_u32 v10, s1, s2, v10
	v_add_co_ci_u32_e64 v11, null, s3, v11, s1
	s_waitcnt vmcnt(0)
	global_store_dword v[10:11], v12, off
	s_andn2_b32 exec_lo, exec_lo, s4
	s_cbranch_execnz .LBB157_7
.LBB157_8:
	s_endpgm
	.section	.rodata,"a",@progbits
	.p2align	6, 0x0
	.amdhsa_kernel _ZN2at6native12_GLOBAL__N_135CatArrayBatchedCopy_alignedK_contigINS1_10OpaqueTypeILj4EEEjLi4ELi64ELi64ELi8EEEvPT_NS1_25CatArrInputTensorMetadataIS5_T0_XT2_EXT3_EEENS1_16TensorSizeStrideIS8_Lj4EEEiS8_
		.amdhsa_group_segment_fixed_size 0
		.amdhsa_private_segment_fixed_size 0
		.amdhsa_kernarg_size 3696
		.amdhsa_user_sgpr_count 6
		.amdhsa_user_sgpr_private_segment_buffer 1
		.amdhsa_user_sgpr_dispatch_ptr 0
		.amdhsa_user_sgpr_queue_ptr 0
		.amdhsa_user_sgpr_kernarg_segment_ptr 1
		.amdhsa_user_sgpr_dispatch_id 0
		.amdhsa_user_sgpr_flat_scratch_init 0
		.amdhsa_user_sgpr_private_segment_size 0
		.amdhsa_wavefront_size32 1
		.amdhsa_uses_dynamic_stack 0
		.amdhsa_system_sgpr_private_segment_wavefront_offset 0
		.amdhsa_system_sgpr_workgroup_id_x 1
		.amdhsa_system_sgpr_workgroup_id_y 1
		.amdhsa_system_sgpr_workgroup_id_z 0
		.amdhsa_system_sgpr_workgroup_info 0
		.amdhsa_system_vgpr_workitem_id 0
		.amdhsa_next_free_vgpr 23
		.amdhsa_next_free_sgpr 24
		.amdhsa_reserve_vcc 1
		.amdhsa_reserve_flat_scratch 0
		.amdhsa_float_round_mode_32 0
		.amdhsa_float_round_mode_16_64 0
		.amdhsa_float_denorm_mode_32 3
		.amdhsa_float_denorm_mode_16_64 3
		.amdhsa_dx10_clamp 1
		.amdhsa_ieee_mode 1
		.amdhsa_fp16_overflow 0
		.amdhsa_workgroup_processor_mode 1
		.amdhsa_memory_ordered 1
		.amdhsa_forward_progress 1
		.amdhsa_shared_vgpr_count 0
		.amdhsa_exception_fp_ieee_invalid_op 0
		.amdhsa_exception_fp_denorm_src 0
		.amdhsa_exception_fp_ieee_div_zero 0
		.amdhsa_exception_fp_ieee_overflow 0
		.amdhsa_exception_fp_ieee_underflow 0
		.amdhsa_exception_fp_ieee_inexact 0
		.amdhsa_exception_int_div_zero 0
	.end_amdhsa_kernel
	.section	.text._ZN2at6native12_GLOBAL__N_135CatArrayBatchedCopy_alignedK_contigINS1_10OpaqueTypeILj4EEEjLi4ELi64ELi64ELi8EEEvPT_NS1_25CatArrInputTensorMetadataIS5_T0_XT2_EXT3_EEENS1_16TensorSizeStrideIS8_Lj4EEEiS8_,"axG",@progbits,_ZN2at6native12_GLOBAL__N_135CatArrayBatchedCopy_alignedK_contigINS1_10OpaqueTypeILj4EEEjLi4ELi64ELi64ELi8EEEvPT_NS1_25CatArrInputTensorMetadataIS5_T0_XT2_EXT3_EEENS1_16TensorSizeStrideIS8_Lj4EEEiS8_,comdat
.Lfunc_end157:
	.size	_ZN2at6native12_GLOBAL__N_135CatArrayBatchedCopy_alignedK_contigINS1_10OpaqueTypeILj4EEEjLi4ELi64ELi64ELi8EEEvPT_NS1_25CatArrInputTensorMetadataIS5_T0_XT2_EXT3_EEENS1_16TensorSizeStrideIS8_Lj4EEEiS8_, .Lfunc_end157-_ZN2at6native12_GLOBAL__N_135CatArrayBatchedCopy_alignedK_contigINS1_10OpaqueTypeILj4EEEjLi4ELi64ELi64ELi8EEEvPT_NS1_25CatArrInputTensorMetadataIS5_T0_XT2_EXT3_EEENS1_16TensorSizeStrideIS8_Lj4EEEiS8_
                                        ; -- End function
	.set _ZN2at6native12_GLOBAL__N_135CatArrayBatchedCopy_alignedK_contigINS1_10OpaqueTypeILj4EEEjLi4ELi64ELi64ELi8EEEvPT_NS1_25CatArrInputTensorMetadataIS5_T0_XT2_EXT3_EEENS1_16TensorSizeStrideIS8_Lj4EEEiS8_.num_vgpr, 23
	.set _ZN2at6native12_GLOBAL__N_135CatArrayBatchedCopy_alignedK_contigINS1_10OpaqueTypeILj4EEEjLi4ELi64ELi64ELi8EEEvPT_NS1_25CatArrInputTensorMetadataIS5_T0_XT2_EXT3_EEENS1_16TensorSizeStrideIS8_Lj4EEEiS8_.num_agpr, 0
	.set _ZN2at6native12_GLOBAL__N_135CatArrayBatchedCopy_alignedK_contigINS1_10OpaqueTypeILj4EEEjLi4ELi64ELi64ELi8EEEvPT_NS1_25CatArrInputTensorMetadataIS5_T0_XT2_EXT3_EEENS1_16TensorSizeStrideIS8_Lj4EEEiS8_.numbered_sgpr, 24
	.set _ZN2at6native12_GLOBAL__N_135CatArrayBatchedCopy_alignedK_contigINS1_10OpaqueTypeILj4EEEjLi4ELi64ELi64ELi8EEEvPT_NS1_25CatArrInputTensorMetadataIS5_T0_XT2_EXT3_EEENS1_16TensorSizeStrideIS8_Lj4EEEiS8_.num_named_barrier, 0
	.set _ZN2at6native12_GLOBAL__N_135CatArrayBatchedCopy_alignedK_contigINS1_10OpaqueTypeILj4EEEjLi4ELi64ELi64ELi8EEEvPT_NS1_25CatArrInputTensorMetadataIS5_T0_XT2_EXT3_EEENS1_16TensorSizeStrideIS8_Lj4EEEiS8_.private_seg_size, 0
	.set _ZN2at6native12_GLOBAL__N_135CatArrayBatchedCopy_alignedK_contigINS1_10OpaqueTypeILj4EEEjLi4ELi64ELi64ELi8EEEvPT_NS1_25CatArrInputTensorMetadataIS5_T0_XT2_EXT3_EEENS1_16TensorSizeStrideIS8_Lj4EEEiS8_.uses_vcc, 1
	.set _ZN2at6native12_GLOBAL__N_135CatArrayBatchedCopy_alignedK_contigINS1_10OpaqueTypeILj4EEEjLi4ELi64ELi64ELi8EEEvPT_NS1_25CatArrInputTensorMetadataIS5_T0_XT2_EXT3_EEENS1_16TensorSizeStrideIS8_Lj4EEEiS8_.uses_flat_scratch, 0
	.set _ZN2at6native12_GLOBAL__N_135CatArrayBatchedCopy_alignedK_contigINS1_10OpaqueTypeILj4EEEjLi4ELi64ELi64ELi8EEEvPT_NS1_25CatArrInputTensorMetadataIS5_T0_XT2_EXT3_EEENS1_16TensorSizeStrideIS8_Lj4EEEiS8_.has_dyn_sized_stack, 0
	.set _ZN2at6native12_GLOBAL__N_135CatArrayBatchedCopy_alignedK_contigINS1_10OpaqueTypeILj4EEEjLi4ELi64ELi64ELi8EEEvPT_NS1_25CatArrInputTensorMetadataIS5_T0_XT2_EXT3_EEENS1_16TensorSizeStrideIS8_Lj4EEEiS8_.has_recursion, 0
	.set _ZN2at6native12_GLOBAL__N_135CatArrayBatchedCopy_alignedK_contigINS1_10OpaqueTypeILj4EEEjLi4ELi64ELi64ELi8EEEvPT_NS1_25CatArrInputTensorMetadataIS5_T0_XT2_EXT3_EEENS1_16TensorSizeStrideIS8_Lj4EEEiS8_.has_indirect_call, 0
	.section	.AMDGPU.csdata,"",@progbits
; Kernel info:
; codeLenInByte = 1732
; TotalNumSgprs: 26
; NumVgprs: 23
; ScratchSize: 0
; MemoryBound: 0
; FloatMode: 240
; IeeeMode: 1
; LDSByteSize: 0 bytes/workgroup (compile time only)
; SGPRBlocks: 0
; VGPRBlocks: 2
; NumSGPRsForWavesPerEU: 26
; NumVGPRsForWavesPerEU: 23
; Occupancy: 16
; WaveLimiterHint : 1
; COMPUTE_PGM_RSRC2:SCRATCH_EN: 0
; COMPUTE_PGM_RSRC2:USER_SGPR: 6
; COMPUTE_PGM_RSRC2:TRAP_HANDLER: 0
; COMPUTE_PGM_RSRC2:TGID_X_EN: 1
; COMPUTE_PGM_RSRC2:TGID_Y_EN: 1
; COMPUTE_PGM_RSRC2:TGID_Z_EN: 0
; COMPUTE_PGM_RSRC2:TIDIG_COMP_CNT: 0
	.section	.text._ZN2at6native12_GLOBAL__N_126CatArrayBatchedCopy_contigINS1_10OpaqueTypeILj4EEEjLi4ELi64ELi64EEEvPT_NS1_25CatArrInputTensorMetadataIS5_T0_XT2_EXT3_EEENS1_16TensorSizeStrideIS8_Lj4EEEiS8_,"axG",@progbits,_ZN2at6native12_GLOBAL__N_126CatArrayBatchedCopy_contigINS1_10OpaqueTypeILj4EEEjLi4ELi64ELi64EEEvPT_NS1_25CatArrInputTensorMetadataIS5_T0_XT2_EXT3_EEENS1_16TensorSizeStrideIS8_Lj4EEEiS8_,comdat
	.globl	_ZN2at6native12_GLOBAL__N_126CatArrayBatchedCopy_contigINS1_10OpaqueTypeILj4EEEjLi4ELi64ELi64EEEvPT_NS1_25CatArrInputTensorMetadataIS5_T0_XT2_EXT3_EEENS1_16TensorSizeStrideIS8_Lj4EEEiS8_ ; -- Begin function _ZN2at6native12_GLOBAL__N_126CatArrayBatchedCopy_contigINS1_10OpaqueTypeILj4EEEjLi4ELi64ELi64EEEvPT_NS1_25CatArrInputTensorMetadataIS5_T0_XT2_EXT3_EEENS1_16TensorSizeStrideIS8_Lj4EEEiS8_
	.p2align	8
	.type	_ZN2at6native12_GLOBAL__N_126CatArrayBatchedCopy_contigINS1_10OpaqueTypeILj4EEEjLi4ELi64ELi64EEEvPT_NS1_25CatArrInputTensorMetadataIS5_T0_XT2_EXT3_EEENS1_16TensorSizeStrideIS8_Lj4EEEiS8_,@function
_ZN2at6native12_GLOBAL__N_126CatArrayBatchedCopy_contigINS1_10OpaqueTypeILj4EEEjLi4ELi64ELi64EEEvPT_NS1_25CatArrInputTensorMetadataIS5_T0_XT2_EXT3_EEENS1_16TensorSizeStrideIS8_Lj4EEEiS8_: ; @_ZN2at6native12_GLOBAL__N_126CatArrayBatchedCopy_contigINS1_10OpaqueTypeILj4EEEjLi4ELi64ELi64EEEvPT_NS1_25CatArrInputTensorMetadataIS5_T0_XT2_EXT3_EEENS1_16TensorSizeStrideIS8_Lj4EEEiS8_
; %bb.0:
	s_mov_b32 s0, s7
	s_load_dword s7, s[4:5], 0xd7c
	s_mov_b32 s1, 0
	s_add_u32 s8, s4, 0xd70
	s_addc_u32 s9, s5, 0
	s_lshl_b64 s[2:3], s[0:1], 2
	s_mov_b32 s11, exec_lo
	s_waitcnt lgkmcnt(0)
	s_and_b32 s0, s7, 0xffff
	s_add_u32 s12, s4, s2
	s_addc_u32 s13, s5, s3
	v_mad_u64_u32 v[0:1], null, s6, s0, v[0:1]
	s_load_dword s10, s[12:13], 0x408
	s_add_u32 s6, s12, 8
	s_addc_u32 s7, s13, 0
	s_waitcnt lgkmcnt(0)
	v_cmpx_gt_u32_e64 s10, v0
	s_cbranch_execz .LBB158_3
; %bb.1:
	s_add_u32 s20, s6, s2
	s_addc_u32 s21, s7, s3
	s_sub_u32 s2, 0, s2
	s_subb_u32 s3, 0, s3
	s_load_dwordx2 s[14:15], s[4:5], 0xd68
	s_add_u32 s22, s20, s2
	s_addc_u32 s23, s21, s3
	s_clause 0x1
	s_load_dwordx4 s[16:19], s[4:5], 0xd4c
	s_load_dword s2, s[22:23], 0x300
	s_waitcnt lgkmcnt(0)
	s_cmp_eq_u32 s14, 3
	s_cselect_b32 s11, s2, s18
	s_cmp_eq_u32 s14, 2
	v_cvt_f32_u32_e32 v1, s11
	s_cselect_b32 s12, s2, s17
	s_cmp_eq_u32 s14, 1
	v_cvt_f32_u32_e32 v2, s12
	s_cselect_b32 s13, s2, s16
	v_rcp_iflag_f32_e32 v1, v1
	v_cvt_f32_u32_e32 v3, s13
	s_load_dwordx2 s[2:3], s[4:5], 0x0
	v_rcp_iflag_f32_e32 v2, v2
	s_clause 0x1
	s_load_dwordx4 s[4:7], s[4:5], 0xd58
	s_load_dword s16, s[22:23], 0x200
	s_load_dword s17, s[8:9], 0x0
	v_rcp_iflag_f32_e32 v3, v3
	s_sub_i32 s14, 0, s11
	s_sub_i32 s8, 0, s12
	;; [unrolled: 1-line block ×3, first 2 shown]
	v_mul_f32_e32 v1, 0x4f7ffffe, v1
	v_mul_f32_e32 v2, 0x4f7ffffe, v2
	v_cvt_u32_f32_e32 v1, v1
	v_mul_f32_e32 v3, 0x4f7ffffe, v3
	v_cvt_u32_f32_e32 v4, v2
	v_mul_lo_u32 v2, s14, v1
	v_cvt_u32_f32_e32 v5, v3
	v_mul_lo_u32 v3, s8, v4
	s_waitcnt lgkmcnt(0)
	s_mul_i32 s15, s16, s15
	s_mul_i32 s16, s17, s0
	v_mul_lo_u32 v6, s9, v5
	s_load_dwordx2 s[8:9], s[20:21], 0x0
	v_mul_hi_u32 v2, v1, v2
	v_mul_hi_u32 v3, v4, v3
	;; [unrolled: 1-line block ×3, first 2 shown]
	v_add_nc_u32_e32 v2, v1, v2
	v_mov_b32_e32 v1, 0
	v_add_nc_u32_e32 v3, v4, v3
	v_add_nc_u32_e32 v4, v5, v6
.LBB158_2:                              ; =>This Inner Loop Header: Depth=1
	v_lshlrev_b64 v[5:6], 2, v[0:1]
	v_mul_hi_u32 v8, v2, v0
	s_waitcnt lgkmcnt(0)
	v_add_co_u32 v5, vcc_lo, s8, v5
	v_add_co_ci_u32_e64 v6, null, s9, v6, vcc_lo
	v_mul_lo_u32 v9, s11, v8
	v_add_nc_u32_e32 v10, 1, v8
	global_load_dword v7, v[5:6], off
	v_not_b32_e32 v5, v8
	v_mad_u64_u32 v[5:6], null, s11, v5, v[0:1]
	v_sub_nc_u32_e32 v6, v0, v9
	v_cmp_le_u32_e32 vcc_lo, s11, v6
	v_cndmask_b32_e32 v8, v8, v10, vcc_lo
	v_cndmask_b32_e32 v5, v6, v5, vcc_lo
	v_add_nc_u32_e32 v6, 1, v8
	v_cmp_le_u32_e32 vcc_lo, s11, v5
	v_cndmask_b32_e32 v8, v8, v6, vcc_lo
	v_mul_hi_u32 v5, v8, v3
	v_mul_lo_u32 v6, v5, s12
	v_add_nc_u32_e32 v9, 1, v5
	v_sub_nc_u32_e32 v6, v8, v6
	v_subrev_nc_u32_e32 v10, s12, v6
	v_cmp_le_u32_e32 vcc_lo, s12, v6
	v_cndmask_b32_e32 v5, v5, v9, vcc_lo
	v_cndmask_b32_e32 v6, v6, v10, vcc_lo
	v_add_nc_u32_e32 v9, 1, v5
	v_cmp_le_u32_e32 vcc_lo, s12, v6
	v_cndmask_b32_e32 v9, v5, v9, vcc_lo
	v_mul_hi_u32 v5, v9, v4
	v_mul_lo_u32 v6, v5, s13
	v_add_nc_u32_e32 v10, 1, v5
	v_sub_nc_u32_e32 v6, v9, v6
	v_subrev_nc_u32_e32 v11, s13, v6
	v_cmp_le_u32_e32 vcc_lo, s13, v6
	v_cndmask_b32_e32 v10, v5, v10, vcc_lo
	v_cndmask_b32_e32 v11, v6, v11, vcc_lo
	v_mad_u64_u32 v[5:6], null, s14, v8, v[0:1]
	v_add_nc_u32_e32 v0, s16, v0
	v_add_nc_u32_e32 v12, 1, v10
	v_cmp_le_u32_e32 vcc_lo, s13, v11
	v_mul_lo_u32 v5, v5, s7
	v_cndmask_b32_e32 v6, v10, v12, vcc_lo
	v_mul_lo_u32 v10, v9, s12
	v_cmp_le_u32_e32 vcc_lo, s10, v0
	v_mul_lo_u32 v11, v6, s13
	v_mul_lo_u32 v6, v6, s4
	s_or_b32 s1, vcc_lo, s1
	v_sub_nc_u32_e32 v8, v8, v10
	v_sub_nc_u32_e32 v9, v9, v11
	v_mul_lo_u32 v8, v8, s6
	v_add3_u32 v5, v5, s15, v6
	v_mov_b32_e32 v6, v1
	v_mul_lo_u32 v9, v9, s5
	v_add3_u32 v5, v5, v8, v9
	v_lshlrev_b64 v[5:6], 2, v[5:6]
	v_add_co_u32 v5, s0, s2, v5
	v_add_co_ci_u32_e64 v6, null, s3, v6, s0
	s_waitcnt vmcnt(0)
	global_store_dword v[5:6], v7, off
	s_andn2_b32 exec_lo, exec_lo, s1
	s_cbranch_execnz .LBB158_2
.LBB158_3:
	s_endpgm
	.section	.rodata,"a",@progbits
	.p2align	6, 0x0
	.amdhsa_kernel _ZN2at6native12_GLOBAL__N_126CatArrayBatchedCopy_contigINS1_10OpaqueTypeILj4EEEjLi4ELi64ELi64EEEvPT_NS1_25CatArrInputTensorMetadataIS5_T0_XT2_EXT3_EEENS1_16TensorSizeStrideIS8_Lj4EEEiS8_
		.amdhsa_group_segment_fixed_size 0
		.amdhsa_private_segment_fixed_size 0
		.amdhsa_kernarg_size 3696
		.amdhsa_user_sgpr_count 6
		.amdhsa_user_sgpr_private_segment_buffer 1
		.amdhsa_user_sgpr_dispatch_ptr 0
		.amdhsa_user_sgpr_queue_ptr 0
		.amdhsa_user_sgpr_kernarg_segment_ptr 1
		.amdhsa_user_sgpr_dispatch_id 0
		.amdhsa_user_sgpr_flat_scratch_init 0
		.amdhsa_user_sgpr_private_segment_size 0
		.amdhsa_wavefront_size32 1
		.amdhsa_uses_dynamic_stack 0
		.amdhsa_system_sgpr_private_segment_wavefront_offset 0
		.amdhsa_system_sgpr_workgroup_id_x 1
		.amdhsa_system_sgpr_workgroup_id_y 1
		.amdhsa_system_sgpr_workgroup_id_z 0
		.amdhsa_system_sgpr_workgroup_info 0
		.amdhsa_system_vgpr_workitem_id 0
		.amdhsa_next_free_vgpr 13
		.amdhsa_next_free_sgpr 24
		.amdhsa_reserve_vcc 1
		.amdhsa_reserve_flat_scratch 0
		.amdhsa_float_round_mode_32 0
		.amdhsa_float_round_mode_16_64 0
		.amdhsa_float_denorm_mode_32 3
		.amdhsa_float_denorm_mode_16_64 3
		.amdhsa_dx10_clamp 1
		.amdhsa_ieee_mode 1
		.amdhsa_fp16_overflow 0
		.amdhsa_workgroup_processor_mode 1
		.amdhsa_memory_ordered 1
		.amdhsa_forward_progress 1
		.amdhsa_shared_vgpr_count 0
		.amdhsa_exception_fp_ieee_invalid_op 0
		.amdhsa_exception_fp_denorm_src 0
		.amdhsa_exception_fp_ieee_div_zero 0
		.amdhsa_exception_fp_ieee_overflow 0
		.amdhsa_exception_fp_ieee_underflow 0
		.amdhsa_exception_fp_ieee_inexact 0
		.amdhsa_exception_int_div_zero 0
	.end_amdhsa_kernel
	.section	.text._ZN2at6native12_GLOBAL__N_126CatArrayBatchedCopy_contigINS1_10OpaqueTypeILj4EEEjLi4ELi64ELi64EEEvPT_NS1_25CatArrInputTensorMetadataIS5_T0_XT2_EXT3_EEENS1_16TensorSizeStrideIS8_Lj4EEEiS8_,"axG",@progbits,_ZN2at6native12_GLOBAL__N_126CatArrayBatchedCopy_contigINS1_10OpaqueTypeILj4EEEjLi4ELi64ELi64EEEvPT_NS1_25CatArrInputTensorMetadataIS5_T0_XT2_EXT3_EEENS1_16TensorSizeStrideIS8_Lj4EEEiS8_,comdat
.Lfunc_end158:
	.size	_ZN2at6native12_GLOBAL__N_126CatArrayBatchedCopy_contigINS1_10OpaqueTypeILj4EEEjLi4ELi64ELi64EEEvPT_NS1_25CatArrInputTensorMetadataIS5_T0_XT2_EXT3_EEENS1_16TensorSizeStrideIS8_Lj4EEEiS8_, .Lfunc_end158-_ZN2at6native12_GLOBAL__N_126CatArrayBatchedCopy_contigINS1_10OpaqueTypeILj4EEEjLi4ELi64ELi64EEEvPT_NS1_25CatArrInputTensorMetadataIS5_T0_XT2_EXT3_EEENS1_16TensorSizeStrideIS8_Lj4EEEiS8_
                                        ; -- End function
	.set _ZN2at6native12_GLOBAL__N_126CatArrayBatchedCopy_contigINS1_10OpaqueTypeILj4EEEjLi4ELi64ELi64EEEvPT_NS1_25CatArrInputTensorMetadataIS5_T0_XT2_EXT3_EEENS1_16TensorSizeStrideIS8_Lj4EEEiS8_.num_vgpr, 13
	.set _ZN2at6native12_GLOBAL__N_126CatArrayBatchedCopy_contigINS1_10OpaqueTypeILj4EEEjLi4ELi64ELi64EEEvPT_NS1_25CatArrInputTensorMetadataIS5_T0_XT2_EXT3_EEENS1_16TensorSizeStrideIS8_Lj4EEEiS8_.num_agpr, 0
	.set _ZN2at6native12_GLOBAL__N_126CatArrayBatchedCopy_contigINS1_10OpaqueTypeILj4EEEjLi4ELi64ELi64EEEvPT_NS1_25CatArrInputTensorMetadataIS5_T0_XT2_EXT3_EEENS1_16TensorSizeStrideIS8_Lj4EEEiS8_.numbered_sgpr, 24
	.set _ZN2at6native12_GLOBAL__N_126CatArrayBatchedCopy_contigINS1_10OpaqueTypeILj4EEEjLi4ELi64ELi64EEEvPT_NS1_25CatArrInputTensorMetadataIS5_T0_XT2_EXT3_EEENS1_16TensorSizeStrideIS8_Lj4EEEiS8_.num_named_barrier, 0
	.set _ZN2at6native12_GLOBAL__N_126CatArrayBatchedCopy_contigINS1_10OpaqueTypeILj4EEEjLi4ELi64ELi64EEEvPT_NS1_25CatArrInputTensorMetadataIS5_T0_XT2_EXT3_EEENS1_16TensorSizeStrideIS8_Lj4EEEiS8_.private_seg_size, 0
	.set _ZN2at6native12_GLOBAL__N_126CatArrayBatchedCopy_contigINS1_10OpaqueTypeILj4EEEjLi4ELi64ELi64EEEvPT_NS1_25CatArrInputTensorMetadataIS5_T0_XT2_EXT3_EEENS1_16TensorSizeStrideIS8_Lj4EEEiS8_.uses_vcc, 1
	.set _ZN2at6native12_GLOBAL__N_126CatArrayBatchedCopy_contigINS1_10OpaqueTypeILj4EEEjLi4ELi64ELi64EEEvPT_NS1_25CatArrInputTensorMetadataIS5_T0_XT2_EXT3_EEENS1_16TensorSizeStrideIS8_Lj4EEEiS8_.uses_flat_scratch, 0
	.set _ZN2at6native12_GLOBAL__N_126CatArrayBatchedCopy_contigINS1_10OpaqueTypeILj4EEEjLi4ELi64ELi64EEEvPT_NS1_25CatArrInputTensorMetadataIS5_T0_XT2_EXT3_EEENS1_16TensorSizeStrideIS8_Lj4EEEiS8_.has_dyn_sized_stack, 0
	.set _ZN2at6native12_GLOBAL__N_126CatArrayBatchedCopy_contigINS1_10OpaqueTypeILj4EEEjLi4ELi64ELi64EEEvPT_NS1_25CatArrInputTensorMetadataIS5_T0_XT2_EXT3_EEENS1_16TensorSizeStrideIS8_Lj4EEEiS8_.has_recursion, 0
	.set _ZN2at6native12_GLOBAL__N_126CatArrayBatchedCopy_contigINS1_10OpaqueTypeILj4EEEjLi4ELi64ELi64EEEvPT_NS1_25CatArrInputTensorMetadataIS5_T0_XT2_EXT3_EEENS1_16TensorSizeStrideIS8_Lj4EEEiS8_.has_indirect_call, 0
	.section	.AMDGPU.csdata,"",@progbits
; Kernel info:
; codeLenInByte = 712
; TotalNumSgprs: 26
; NumVgprs: 13
; ScratchSize: 0
; MemoryBound: 0
; FloatMode: 240
; IeeeMode: 1
; LDSByteSize: 0 bytes/workgroup (compile time only)
; SGPRBlocks: 0
; VGPRBlocks: 1
; NumSGPRsForWavesPerEU: 26
; NumVGPRsForWavesPerEU: 13
; Occupancy: 16
; WaveLimiterHint : 1
; COMPUTE_PGM_RSRC2:SCRATCH_EN: 0
; COMPUTE_PGM_RSRC2:USER_SGPR: 6
; COMPUTE_PGM_RSRC2:TRAP_HANDLER: 0
; COMPUTE_PGM_RSRC2:TGID_X_EN: 1
; COMPUTE_PGM_RSRC2:TGID_Y_EN: 1
; COMPUTE_PGM_RSRC2:TGID_Z_EN: 0
; COMPUTE_PGM_RSRC2:TIDIG_COMP_CNT: 0
	.section	.text._ZN2at6native12_GLOBAL__N_119CatArrayBatchedCopyINS1_10OpaqueTypeILj4EEEjLi4ELi64ELi64EEEvPT_NS1_25CatArrInputTensorMetadataIS5_T0_XT2_EXT3_EEENS1_16TensorSizeStrideIS8_Lj4EEEiS8_,"axG",@progbits,_ZN2at6native12_GLOBAL__N_119CatArrayBatchedCopyINS1_10OpaqueTypeILj4EEEjLi4ELi64ELi64EEEvPT_NS1_25CatArrInputTensorMetadataIS5_T0_XT2_EXT3_EEENS1_16TensorSizeStrideIS8_Lj4EEEiS8_,comdat
	.globl	_ZN2at6native12_GLOBAL__N_119CatArrayBatchedCopyINS1_10OpaqueTypeILj4EEEjLi4ELi64ELi64EEEvPT_NS1_25CatArrInputTensorMetadataIS5_T0_XT2_EXT3_EEENS1_16TensorSizeStrideIS8_Lj4EEEiS8_ ; -- Begin function _ZN2at6native12_GLOBAL__N_119CatArrayBatchedCopyINS1_10OpaqueTypeILj4EEEjLi4ELi64ELi64EEEvPT_NS1_25CatArrInputTensorMetadataIS5_T0_XT2_EXT3_EEENS1_16TensorSizeStrideIS8_Lj4EEEiS8_
	.p2align	8
	.type	_ZN2at6native12_GLOBAL__N_119CatArrayBatchedCopyINS1_10OpaqueTypeILj4EEEjLi4ELi64ELi64EEEvPT_NS1_25CatArrInputTensorMetadataIS5_T0_XT2_EXT3_EEENS1_16TensorSizeStrideIS8_Lj4EEEiS8_,@function
_ZN2at6native12_GLOBAL__N_119CatArrayBatchedCopyINS1_10OpaqueTypeILj4EEEjLi4ELi64ELi64EEEvPT_NS1_25CatArrInputTensorMetadataIS5_T0_XT2_EXT3_EEENS1_16TensorSizeStrideIS8_Lj4EEEiS8_: ; @_ZN2at6native12_GLOBAL__N_119CatArrayBatchedCopyINS1_10OpaqueTypeILj4EEEjLi4ELi64ELi64EEEvPT_NS1_25CatArrInputTensorMetadataIS5_T0_XT2_EXT3_EEENS1_16TensorSizeStrideIS8_Lj4EEEiS8_
; %bb.0:
	s_mov_b32 s0, s7
	s_load_dword s7, s[4:5], 0xd7c
	s_or_b32 s10, s4, 8
	s_mov_b32 s1, 0
	s_add_u32 s16, s4, 0xd70
	s_addc_u32 s17, s5, 0
	s_lshl_b64 s[2:3], s[0:1], 2
	s_waitcnt lgkmcnt(0)
	s_and_b32 s25, s7, 0xffff
	s_add_u32 s8, s10, s2
	s_addc_u32 s9, s5, s3
	v_mad_u64_u32 v[0:1], null, s6, s25, v[0:1]
	s_load_dword s18, s[8:9], 0x400
	s_mov_b32 s6, exec_lo
	s_waitcnt lgkmcnt(0)
	v_cmpx_gt_u32_e64 s18, v0
	s_cbranch_execz .LBB159_5
; %bb.1:
	s_mul_i32 s6, s0, 28
	s_mul_hi_u32 s7, s0, 28
	s_add_u32 s6, s8, s6
	v_mov_b32_e32 v1, 0
	s_addc_u32 s7, s9, s7
	s_add_u32 s8, s10, s0
	s_addc_u32 s9, s5, 0
	s_load_dwordx2 s[14:15], s[4:5], 0xd68
	global_load_ubyte v2, v1, s[8:9] offset:1280
	s_mul_hi_u32 s10, s0, 7
	s_mul_i32 s0, s0, 7
	s_waitcnt vmcnt(0)
	v_and_b32_e32 v2, 1, v2
	v_cmp_eq_u32_e32 vcc_lo, 1, v2
	s_xor_b32 s19, vcc_lo, -1
	s_add_u32 s12, s8, s0
	s_addc_u32 s13, s9, s10
	s_sub_u32 s0, 0, s2
	s_subb_u32 s2, 0, s3
	s_add_u32 s20, s12, s0
	s_addc_u32 s21, s13, s2
	s_clause 0x5
	s_load_dwordx4 s[28:31], s[4:5], 0xd4c
	s_load_dword s0, s[20:21], 0x300
	s_load_dword s24, s[6:7], 0x54c
	s_load_dwordx2 s[22:23], s[6:7], 0x544
	s_load_dwordx4 s[8:11], s[4:5], 0xd58
	s_load_dwordx2 s[2:3], s[4:5], 0x0
	s_waitcnt lgkmcnt(0)
	s_cmp_eq_u32 s14, 3
	s_load_dword s26, s[20:21], 0x200
	s_load_dword s27, s[16:17], 0x0
	s_cselect_b32 s20, s0, s30
	s_cselect_b32 s21, s0, s24
	s_cmp_eq_u32 s14, 2
	v_cvt_f32_u32_e32 v2, s20
	s_cselect_b32 s16, s0, s29
	s_cselect_b32 s17, s0, s23
	s_cmp_eq_u32 s14, 1
	v_cvt_f32_u32_e32 v3, s21
	s_cselect_b32 s14, s0, s28
	s_cselect_b32 s22, s0, s22
	v_cvt_f32_u32_e32 v4, s16
	v_cvt_f32_u32_e32 v5, s17
	;; [unrolled: 1-line block ×4, first 2 shown]
	v_rcp_iflag_f32_e32 v2, v2
	v_rcp_iflag_f32_e32 v3, v3
	;; [unrolled: 1-line block ×6, first 2 shown]
	s_sub_i32 s23, 0, s20
	s_sub_i32 s0, 0, s16
	;; [unrolled: 1-line block ×4, first 2 shown]
	v_mul_f32_e32 v2, 0x4f7ffffe, v2
	v_mul_f32_e32 v3, 0x4f7ffffe, v3
	;; [unrolled: 1-line block ×6, first 2 shown]
	v_cvt_u32_f32_e32 v2, v2
	v_cvt_u32_f32_e32 v3, v3
	;; [unrolled: 1-line block ×6, first 2 shown]
	s_sub_i32 s5, 0, s14
	s_sub_i32 s28, 0, s22
	v_mul_lo_u32 v4, s23, v2
	v_mul_lo_u32 v5, s24, v3
	;; [unrolled: 1-line block ×6, first 2 shown]
	s_clause 0x1
	s_load_dwordx4 s[4:7], s[6:7], 0x550
	s_load_dwordx2 s[12:13], s[12:13], 0x0
	s_waitcnt lgkmcnt(0)
	s_mul_i32 s15, s26, s15
	v_mul_hi_u32 v4, v2, v4
	v_mul_hi_u32 v5, v3, v5
	;; [unrolled: 1-line block ×6, first 2 shown]
	s_mul_i32 s25, s27, s25
	v_add_nc_u32_e32 v4, v2, v4
	v_add_nc_u32_e32 v5, v3, v5
	v_add_nc_u32_e32 v6, v8, v6
	v_add_nc_u32_e32 v7, v9, v7
	v_add_nc_u32_e32 v8, v10, v12
	v_add_nc_u32_e32 v9, v11, v13
	s_branch .LBB159_3
.LBB159_2:                              ;   in Loop: Header=BB159_3 Depth=1
	v_lshlrev_b64 v[2:3], 2, v[2:3]
	v_mul_hi_u32 v13, v4, v0
	v_add_co_u32 v2, vcc_lo, s12, v2
	v_add_co_ci_u32_e64 v3, null, s13, v3, vcc_lo
	v_not_b32_e32 v10, v13
	global_load_dword v12, v[2:3], off
	v_mad_u64_u32 v[2:3], null, s23, v13, v[0:1]
	v_mad_u64_u32 v[10:11], null, s20, v10, v[0:1]
	v_add_nc_u32_e32 v3, 1, v13
	v_cmp_le_u32_e32 vcc_lo, s20, v2
	v_cndmask_b32_e32 v3, v13, v3, vcc_lo
	v_cndmask_b32_e32 v2, v2, v10, vcc_lo
	v_add_nc_u32_e32 v10, 1, v3
	v_cmp_le_u32_e32 vcc_lo, s20, v2
	v_cndmask_b32_e32 v10, v3, v10, vcc_lo
	v_mul_hi_u32 v2, v10, v6
	v_mul_lo_u32 v3, v2, s16
	v_add_nc_u32_e32 v11, 1, v2
	v_sub_nc_u32_e32 v3, v10, v3
	v_subrev_nc_u32_e32 v13, s16, v3
	v_cmp_le_u32_e32 vcc_lo, s16, v3
	v_cndmask_b32_e32 v2, v2, v11, vcc_lo
	v_cndmask_b32_e32 v3, v3, v13, vcc_lo
	v_add_nc_u32_e32 v11, 1, v2
	v_cmp_le_u32_e32 vcc_lo, s16, v3
	v_cndmask_b32_e32 v11, v2, v11, vcc_lo
	v_mul_hi_u32 v2, v11, v8
	v_mul_lo_u32 v3, v2, s14
	v_add_nc_u32_e32 v13, 1, v2
	v_sub_nc_u32_e32 v3, v11, v3
	v_subrev_nc_u32_e32 v14, s14, v3
	v_cmp_le_u32_e32 vcc_lo, s14, v3
	v_cndmask_b32_e32 v2, v2, v13, vcc_lo
	v_cndmask_b32_e32 v3, v3, v14, vcc_lo
	v_mul_lo_u32 v14, v11, s16
	v_add_nc_u32_e32 v13, 1, v2
	v_cmp_le_u32_e32 vcc_lo, s14, v3
	v_cndmask_b32_e32 v13, v2, v13, vcc_lo
	v_mad_u64_u32 v[2:3], null, s23, v10, v[0:1]
	v_sub_nc_u32_e32 v10, v10, v14
	v_add_nc_u32_e32 v0, s25, v0
	v_mul_lo_u32 v3, v13, s14
	v_mul_lo_u32 v10, v10, s10
	;; [unrolled: 1-line block ×3, first 2 shown]
	v_cmp_le_u32_e32 vcc_lo, s18, v0
	v_sub_nc_u32_e32 v3, v11, v3
	v_mul_lo_u32 v11, v13, s8
	s_or_b32 s1, vcc_lo, s1
	v_mul_lo_u32 v3, v3, s9
	v_add3_u32 v2, v11, v2, v10
	v_add3_u32 v2, v2, v3, s15
	v_mov_b32_e32 v3, v1
	v_lshlrev_b64 v[2:3], 2, v[2:3]
	v_add_co_u32 v2, s0, s2, v2
	v_add_co_ci_u32_e64 v3, null, s3, v3, s0
	s_waitcnt vmcnt(0)
	global_store_dword v[2:3], v12, off
	s_andn2_b32 exec_lo, exec_lo, s1
	s_cbranch_execz .LBB159_5
.LBB159_3:                              ; =>This Inner Loop Header: Depth=1
	v_mov_b32_e32 v3, v1
	v_mov_b32_e32 v2, v0
	s_andn2_b32 vcc_lo, exec_lo, s19
	s_cbranch_vccnz .LBB159_2
; %bb.4:                                ;   in Loop: Header=BB159_3 Depth=1
	v_mul_hi_u32 v12, v5, v0
	v_not_b32_e32 v10, v12
	v_mad_u64_u32 v[2:3], null, s24, v12, v[0:1]
	v_add_nc_u32_e32 v3, 1, v12
	v_mad_u64_u32 v[10:11], null, s21, v10, v[0:1]
	v_cmp_le_u32_e32 vcc_lo, s21, v2
	v_cndmask_b32_e32 v3, v12, v3, vcc_lo
	v_cndmask_b32_e32 v2, v2, v10, vcc_lo
	v_add_nc_u32_e32 v10, 1, v3
	v_cmp_le_u32_e32 vcc_lo, s21, v2
	v_cndmask_b32_e32 v10, v3, v10, vcc_lo
	v_mul_hi_u32 v2, v10, v7
	v_mul_lo_u32 v3, v2, s17
	v_add_nc_u32_e32 v11, 1, v2
	v_sub_nc_u32_e32 v3, v10, v3
	v_subrev_nc_u32_e32 v12, s17, v3
	v_cmp_le_u32_e32 vcc_lo, s17, v3
	v_cndmask_b32_e32 v2, v2, v11, vcc_lo
	v_cndmask_b32_e32 v3, v3, v12, vcc_lo
	v_add_nc_u32_e32 v11, 1, v2
	v_cmp_le_u32_e32 vcc_lo, s17, v3
	v_cndmask_b32_e32 v11, v2, v11, vcc_lo
	v_mul_hi_u32 v2, v11, v9
	v_mul_lo_u32 v3, v2, s22
	v_add_nc_u32_e32 v12, 1, v2
	v_sub_nc_u32_e32 v3, v11, v3
	v_subrev_nc_u32_e32 v13, s22, v3
	v_cmp_le_u32_e32 vcc_lo, s22, v3
	v_cndmask_b32_e32 v2, v2, v12, vcc_lo
	v_cndmask_b32_e32 v3, v3, v13, vcc_lo
	v_add_nc_u32_e32 v12, 1, v2
	v_cmp_le_u32_e32 vcc_lo, s22, v3
	v_cndmask_b32_e32 v12, v2, v12, vcc_lo
	v_mad_u64_u32 v[2:3], null, s24, v10, v[0:1]
	v_mul_lo_u32 v3, v11, s17
	v_mul_lo_u32 v13, v12, s22
	;; [unrolled: 1-line block ×3, first 2 shown]
	v_sub_nc_u32_e32 v3, v10, v3
	v_sub_nc_u32_e32 v10, v11, v13
	v_mul_lo_u32 v11, v3, s6
	v_mad_u64_u32 v[2:3], null, v12, s4, v[2:3]
	v_mul_lo_u32 v3, v10, s5
	v_add3_u32 v2, v2, v11, v3
	v_mov_b32_e32 v3, v1
	s_branch .LBB159_2
.LBB159_5:
	s_endpgm
	.section	.rodata,"a",@progbits
	.p2align	6, 0x0
	.amdhsa_kernel _ZN2at6native12_GLOBAL__N_119CatArrayBatchedCopyINS1_10OpaqueTypeILj4EEEjLi4ELi64ELi64EEEvPT_NS1_25CatArrInputTensorMetadataIS5_T0_XT2_EXT3_EEENS1_16TensorSizeStrideIS8_Lj4EEEiS8_
		.amdhsa_group_segment_fixed_size 0
		.amdhsa_private_segment_fixed_size 0
		.amdhsa_kernarg_size 3696
		.amdhsa_user_sgpr_count 6
		.amdhsa_user_sgpr_private_segment_buffer 1
		.amdhsa_user_sgpr_dispatch_ptr 0
		.amdhsa_user_sgpr_queue_ptr 0
		.amdhsa_user_sgpr_kernarg_segment_ptr 1
		.amdhsa_user_sgpr_dispatch_id 0
		.amdhsa_user_sgpr_flat_scratch_init 0
		.amdhsa_user_sgpr_private_segment_size 0
		.amdhsa_wavefront_size32 1
		.amdhsa_uses_dynamic_stack 0
		.amdhsa_system_sgpr_private_segment_wavefront_offset 0
		.amdhsa_system_sgpr_workgroup_id_x 1
		.amdhsa_system_sgpr_workgroup_id_y 1
		.amdhsa_system_sgpr_workgroup_id_z 0
		.amdhsa_system_sgpr_workgroup_info 0
		.amdhsa_system_vgpr_workitem_id 0
		.amdhsa_next_free_vgpr 15
		.amdhsa_next_free_sgpr 32
		.amdhsa_reserve_vcc 1
		.amdhsa_reserve_flat_scratch 0
		.amdhsa_float_round_mode_32 0
		.amdhsa_float_round_mode_16_64 0
		.amdhsa_float_denorm_mode_32 3
		.amdhsa_float_denorm_mode_16_64 3
		.amdhsa_dx10_clamp 1
		.amdhsa_ieee_mode 1
		.amdhsa_fp16_overflow 0
		.amdhsa_workgroup_processor_mode 1
		.amdhsa_memory_ordered 1
		.amdhsa_forward_progress 1
		.amdhsa_shared_vgpr_count 0
		.amdhsa_exception_fp_ieee_invalid_op 0
		.amdhsa_exception_fp_denorm_src 0
		.amdhsa_exception_fp_ieee_div_zero 0
		.amdhsa_exception_fp_ieee_overflow 0
		.amdhsa_exception_fp_ieee_underflow 0
		.amdhsa_exception_fp_ieee_inexact 0
		.amdhsa_exception_int_div_zero 0
	.end_amdhsa_kernel
	.section	.text._ZN2at6native12_GLOBAL__N_119CatArrayBatchedCopyINS1_10OpaqueTypeILj4EEEjLi4ELi64ELi64EEEvPT_NS1_25CatArrInputTensorMetadataIS5_T0_XT2_EXT3_EEENS1_16TensorSizeStrideIS8_Lj4EEEiS8_,"axG",@progbits,_ZN2at6native12_GLOBAL__N_119CatArrayBatchedCopyINS1_10OpaqueTypeILj4EEEjLi4ELi64ELi64EEEvPT_NS1_25CatArrInputTensorMetadataIS5_T0_XT2_EXT3_EEENS1_16TensorSizeStrideIS8_Lj4EEEiS8_,comdat
.Lfunc_end159:
	.size	_ZN2at6native12_GLOBAL__N_119CatArrayBatchedCopyINS1_10OpaqueTypeILj4EEEjLi4ELi64ELi64EEEvPT_NS1_25CatArrInputTensorMetadataIS5_T0_XT2_EXT3_EEENS1_16TensorSizeStrideIS8_Lj4EEEiS8_, .Lfunc_end159-_ZN2at6native12_GLOBAL__N_119CatArrayBatchedCopyINS1_10OpaqueTypeILj4EEEjLi4ELi64ELi64EEEvPT_NS1_25CatArrInputTensorMetadataIS5_T0_XT2_EXT3_EEENS1_16TensorSizeStrideIS8_Lj4EEEiS8_
                                        ; -- End function
	.set _ZN2at6native12_GLOBAL__N_119CatArrayBatchedCopyINS1_10OpaqueTypeILj4EEEjLi4ELi64ELi64EEEvPT_NS1_25CatArrInputTensorMetadataIS5_T0_XT2_EXT3_EEENS1_16TensorSizeStrideIS8_Lj4EEEiS8_.num_vgpr, 15
	.set _ZN2at6native12_GLOBAL__N_119CatArrayBatchedCopyINS1_10OpaqueTypeILj4EEEjLi4ELi64ELi64EEEvPT_NS1_25CatArrInputTensorMetadataIS5_T0_XT2_EXT3_EEENS1_16TensorSizeStrideIS8_Lj4EEEiS8_.num_agpr, 0
	.set _ZN2at6native12_GLOBAL__N_119CatArrayBatchedCopyINS1_10OpaqueTypeILj4EEEjLi4ELi64ELi64EEEvPT_NS1_25CatArrInputTensorMetadataIS5_T0_XT2_EXT3_EEENS1_16TensorSizeStrideIS8_Lj4EEEiS8_.numbered_sgpr, 32
	.set _ZN2at6native12_GLOBAL__N_119CatArrayBatchedCopyINS1_10OpaqueTypeILj4EEEjLi4ELi64ELi64EEEvPT_NS1_25CatArrInputTensorMetadataIS5_T0_XT2_EXT3_EEENS1_16TensorSizeStrideIS8_Lj4EEEiS8_.num_named_barrier, 0
	.set _ZN2at6native12_GLOBAL__N_119CatArrayBatchedCopyINS1_10OpaqueTypeILj4EEEjLi4ELi64ELi64EEEvPT_NS1_25CatArrInputTensorMetadataIS5_T0_XT2_EXT3_EEENS1_16TensorSizeStrideIS8_Lj4EEEiS8_.private_seg_size, 0
	.set _ZN2at6native12_GLOBAL__N_119CatArrayBatchedCopyINS1_10OpaqueTypeILj4EEEjLi4ELi64ELi64EEEvPT_NS1_25CatArrInputTensorMetadataIS5_T0_XT2_EXT3_EEENS1_16TensorSizeStrideIS8_Lj4EEEiS8_.uses_vcc, 1
	.set _ZN2at6native12_GLOBAL__N_119CatArrayBatchedCopyINS1_10OpaqueTypeILj4EEEjLi4ELi64ELi64EEEvPT_NS1_25CatArrInputTensorMetadataIS5_T0_XT2_EXT3_EEENS1_16TensorSizeStrideIS8_Lj4EEEiS8_.uses_flat_scratch, 0
	.set _ZN2at6native12_GLOBAL__N_119CatArrayBatchedCopyINS1_10OpaqueTypeILj4EEEjLi4ELi64ELi64EEEvPT_NS1_25CatArrInputTensorMetadataIS5_T0_XT2_EXT3_EEENS1_16TensorSizeStrideIS8_Lj4EEEiS8_.has_dyn_sized_stack, 0
	.set _ZN2at6native12_GLOBAL__N_119CatArrayBatchedCopyINS1_10OpaqueTypeILj4EEEjLi4ELi64ELi64EEEvPT_NS1_25CatArrInputTensorMetadataIS5_T0_XT2_EXT3_EEENS1_16TensorSizeStrideIS8_Lj4EEEiS8_.has_recursion, 0
	.set _ZN2at6native12_GLOBAL__N_119CatArrayBatchedCopyINS1_10OpaqueTypeILj4EEEjLi4ELi64ELi64EEEvPT_NS1_25CatArrInputTensorMetadataIS5_T0_XT2_EXT3_EEENS1_16TensorSizeStrideIS8_Lj4EEEiS8_.has_indirect_call, 0
	.section	.AMDGPU.csdata,"",@progbits
; Kernel info:
; codeLenInByte = 1184
; TotalNumSgprs: 34
; NumVgprs: 15
; ScratchSize: 0
; MemoryBound: 0
; FloatMode: 240
; IeeeMode: 1
; LDSByteSize: 0 bytes/workgroup (compile time only)
; SGPRBlocks: 0
; VGPRBlocks: 1
; NumSGPRsForWavesPerEU: 34
; NumVGPRsForWavesPerEU: 15
; Occupancy: 16
; WaveLimiterHint : 1
; COMPUTE_PGM_RSRC2:SCRATCH_EN: 0
; COMPUTE_PGM_RSRC2:USER_SGPR: 6
; COMPUTE_PGM_RSRC2:TRAP_HANDLER: 0
; COMPUTE_PGM_RSRC2:TGID_X_EN: 1
; COMPUTE_PGM_RSRC2:TGID_Y_EN: 1
; COMPUTE_PGM_RSRC2:TGID_Z_EN: 0
; COMPUTE_PGM_RSRC2:TIDIG_COMP_CNT: 0
	.section	.text._ZN2at6native12_GLOBAL__N_130CatArrayBatchedCopy_vectorizedINS1_10OpaqueTypeILj8EEEjLi1ELi64ELi64ELi16ELi2EEEvPcNS1_25CatArrInputTensorMetadataIT_T0_XT2_EXT3_EEENS1_16TensorSizeStrideIS8_Lj4EEEiS8_,"axG",@progbits,_ZN2at6native12_GLOBAL__N_130CatArrayBatchedCopy_vectorizedINS1_10OpaqueTypeILj8EEEjLi1ELi64ELi64ELi16ELi2EEEvPcNS1_25CatArrInputTensorMetadataIT_T0_XT2_EXT3_EEENS1_16TensorSizeStrideIS8_Lj4EEEiS8_,comdat
	.globl	_ZN2at6native12_GLOBAL__N_130CatArrayBatchedCopy_vectorizedINS1_10OpaqueTypeILj8EEEjLi1ELi64ELi64ELi16ELi2EEEvPcNS1_25CatArrInputTensorMetadataIT_T0_XT2_EXT3_EEENS1_16TensorSizeStrideIS8_Lj4EEEiS8_ ; -- Begin function _ZN2at6native12_GLOBAL__N_130CatArrayBatchedCopy_vectorizedINS1_10OpaqueTypeILj8EEEjLi1ELi64ELi64ELi16ELi2EEEvPcNS1_25CatArrInputTensorMetadataIT_T0_XT2_EXT3_EEENS1_16TensorSizeStrideIS8_Lj4EEEiS8_
	.p2align	8
	.type	_ZN2at6native12_GLOBAL__N_130CatArrayBatchedCopy_vectorizedINS1_10OpaqueTypeILj8EEEjLi1ELi64ELi64ELi16ELi2EEEvPcNS1_25CatArrInputTensorMetadataIT_T0_XT2_EXT3_EEENS1_16TensorSizeStrideIS8_Lj4EEEiS8_,@function
_ZN2at6native12_GLOBAL__N_130CatArrayBatchedCopy_vectorizedINS1_10OpaqueTypeILj8EEEjLi1ELi64ELi64ELi16ELi2EEEvPcNS1_25CatArrInputTensorMetadataIT_T0_XT2_EXT3_EEENS1_16TensorSizeStrideIS8_Lj4EEEiS8_: ; @_ZN2at6native12_GLOBAL__N_130CatArrayBatchedCopy_vectorizedINS1_10OpaqueTypeILj8EEEjLi1ELi64ELi64ELi16ELi2EEEvPcNS1_25CatArrInputTensorMetadataIT_T0_XT2_EXT3_EEENS1_16TensorSizeStrideIS8_Lj4EEEiS8_
; %bb.0:
	s_mov_b32 s0, s7
	s_load_dword s7, s[4:5], 0xd7c
	s_mov_b32 s1, 0
	s_add_u32 s8, s4, 0xd70
	s_addc_u32 s9, s5, 0
	s_lshl_b64 s[2:3], s[0:1], 2
	s_waitcnt lgkmcnt(0)
	s_and_b32 s7, s7, 0xffff
	s_add_u32 s10, s4, s2
	s_addc_u32 s11, s5, s3
	v_mad_u64_u32 v[0:1], null, s6, s7, v[0:1]
	s_load_dword s12, s[10:11], 0x408
	s_add_u32 s0, s10, 8
	s_addc_u32 s10, s11, 0
	s_mov_b32 s11, exec_lo
	s_waitcnt lgkmcnt(0)
	s_lshr_b32 s6, s12, 1
	v_cmpx_gt_u32_e64 s6, v0
	s_cbranch_execz .LBB160_3
; %bb.1:
	s_add_u32 s12, s0, s2
	s_addc_u32 s13, s10, s3
	s_sub_u32 s0, 0, s2
	s_subb_u32 s3, 0, s3
	s_add_u32 s2, s12, s0
	s_addc_u32 s3, s13, s3
	v_mov_b32_e32 v3, 0
	s_clause 0x3
	s_load_dword s0, s[2:3], 0x200
	s_load_dword s10, s[4:5], 0xd6c
	s_load_dwordx2 s[2:3], s[12:13], 0x0
	s_load_dword s12, s[4:5], 0xd58
	s_load_dword s13, s[8:9], 0x0
	s_load_dwordx2 s[8:9], s[4:5], 0x0
	s_waitcnt lgkmcnt(0)
	s_mul_i32 s0, s0, s10
	v_mul_lo_u32 v2, s12, v0
	s_lshr_b32 s0, s0, 1
	s_mul_i32 s4, s13, s7
	s_lshl_b64 s[10:11], s[0:1], 4
	s_add_u32 s5, s8, s10
	s_addc_u32 s7, s9, s11
	s_mul_i32 s8, s4, s12
	.p2align	6
.LBB160_2:                              ; =>This Inner Loop Header: Depth=1
	v_mov_b32_e32 v1, v3
	v_lshlrev_b64 v[8:9], 4, v[2:3]
	v_add_nc_u32_e32 v2, s8, v2
	v_lshlrev_b64 v[4:5], 4, v[0:1]
	v_add_nc_u32_e32 v0, s4, v0
	v_cmp_le_u32_e64 s0, s6, v0
	v_add_co_u32 v4, vcc_lo, s2, v4
	v_add_co_ci_u32_e64 v5, null, s3, v5, vcc_lo
	v_add_co_u32 v8, vcc_lo, s5, v8
	v_add_co_ci_u32_e64 v9, null, s7, v9, vcc_lo
	global_load_dwordx4 v[4:7], v[4:5], off
	s_or_b32 s1, s0, s1
	s_waitcnt vmcnt(0)
	global_store_dwordx4 v[8:9], v[4:7], off
	s_andn2_b32 exec_lo, exec_lo, s1
	s_cbranch_execnz .LBB160_2
.LBB160_3:
	s_endpgm
	.section	.rodata,"a",@progbits
	.p2align	6, 0x0
	.amdhsa_kernel _ZN2at6native12_GLOBAL__N_130CatArrayBatchedCopy_vectorizedINS1_10OpaqueTypeILj8EEEjLi1ELi64ELi64ELi16ELi2EEEvPcNS1_25CatArrInputTensorMetadataIT_T0_XT2_EXT3_EEENS1_16TensorSizeStrideIS8_Lj4EEEiS8_
		.amdhsa_group_segment_fixed_size 0
		.amdhsa_private_segment_fixed_size 0
		.amdhsa_kernarg_size 3696
		.amdhsa_user_sgpr_count 6
		.amdhsa_user_sgpr_private_segment_buffer 1
		.amdhsa_user_sgpr_dispatch_ptr 0
		.amdhsa_user_sgpr_queue_ptr 0
		.amdhsa_user_sgpr_kernarg_segment_ptr 1
		.amdhsa_user_sgpr_dispatch_id 0
		.amdhsa_user_sgpr_flat_scratch_init 0
		.amdhsa_user_sgpr_private_segment_size 0
		.amdhsa_wavefront_size32 1
		.amdhsa_uses_dynamic_stack 0
		.amdhsa_system_sgpr_private_segment_wavefront_offset 0
		.amdhsa_system_sgpr_workgroup_id_x 1
		.amdhsa_system_sgpr_workgroup_id_y 1
		.amdhsa_system_sgpr_workgroup_id_z 0
		.amdhsa_system_sgpr_workgroup_info 0
		.amdhsa_system_vgpr_workitem_id 0
		.amdhsa_next_free_vgpr 10
		.amdhsa_next_free_sgpr 14
		.amdhsa_reserve_vcc 1
		.amdhsa_reserve_flat_scratch 0
		.amdhsa_float_round_mode_32 0
		.amdhsa_float_round_mode_16_64 0
		.amdhsa_float_denorm_mode_32 3
		.amdhsa_float_denorm_mode_16_64 3
		.amdhsa_dx10_clamp 1
		.amdhsa_ieee_mode 1
		.amdhsa_fp16_overflow 0
		.amdhsa_workgroup_processor_mode 1
		.amdhsa_memory_ordered 1
		.amdhsa_forward_progress 1
		.amdhsa_shared_vgpr_count 0
		.amdhsa_exception_fp_ieee_invalid_op 0
		.amdhsa_exception_fp_denorm_src 0
		.amdhsa_exception_fp_ieee_div_zero 0
		.amdhsa_exception_fp_ieee_overflow 0
		.amdhsa_exception_fp_ieee_underflow 0
		.amdhsa_exception_fp_ieee_inexact 0
		.amdhsa_exception_int_div_zero 0
	.end_amdhsa_kernel
	.section	.text._ZN2at6native12_GLOBAL__N_130CatArrayBatchedCopy_vectorizedINS1_10OpaqueTypeILj8EEEjLi1ELi64ELi64ELi16ELi2EEEvPcNS1_25CatArrInputTensorMetadataIT_T0_XT2_EXT3_EEENS1_16TensorSizeStrideIS8_Lj4EEEiS8_,"axG",@progbits,_ZN2at6native12_GLOBAL__N_130CatArrayBatchedCopy_vectorizedINS1_10OpaqueTypeILj8EEEjLi1ELi64ELi64ELi16ELi2EEEvPcNS1_25CatArrInputTensorMetadataIT_T0_XT2_EXT3_EEENS1_16TensorSizeStrideIS8_Lj4EEEiS8_,comdat
.Lfunc_end160:
	.size	_ZN2at6native12_GLOBAL__N_130CatArrayBatchedCopy_vectorizedINS1_10OpaqueTypeILj8EEEjLi1ELi64ELi64ELi16ELi2EEEvPcNS1_25CatArrInputTensorMetadataIT_T0_XT2_EXT3_EEENS1_16TensorSizeStrideIS8_Lj4EEEiS8_, .Lfunc_end160-_ZN2at6native12_GLOBAL__N_130CatArrayBatchedCopy_vectorizedINS1_10OpaqueTypeILj8EEEjLi1ELi64ELi64ELi16ELi2EEEvPcNS1_25CatArrInputTensorMetadataIT_T0_XT2_EXT3_EEENS1_16TensorSizeStrideIS8_Lj4EEEiS8_
                                        ; -- End function
	.set _ZN2at6native12_GLOBAL__N_130CatArrayBatchedCopy_vectorizedINS1_10OpaqueTypeILj8EEEjLi1ELi64ELi64ELi16ELi2EEEvPcNS1_25CatArrInputTensorMetadataIT_T0_XT2_EXT3_EEENS1_16TensorSizeStrideIS8_Lj4EEEiS8_.num_vgpr, 10
	.set _ZN2at6native12_GLOBAL__N_130CatArrayBatchedCopy_vectorizedINS1_10OpaqueTypeILj8EEEjLi1ELi64ELi64ELi16ELi2EEEvPcNS1_25CatArrInputTensorMetadataIT_T0_XT2_EXT3_EEENS1_16TensorSizeStrideIS8_Lj4EEEiS8_.num_agpr, 0
	.set _ZN2at6native12_GLOBAL__N_130CatArrayBatchedCopy_vectorizedINS1_10OpaqueTypeILj8EEEjLi1ELi64ELi64ELi16ELi2EEEvPcNS1_25CatArrInputTensorMetadataIT_T0_XT2_EXT3_EEENS1_16TensorSizeStrideIS8_Lj4EEEiS8_.numbered_sgpr, 14
	.set _ZN2at6native12_GLOBAL__N_130CatArrayBatchedCopy_vectorizedINS1_10OpaqueTypeILj8EEEjLi1ELi64ELi64ELi16ELi2EEEvPcNS1_25CatArrInputTensorMetadataIT_T0_XT2_EXT3_EEENS1_16TensorSizeStrideIS8_Lj4EEEiS8_.num_named_barrier, 0
	.set _ZN2at6native12_GLOBAL__N_130CatArrayBatchedCopy_vectorizedINS1_10OpaqueTypeILj8EEEjLi1ELi64ELi64ELi16ELi2EEEvPcNS1_25CatArrInputTensorMetadataIT_T0_XT2_EXT3_EEENS1_16TensorSizeStrideIS8_Lj4EEEiS8_.private_seg_size, 0
	.set _ZN2at6native12_GLOBAL__N_130CatArrayBatchedCopy_vectorizedINS1_10OpaqueTypeILj8EEEjLi1ELi64ELi64ELi16ELi2EEEvPcNS1_25CatArrInputTensorMetadataIT_T0_XT2_EXT3_EEENS1_16TensorSizeStrideIS8_Lj4EEEiS8_.uses_vcc, 1
	.set _ZN2at6native12_GLOBAL__N_130CatArrayBatchedCopy_vectorizedINS1_10OpaqueTypeILj8EEEjLi1ELi64ELi64ELi16ELi2EEEvPcNS1_25CatArrInputTensorMetadataIT_T0_XT2_EXT3_EEENS1_16TensorSizeStrideIS8_Lj4EEEiS8_.uses_flat_scratch, 0
	.set _ZN2at6native12_GLOBAL__N_130CatArrayBatchedCopy_vectorizedINS1_10OpaqueTypeILj8EEEjLi1ELi64ELi64ELi16ELi2EEEvPcNS1_25CatArrInputTensorMetadataIT_T0_XT2_EXT3_EEENS1_16TensorSizeStrideIS8_Lj4EEEiS8_.has_dyn_sized_stack, 0
	.set _ZN2at6native12_GLOBAL__N_130CatArrayBatchedCopy_vectorizedINS1_10OpaqueTypeILj8EEEjLi1ELi64ELi64ELi16ELi2EEEvPcNS1_25CatArrInputTensorMetadataIT_T0_XT2_EXT3_EEENS1_16TensorSizeStrideIS8_Lj4EEEiS8_.has_recursion, 0
	.set _ZN2at6native12_GLOBAL__N_130CatArrayBatchedCopy_vectorizedINS1_10OpaqueTypeILj8EEEjLi1ELi64ELi64ELi16ELi2EEEvPcNS1_25CatArrInputTensorMetadataIT_T0_XT2_EXT3_EEENS1_16TensorSizeStrideIS8_Lj4EEEiS8_.has_indirect_call, 0
	.section	.AMDGPU.csdata,"",@progbits
; Kernel info:
; codeLenInByte = 360
; TotalNumSgprs: 16
; NumVgprs: 10
; ScratchSize: 0
; MemoryBound: 0
; FloatMode: 240
; IeeeMode: 1
; LDSByteSize: 0 bytes/workgroup (compile time only)
; SGPRBlocks: 0
; VGPRBlocks: 1
; NumSGPRsForWavesPerEU: 16
; NumVGPRsForWavesPerEU: 10
; Occupancy: 16
; WaveLimiterHint : 1
; COMPUTE_PGM_RSRC2:SCRATCH_EN: 0
; COMPUTE_PGM_RSRC2:USER_SGPR: 6
; COMPUTE_PGM_RSRC2:TRAP_HANDLER: 0
; COMPUTE_PGM_RSRC2:TGID_X_EN: 1
; COMPUTE_PGM_RSRC2:TGID_Y_EN: 1
; COMPUTE_PGM_RSRC2:TGID_Z_EN: 0
; COMPUTE_PGM_RSRC2:TIDIG_COMP_CNT: 0
	.section	.text._ZN2at6native12_GLOBAL__N_135CatArrayBatchedCopy_alignedK_contigINS1_10OpaqueTypeILj8EEEjLi1ELi64ELi64ELi16EEEvPT_NS1_25CatArrInputTensorMetadataIS5_T0_XT2_EXT3_EEENS1_16TensorSizeStrideIS8_Lj4EEEiS8_,"axG",@progbits,_ZN2at6native12_GLOBAL__N_135CatArrayBatchedCopy_alignedK_contigINS1_10OpaqueTypeILj8EEEjLi1ELi64ELi64ELi16EEEvPT_NS1_25CatArrInputTensorMetadataIS5_T0_XT2_EXT3_EEENS1_16TensorSizeStrideIS8_Lj4EEEiS8_,comdat
	.globl	_ZN2at6native12_GLOBAL__N_135CatArrayBatchedCopy_alignedK_contigINS1_10OpaqueTypeILj8EEEjLi1ELi64ELi64ELi16EEEvPT_NS1_25CatArrInputTensorMetadataIS5_T0_XT2_EXT3_EEENS1_16TensorSizeStrideIS8_Lj4EEEiS8_ ; -- Begin function _ZN2at6native12_GLOBAL__N_135CatArrayBatchedCopy_alignedK_contigINS1_10OpaqueTypeILj8EEEjLi1ELi64ELi64ELi16EEEvPT_NS1_25CatArrInputTensorMetadataIS5_T0_XT2_EXT3_EEENS1_16TensorSizeStrideIS8_Lj4EEEiS8_
	.p2align	8
	.type	_ZN2at6native12_GLOBAL__N_135CatArrayBatchedCopy_alignedK_contigINS1_10OpaqueTypeILj8EEEjLi1ELi64ELi64ELi16EEEvPT_NS1_25CatArrInputTensorMetadataIS5_T0_XT2_EXT3_EEENS1_16TensorSizeStrideIS8_Lj4EEEiS8_,@function
_ZN2at6native12_GLOBAL__N_135CatArrayBatchedCopy_alignedK_contigINS1_10OpaqueTypeILj8EEEjLi1ELi64ELi64ELi16EEEvPT_NS1_25CatArrInputTensorMetadataIS5_T0_XT2_EXT3_EEENS1_16TensorSizeStrideIS8_Lj4EEEiS8_: ; @_ZN2at6native12_GLOBAL__N_135CatArrayBatchedCopy_alignedK_contigINS1_10OpaqueTypeILj8EEEjLi1ELi64ELi64ELi16EEEvPT_NS1_25CatArrInputTensorMetadataIS5_T0_XT2_EXT3_EEENS1_16TensorSizeStrideIS8_Lj4EEEiS8_
; %bb.0:
	s_mov_b32 s2, s7
	s_load_dword s7, s[4:5], 0xd7c
	s_mov_b32 s3, 0
	s_add_u32 s0, s4, 0xd70
	s_addc_u32 s1, s5, 0
	s_lshl_b64 s[2:3], s[2:3], 2
	s_mov_b32 s8, exec_lo
	s_waitcnt lgkmcnt(0)
	s_and_b32 s10, s7, 0xffff
	s_add_u32 s12, s4, s2
	s_addc_u32 s13, s5, s3
	v_mad_u64_u32 v[1:2], null, s6, s10, v[0:1]
	s_load_dword s9, s[12:13], 0x408
	s_add_u32 s6, s12, 8
	s_addc_u32 s7, s13, 0
	v_lshlrev_b32_e32 v0, 1, v1
	s_waitcnt lgkmcnt(0)
	v_cmpx_gt_u32_e64 s9, v0
	s_cbranch_execz .LBB161_8
; %bb.1:
	s_add_u32 s6, s6, s2
	s_addc_u32 s7, s7, s3
	s_sub_u32 s2, 0, s2
	s_subb_u32 s3, 0, s3
	s_add_u32 s2, s6, s2
	s_addc_u32 s3, s7, s3
	v_add_nc_u32_e32 v2, 2, v0
	s_clause 0x4
	s_load_dword s8, s[2:3], 0x200
	s_load_dwordx2 s[2:3], s[4:5], 0x0
	s_load_dword s11, s[4:5], 0xd6c
	s_load_dwordx2 s[6:7], s[6:7], 0x0
	s_load_dword s4, s[4:5], 0xd58
	s_mov_b32 s5, exec_lo
	s_waitcnt lgkmcnt(0)
	s_mul_i32 s8, s8, s11
	v_cmpx_ge_u32_e64 s9, v2
	s_cbranch_execz .LBB161_5
; %bb.2:
	s_load_dword s0, s[0:1], 0x0
	v_mul_lo_u32 v4, s4, v1
	v_mad_u64_u32 v[2:3], null, s4, v0, s[4:5]
	v_mov_b32_e32 v1, 0
	s_mov_b32 s1, 0
	s_mov_b32 s12, s8
	v_lshlrev_b32_e32 v3, 1, v4
	s_waitcnt lgkmcnt(0)
	s_mul_i32 s0, s0, s10
	s_mul_i32 s11, s0, s4
	s_lshl_b32 s10, s0, 1
	s_lshl_b32 s11, s11, 1
	s_inst_prefetch 0x1
	.p2align	6
.LBB161_3:                              ; =>This Inner Loop Header: Depth=1
	v_lshlrev_b64 v[4:5], 3, v[0:1]
	v_add_nc_u32_e32 v8, s12, v3
	v_mov_b32_e32 v9, v1
	v_add_nc_u32_e32 v0, s10, v0
	v_add_nc_u32_e32 v10, s12, v2
	v_mov_b32_e32 v11, v1
	v_add_co_u32 v4, vcc_lo, s6, v4
	v_add_co_ci_u32_e64 v5, null, s7, v5, vcc_lo
	v_lshlrev_b64 v[8:9], 3, v[8:9]
	v_add_nc_u32_e32 v12, 2, v0
	v_lshlrev_b64 v[10:11], 3, v[10:11]
	global_load_dwordx4 v[4:7], v[4:5], off
	s_add_i32 s12, s12, s11
	v_add_co_u32 v8, s0, s2, v8
	v_cmp_lt_u32_e32 vcc_lo, s9, v12
	v_add_co_ci_u32_e64 v9, null, s3, v9, s0
	v_add_co_u32 v10, s0, s2, v10
	v_add_co_ci_u32_e64 v11, null, s3, v11, s0
	s_or_b32 s1, vcc_lo, s1
	s_waitcnt vmcnt(0)
	global_store_dwordx2 v[8:9], v[4:5], off
	global_store_dwordx2 v[10:11], v[6:7], off
	s_andn2_b32 exec_lo, exec_lo, s1
	s_cbranch_execnz .LBB161_3
; %bb.4:
	s_inst_prefetch 0x2
	s_or_b32 exec_lo, exec_lo, s1
.LBB161_5:
	s_or_b32 exec_lo, exec_lo, s5
	v_cmp_gt_u32_e32 vcc_lo, s9, v0
	s_and_b32 exec_lo, exec_lo, vcc_lo
	s_cbranch_execz .LBB161_8
; %bb.6:
	v_mov_b32_e32 v2, 0
	v_mad_u64_u32 v[5:6], null, v0, s4, s[8:9]
	s_mov_b32 s1, 0
	v_mov_b32_e32 v1, v2
	v_lshlrev_b64 v[3:4], 3, v[0:1]
	v_mov_b32_e32 v1, v5
	v_add_co_u32 v3, vcc_lo, s6, v3
	v_add_co_ci_u32_e64 v4, null, s7, v4, vcc_lo
	.p2align	6
.LBB161_7:                              ; =>This Inner Loop Header: Depth=1
	global_load_dwordx2 v[5:6], v[3:4], off
	v_lshlrev_b64 v[7:8], 3, v[1:2]
	v_add_nc_u32_e32 v0, 1, v0
	v_add_co_u32 v3, vcc_lo, v3, 8
	v_add_co_ci_u32_e64 v4, null, 0, v4, vcc_lo
	v_cmp_le_u32_e32 vcc_lo, s9, v0
	v_add_co_u32 v7, s0, s2, v7
	v_add_co_ci_u32_e64 v8, null, s3, v8, s0
	v_add_nc_u32_e32 v1, s4, v1
	s_or_b32 s1, vcc_lo, s1
	s_waitcnt vmcnt(0)
	global_store_dwordx2 v[7:8], v[5:6], off
	s_andn2_b32 exec_lo, exec_lo, s1
	s_cbranch_execnz .LBB161_7
.LBB161_8:
	s_endpgm
	.section	.rodata,"a",@progbits
	.p2align	6, 0x0
	.amdhsa_kernel _ZN2at6native12_GLOBAL__N_135CatArrayBatchedCopy_alignedK_contigINS1_10OpaqueTypeILj8EEEjLi1ELi64ELi64ELi16EEEvPT_NS1_25CatArrInputTensorMetadataIS5_T0_XT2_EXT3_EEENS1_16TensorSizeStrideIS8_Lj4EEEiS8_
		.amdhsa_group_segment_fixed_size 0
		.amdhsa_private_segment_fixed_size 0
		.amdhsa_kernarg_size 3696
		.amdhsa_user_sgpr_count 6
		.amdhsa_user_sgpr_private_segment_buffer 1
		.amdhsa_user_sgpr_dispatch_ptr 0
		.amdhsa_user_sgpr_queue_ptr 0
		.amdhsa_user_sgpr_kernarg_segment_ptr 1
		.amdhsa_user_sgpr_dispatch_id 0
		.amdhsa_user_sgpr_flat_scratch_init 0
		.amdhsa_user_sgpr_private_segment_size 0
		.amdhsa_wavefront_size32 1
		.amdhsa_uses_dynamic_stack 0
		.amdhsa_system_sgpr_private_segment_wavefront_offset 0
		.amdhsa_system_sgpr_workgroup_id_x 1
		.amdhsa_system_sgpr_workgroup_id_y 1
		.amdhsa_system_sgpr_workgroup_id_z 0
		.amdhsa_system_sgpr_workgroup_info 0
		.amdhsa_system_vgpr_workitem_id 0
		.amdhsa_next_free_vgpr 13
		.amdhsa_next_free_sgpr 14
		.amdhsa_reserve_vcc 1
		.amdhsa_reserve_flat_scratch 0
		.amdhsa_float_round_mode_32 0
		.amdhsa_float_round_mode_16_64 0
		.amdhsa_float_denorm_mode_32 3
		.amdhsa_float_denorm_mode_16_64 3
		.amdhsa_dx10_clamp 1
		.amdhsa_ieee_mode 1
		.amdhsa_fp16_overflow 0
		.amdhsa_workgroup_processor_mode 1
		.amdhsa_memory_ordered 1
		.amdhsa_forward_progress 1
		.amdhsa_shared_vgpr_count 0
		.amdhsa_exception_fp_ieee_invalid_op 0
		.amdhsa_exception_fp_denorm_src 0
		.amdhsa_exception_fp_ieee_div_zero 0
		.amdhsa_exception_fp_ieee_overflow 0
		.amdhsa_exception_fp_ieee_underflow 0
		.amdhsa_exception_fp_ieee_inexact 0
		.amdhsa_exception_int_div_zero 0
	.end_amdhsa_kernel
	.section	.text._ZN2at6native12_GLOBAL__N_135CatArrayBatchedCopy_alignedK_contigINS1_10OpaqueTypeILj8EEEjLi1ELi64ELi64ELi16EEEvPT_NS1_25CatArrInputTensorMetadataIS5_T0_XT2_EXT3_EEENS1_16TensorSizeStrideIS8_Lj4EEEiS8_,"axG",@progbits,_ZN2at6native12_GLOBAL__N_135CatArrayBatchedCopy_alignedK_contigINS1_10OpaqueTypeILj8EEEjLi1ELi64ELi64ELi16EEEvPT_NS1_25CatArrInputTensorMetadataIS5_T0_XT2_EXT3_EEENS1_16TensorSizeStrideIS8_Lj4EEEiS8_,comdat
.Lfunc_end161:
	.size	_ZN2at6native12_GLOBAL__N_135CatArrayBatchedCopy_alignedK_contigINS1_10OpaqueTypeILj8EEEjLi1ELi64ELi64ELi16EEEvPT_NS1_25CatArrInputTensorMetadataIS5_T0_XT2_EXT3_EEENS1_16TensorSizeStrideIS8_Lj4EEEiS8_, .Lfunc_end161-_ZN2at6native12_GLOBAL__N_135CatArrayBatchedCopy_alignedK_contigINS1_10OpaqueTypeILj8EEEjLi1ELi64ELi64ELi16EEEvPT_NS1_25CatArrInputTensorMetadataIS5_T0_XT2_EXT3_EEENS1_16TensorSizeStrideIS8_Lj4EEEiS8_
                                        ; -- End function
	.set _ZN2at6native12_GLOBAL__N_135CatArrayBatchedCopy_alignedK_contigINS1_10OpaqueTypeILj8EEEjLi1ELi64ELi64ELi16EEEvPT_NS1_25CatArrInputTensorMetadataIS5_T0_XT2_EXT3_EEENS1_16TensorSizeStrideIS8_Lj4EEEiS8_.num_vgpr, 13
	.set _ZN2at6native12_GLOBAL__N_135CatArrayBatchedCopy_alignedK_contigINS1_10OpaqueTypeILj8EEEjLi1ELi64ELi64ELi16EEEvPT_NS1_25CatArrInputTensorMetadataIS5_T0_XT2_EXT3_EEENS1_16TensorSizeStrideIS8_Lj4EEEiS8_.num_agpr, 0
	.set _ZN2at6native12_GLOBAL__N_135CatArrayBatchedCopy_alignedK_contigINS1_10OpaqueTypeILj8EEEjLi1ELi64ELi64ELi16EEEvPT_NS1_25CatArrInputTensorMetadataIS5_T0_XT2_EXT3_EEENS1_16TensorSizeStrideIS8_Lj4EEEiS8_.numbered_sgpr, 14
	.set _ZN2at6native12_GLOBAL__N_135CatArrayBatchedCopy_alignedK_contigINS1_10OpaqueTypeILj8EEEjLi1ELi64ELi64ELi16EEEvPT_NS1_25CatArrInputTensorMetadataIS5_T0_XT2_EXT3_EEENS1_16TensorSizeStrideIS8_Lj4EEEiS8_.num_named_barrier, 0
	.set _ZN2at6native12_GLOBAL__N_135CatArrayBatchedCopy_alignedK_contigINS1_10OpaqueTypeILj8EEEjLi1ELi64ELi64ELi16EEEvPT_NS1_25CatArrInputTensorMetadataIS5_T0_XT2_EXT3_EEENS1_16TensorSizeStrideIS8_Lj4EEEiS8_.private_seg_size, 0
	.set _ZN2at6native12_GLOBAL__N_135CatArrayBatchedCopy_alignedK_contigINS1_10OpaqueTypeILj8EEEjLi1ELi64ELi64ELi16EEEvPT_NS1_25CatArrInputTensorMetadataIS5_T0_XT2_EXT3_EEENS1_16TensorSizeStrideIS8_Lj4EEEiS8_.uses_vcc, 1
	.set _ZN2at6native12_GLOBAL__N_135CatArrayBatchedCopy_alignedK_contigINS1_10OpaqueTypeILj8EEEjLi1ELi64ELi64ELi16EEEvPT_NS1_25CatArrInputTensorMetadataIS5_T0_XT2_EXT3_EEENS1_16TensorSizeStrideIS8_Lj4EEEiS8_.uses_flat_scratch, 0
	.set _ZN2at6native12_GLOBAL__N_135CatArrayBatchedCopy_alignedK_contigINS1_10OpaqueTypeILj8EEEjLi1ELi64ELi64ELi16EEEvPT_NS1_25CatArrInputTensorMetadataIS5_T0_XT2_EXT3_EEENS1_16TensorSizeStrideIS8_Lj4EEEiS8_.has_dyn_sized_stack, 0
	.set _ZN2at6native12_GLOBAL__N_135CatArrayBatchedCopy_alignedK_contigINS1_10OpaqueTypeILj8EEEjLi1ELi64ELi64ELi16EEEvPT_NS1_25CatArrInputTensorMetadataIS5_T0_XT2_EXT3_EEENS1_16TensorSizeStrideIS8_Lj4EEEiS8_.has_recursion, 0
	.set _ZN2at6native12_GLOBAL__N_135CatArrayBatchedCopy_alignedK_contigINS1_10OpaqueTypeILj8EEEjLi1ELi64ELi64ELi16EEEvPT_NS1_25CatArrInputTensorMetadataIS5_T0_XT2_EXT3_EEENS1_16TensorSizeStrideIS8_Lj4EEEiS8_.has_indirect_call, 0
	.section	.AMDGPU.csdata,"",@progbits
; Kernel info:
; codeLenInByte = 664
; TotalNumSgprs: 16
; NumVgprs: 13
; ScratchSize: 0
; MemoryBound: 0
; FloatMode: 240
; IeeeMode: 1
; LDSByteSize: 0 bytes/workgroup (compile time only)
; SGPRBlocks: 0
; VGPRBlocks: 1
; NumSGPRsForWavesPerEU: 16
; NumVGPRsForWavesPerEU: 13
; Occupancy: 16
; WaveLimiterHint : 1
; COMPUTE_PGM_RSRC2:SCRATCH_EN: 0
; COMPUTE_PGM_RSRC2:USER_SGPR: 6
; COMPUTE_PGM_RSRC2:TRAP_HANDLER: 0
; COMPUTE_PGM_RSRC2:TGID_X_EN: 1
; COMPUTE_PGM_RSRC2:TGID_Y_EN: 1
; COMPUTE_PGM_RSRC2:TGID_Z_EN: 0
; COMPUTE_PGM_RSRC2:TIDIG_COMP_CNT: 0
	.section	.text._ZN2at6native12_GLOBAL__N_135CatArrayBatchedCopy_alignedK_contigINS1_10OpaqueTypeILj8EEEjLi1ELi64ELi64ELi8EEEvPT_NS1_25CatArrInputTensorMetadataIS5_T0_XT2_EXT3_EEENS1_16TensorSizeStrideIS8_Lj4EEEiS8_,"axG",@progbits,_ZN2at6native12_GLOBAL__N_135CatArrayBatchedCopy_alignedK_contigINS1_10OpaqueTypeILj8EEEjLi1ELi64ELi64ELi8EEEvPT_NS1_25CatArrInputTensorMetadataIS5_T0_XT2_EXT3_EEENS1_16TensorSizeStrideIS8_Lj4EEEiS8_,comdat
	.globl	_ZN2at6native12_GLOBAL__N_135CatArrayBatchedCopy_alignedK_contigINS1_10OpaqueTypeILj8EEEjLi1ELi64ELi64ELi8EEEvPT_NS1_25CatArrInputTensorMetadataIS5_T0_XT2_EXT3_EEENS1_16TensorSizeStrideIS8_Lj4EEEiS8_ ; -- Begin function _ZN2at6native12_GLOBAL__N_135CatArrayBatchedCopy_alignedK_contigINS1_10OpaqueTypeILj8EEEjLi1ELi64ELi64ELi8EEEvPT_NS1_25CatArrInputTensorMetadataIS5_T0_XT2_EXT3_EEENS1_16TensorSizeStrideIS8_Lj4EEEiS8_
	.p2align	8
	.type	_ZN2at6native12_GLOBAL__N_135CatArrayBatchedCopy_alignedK_contigINS1_10OpaqueTypeILj8EEEjLi1ELi64ELi64ELi8EEEvPT_NS1_25CatArrInputTensorMetadataIS5_T0_XT2_EXT3_EEENS1_16TensorSizeStrideIS8_Lj4EEEiS8_,@function
_ZN2at6native12_GLOBAL__N_135CatArrayBatchedCopy_alignedK_contigINS1_10OpaqueTypeILj8EEEjLi1ELi64ELi64ELi8EEEvPT_NS1_25CatArrInputTensorMetadataIS5_T0_XT2_EXT3_EEENS1_16TensorSizeStrideIS8_Lj4EEEiS8_: ; @_ZN2at6native12_GLOBAL__N_135CatArrayBatchedCopy_alignedK_contigINS1_10OpaqueTypeILj8EEEjLi1ELi64ELi64ELi8EEEvPT_NS1_25CatArrInputTensorMetadataIS5_T0_XT2_EXT3_EEENS1_16TensorSizeStrideIS8_Lj4EEEiS8_
; %bb.0:
	s_mov_b32 s0, s7
	s_load_dword s7, s[4:5], 0xd7c
	s_mov_b32 s1, 0
	s_add_u32 s2, s4, 0xd70
	s_addc_u32 s3, s5, 0
	s_lshl_b64 s[8:9], s[0:1], 2
	s_mov_b32 s11, exec_lo
	s_waitcnt lgkmcnt(0)
	s_and_b32 s0, s7, 0xffff
	s_add_u32 s12, s4, s8
	s_addc_u32 s13, s5, s9
	v_mad_u64_u32 v[0:1], null, s6, s0, v[0:1]
	s_load_dword s10, s[12:13], 0x408
	s_add_u32 s6, s12, 8
	s_addc_u32 s7, s13, 0
	s_waitcnt lgkmcnt(0)
	v_cmpx_gt_u32_e64 s10, v0
	s_cbranch_execz .LBB162_6
; %bb.1:
	s_add_u32 s12, s6, s8
	s_addc_u32 s13, s7, s9
	s_sub_u32 s8, 0, s8
	s_clause 0x1
	s_load_dwordx2 s[6:7], s[12:13], 0x0
	s_load_dword s11, s[4:5], 0xd58
	s_subb_u32 s9, 0, s9
	s_add_u32 s8, s12, s8
	s_addc_u32 s9, s13, s9
	s_clause 0x1
	s_load_dword s12, s[4:5], 0xd6c
	s_load_dword s8, s[8:9], 0x200
	;; [unrolled: 1-line block ×3, first 2 shown]
	s_load_dwordx2 s[2:3], s[4:5], 0x0
	s_waitcnt lgkmcnt(0)
	v_mul_lo_u32 v1, s11, v0
	s_mul_i32 s4, s9, s0
	s_mul_i32 s5, s4, s11
	v_mad_u64_u32 v[2:3], null, s8, s12, v[1:2]
	v_mov_b32_e32 v1, 0
	.p2align	6
.LBB162_2:                              ; =>This Inner Loop Header: Depth=1
	v_lshlrev_b64 v[3:4], 3, v[0:1]
	v_add_nc_u32_e32 v0, s4, v0
	v_add_nc_u32_e32 v8, 1, v0
	v_add_co_u32 v3, vcc_lo, s6, v3
	v_add_co_ci_u32_e64 v4, null, s7, v4, vcc_lo
	v_cmp_lt_u32_e32 vcc_lo, s10, v8
	global_load_dwordx2 v[4:5], v[3:4], off
	v_mov_b32_e32 v3, v1
	s_or_b32 s1, vcc_lo, s1
	v_lshlrev_b64 v[6:7], 3, v[2:3]
	v_add_nc_u32_e32 v2, s5, v2
	v_add_co_u32 v6, s0, s2, v6
	v_add_co_ci_u32_e64 v7, null, s3, v7, s0
	s_waitcnt vmcnt(0)
	global_store_dwordx2 v[6:7], v[4:5], off
	s_andn2_b32 exec_lo, exec_lo, s1
	s_cbranch_execnz .LBB162_2
; %bb.3:
	s_or_b32 exec_lo, exec_lo, s1
	v_cmp_gt_u32_e32 vcc_lo, s10, v0
	s_and_b32 exec_lo, exec_lo, vcc_lo
	s_cbranch_execz .LBB162_6
; %bb.4:
	v_mov_b32_e32 v3, 0
	s_mov_b32 s1, 0
	v_mov_b32_e32 v1, v3
	v_lshlrev_b64 v[4:5], 3, v[0:1]
	v_add_co_u32 v4, vcc_lo, s6, v4
	v_add_co_ci_u32_e64 v5, null, s7, v5, vcc_lo
	.p2align	6
.LBB162_5:                              ; =>This Inner Loop Header: Depth=1
	global_load_dwordx2 v[6:7], v[4:5], off
	v_lshlrev_b64 v[8:9], 3, v[2:3]
	v_add_nc_u32_e32 v0, 1, v0
	v_add_co_u32 v4, vcc_lo, v4, 8
	v_add_co_ci_u32_e64 v5, null, 0, v5, vcc_lo
	v_cmp_le_u32_e32 vcc_lo, s10, v0
	v_add_co_u32 v8, s0, s2, v8
	v_add_co_ci_u32_e64 v9, null, s3, v9, s0
	v_add_nc_u32_e32 v2, s11, v2
	s_or_b32 s1, vcc_lo, s1
	s_waitcnt vmcnt(0)
	global_store_dwordx2 v[8:9], v[6:7], off
	s_andn2_b32 exec_lo, exec_lo, s1
	s_cbranch_execnz .LBB162_5
.LBB162_6:
	s_endpgm
	.section	.rodata,"a",@progbits
	.p2align	6, 0x0
	.amdhsa_kernel _ZN2at6native12_GLOBAL__N_135CatArrayBatchedCopy_alignedK_contigINS1_10OpaqueTypeILj8EEEjLi1ELi64ELi64ELi8EEEvPT_NS1_25CatArrInputTensorMetadataIS5_T0_XT2_EXT3_EEENS1_16TensorSizeStrideIS8_Lj4EEEiS8_
		.amdhsa_group_segment_fixed_size 0
		.amdhsa_private_segment_fixed_size 0
		.amdhsa_kernarg_size 3696
		.amdhsa_user_sgpr_count 6
		.amdhsa_user_sgpr_private_segment_buffer 1
		.amdhsa_user_sgpr_dispatch_ptr 0
		.amdhsa_user_sgpr_queue_ptr 0
		.amdhsa_user_sgpr_kernarg_segment_ptr 1
		.amdhsa_user_sgpr_dispatch_id 0
		.amdhsa_user_sgpr_flat_scratch_init 0
		.amdhsa_user_sgpr_private_segment_size 0
		.amdhsa_wavefront_size32 1
		.amdhsa_uses_dynamic_stack 0
		.amdhsa_system_sgpr_private_segment_wavefront_offset 0
		.amdhsa_system_sgpr_workgroup_id_x 1
		.amdhsa_system_sgpr_workgroup_id_y 1
		.amdhsa_system_sgpr_workgroup_id_z 0
		.amdhsa_system_sgpr_workgroup_info 0
		.amdhsa_system_vgpr_workitem_id 0
		.amdhsa_next_free_vgpr 10
		.amdhsa_next_free_sgpr 14
		.amdhsa_reserve_vcc 1
		.amdhsa_reserve_flat_scratch 0
		.amdhsa_float_round_mode_32 0
		.amdhsa_float_round_mode_16_64 0
		.amdhsa_float_denorm_mode_32 3
		.amdhsa_float_denorm_mode_16_64 3
		.amdhsa_dx10_clamp 1
		.amdhsa_ieee_mode 1
		.amdhsa_fp16_overflow 0
		.amdhsa_workgroup_processor_mode 1
		.amdhsa_memory_ordered 1
		.amdhsa_forward_progress 1
		.amdhsa_shared_vgpr_count 0
		.amdhsa_exception_fp_ieee_invalid_op 0
		.amdhsa_exception_fp_denorm_src 0
		.amdhsa_exception_fp_ieee_div_zero 0
		.amdhsa_exception_fp_ieee_overflow 0
		.amdhsa_exception_fp_ieee_underflow 0
		.amdhsa_exception_fp_ieee_inexact 0
		.amdhsa_exception_int_div_zero 0
	.end_amdhsa_kernel
	.section	.text._ZN2at6native12_GLOBAL__N_135CatArrayBatchedCopy_alignedK_contigINS1_10OpaqueTypeILj8EEEjLi1ELi64ELi64ELi8EEEvPT_NS1_25CatArrInputTensorMetadataIS5_T0_XT2_EXT3_EEENS1_16TensorSizeStrideIS8_Lj4EEEiS8_,"axG",@progbits,_ZN2at6native12_GLOBAL__N_135CatArrayBatchedCopy_alignedK_contigINS1_10OpaqueTypeILj8EEEjLi1ELi64ELi64ELi8EEEvPT_NS1_25CatArrInputTensorMetadataIS5_T0_XT2_EXT3_EEENS1_16TensorSizeStrideIS8_Lj4EEEiS8_,comdat
.Lfunc_end162:
	.size	_ZN2at6native12_GLOBAL__N_135CatArrayBatchedCopy_alignedK_contigINS1_10OpaqueTypeILj8EEEjLi1ELi64ELi64ELi8EEEvPT_NS1_25CatArrInputTensorMetadataIS5_T0_XT2_EXT3_EEENS1_16TensorSizeStrideIS8_Lj4EEEiS8_, .Lfunc_end162-_ZN2at6native12_GLOBAL__N_135CatArrayBatchedCopy_alignedK_contigINS1_10OpaqueTypeILj8EEEjLi1ELi64ELi64ELi8EEEvPT_NS1_25CatArrInputTensorMetadataIS5_T0_XT2_EXT3_EEENS1_16TensorSizeStrideIS8_Lj4EEEiS8_
                                        ; -- End function
	.set _ZN2at6native12_GLOBAL__N_135CatArrayBatchedCopy_alignedK_contigINS1_10OpaqueTypeILj8EEEjLi1ELi64ELi64ELi8EEEvPT_NS1_25CatArrInputTensorMetadataIS5_T0_XT2_EXT3_EEENS1_16TensorSizeStrideIS8_Lj4EEEiS8_.num_vgpr, 10
	.set _ZN2at6native12_GLOBAL__N_135CatArrayBatchedCopy_alignedK_contigINS1_10OpaqueTypeILj8EEEjLi1ELi64ELi64ELi8EEEvPT_NS1_25CatArrInputTensorMetadataIS5_T0_XT2_EXT3_EEENS1_16TensorSizeStrideIS8_Lj4EEEiS8_.num_agpr, 0
	.set _ZN2at6native12_GLOBAL__N_135CatArrayBatchedCopy_alignedK_contigINS1_10OpaqueTypeILj8EEEjLi1ELi64ELi64ELi8EEEvPT_NS1_25CatArrInputTensorMetadataIS5_T0_XT2_EXT3_EEENS1_16TensorSizeStrideIS8_Lj4EEEiS8_.numbered_sgpr, 14
	.set _ZN2at6native12_GLOBAL__N_135CatArrayBatchedCopy_alignedK_contigINS1_10OpaqueTypeILj8EEEjLi1ELi64ELi64ELi8EEEvPT_NS1_25CatArrInputTensorMetadataIS5_T0_XT2_EXT3_EEENS1_16TensorSizeStrideIS8_Lj4EEEiS8_.num_named_barrier, 0
	.set _ZN2at6native12_GLOBAL__N_135CatArrayBatchedCopy_alignedK_contigINS1_10OpaqueTypeILj8EEEjLi1ELi64ELi64ELi8EEEvPT_NS1_25CatArrInputTensorMetadataIS5_T0_XT2_EXT3_EEENS1_16TensorSizeStrideIS8_Lj4EEEiS8_.private_seg_size, 0
	.set _ZN2at6native12_GLOBAL__N_135CatArrayBatchedCopy_alignedK_contigINS1_10OpaqueTypeILj8EEEjLi1ELi64ELi64ELi8EEEvPT_NS1_25CatArrInputTensorMetadataIS5_T0_XT2_EXT3_EEENS1_16TensorSizeStrideIS8_Lj4EEEiS8_.uses_vcc, 1
	.set _ZN2at6native12_GLOBAL__N_135CatArrayBatchedCopy_alignedK_contigINS1_10OpaqueTypeILj8EEEjLi1ELi64ELi64ELi8EEEvPT_NS1_25CatArrInputTensorMetadataIS5_T0_XT2_EXT3_EEENS1_16TensorSizeStrideIS8_Lj4EEEiS8_.uses_flat_scratch, 0
	.set _ZN2at6native12_GLOBAL__N_135CatArrayBatchedCopy_alignedK_contigINS1_10OpaqueTypeILj8EEEjLi1ELi64ELi64ELi8EEEvPT_NS1_25CatArrInputTensorMetadataIS5_T0_XT2_EXT3_EEENS1_16TensorSizeStrideIS8_Lj4EEEiS8_.has_dyn_sized_stack, 0
	.set _ZN2at6native12_GLOBAL__N_135CatArrayBatchedCopy_alignedK_contigINS1_10OpaqueTypeILj8EEEjLi1ELi64ELi64ELi8EEEvPT_NS1_25CatArrInputTensorMetadataIS5_T0_XT2_EXT3_EEENS1_16TensorSizeStrideIS8_Lj4EEEiS8_.has_recursion, 0
	.set _ZN2at6native12_GLOBAL__N_135CatArrayBatchedCopy_alignedK_contigINS1_10OpaqueTypeILj8EEEjLi1ELi64ELi64ELi8EEEvPT_NS1_25CatArrInputTensorMetadataIS5_T0_XT2_EXT3_EEENS1_16TensorSizeStrideIS8_Lj4EEEiS8_.has_indirect_call, 0
	.section	.AMDGPU.csdata,"",@progbits
; Kernel info:
; codeLenInByte = 536
; TotalNumSgprs: 16
; NumVgprs: 10
; ScratchSize: 0
; MemoryBound: 0
; FloatMode: 240
; IeeeMode: 1
; LDSByteSize: 0 bytes/workgroup (compile time only)
; SGPRBlocks: 0
; VGPRBlocks: 1
; NumSGPRsForWavesPerEU: 16
; NumVGPRsForWavesPerEU: 10
; Occupancy: 16
; WaveLimiterHint : 1
; COMPUTE_PGM_RSRC2:SCRATCH_EN: 0
; COMPUTE_PGM_RSRC2:USER_SGPR: 6
; COMPUTE_PGM_RSRC2:TRAP_HANDLER: 0
; COMPUTE_PGM_RSRC2:TGID_X_EN: 1
; COMPUTE_PGM_RSRC2:TGID_Y_EN: 1
; COMPUTE_PGM_RSRC2:TGID_Z_EN: 0
; COMPUTE_PGM_RSRC2:TIDIG_COMP_CNT: 0
	.section	.text._ZN2at6native12_GLOBAL__N_126CatArrayBatchedCopy_contigINS1_10OpaqueTypeILj8EEEjLi1ELi64ELi64EEEvPT_NS1_25CatArrInputTensorMetadataIS5_T0_XT2_EXT3_EEENS1_16TensorSizeStrideIS8_Lj4EEEiS8_,"axG",@progbits,_ZN2at6native12_GLOBAL__N_126CatArrayBatchedCopy_contigINS1_10OpaqueTypeILj8EEEjLi1ELi64ELi64EEEvPT_NS1_25CatArrInputTensorMetadataIS5_T0_XT2_EXT3_EEENS1_16TensorSizeStrideIS8_Lj4EEEiS8_,comdat
	.globl	_ZN2at6native12_GLOBAL__N_126CatArrayBatchedCopy_contigINS1_10OpaqueTypeILj8EEEjLi1ELi64ELi64EEEvPT_NS1_25CatArrInputTensorMetadataIS5_T0_XT2_EXT3_EEENS1_16TensorSizeStrideIS8_Lj4EEEiS8_ ; -- Begin function _ZN2at6native12_GLOBAL__N_126CatArrayBatchedCopy_contigINS1_10OpaqueTypeILj8EEEjLi1ELi64ELi64EEEvPT_NS1_25CatArrInputTensorMetadataIS5_T0_XT2_EXT3_EEENS1_16TensorSizeStrideIS8_Lj4EEEiS8_
	.p2align	8
	.type	_ZN2at6native12_GLOBAL__N_126CatArrayBatchedCopy_contigINS1_10OpaqueTypeILj8EEEjLi1ELi64ELi64EEEvPT_NS1_25CatArrInputTensorMetadataIS5_T0_XT2_EXT3_EEENS1_16TensorSizeStrideIS8_Lj4EEEiS8_,@function
_ZN2at6native12_GLOBAL__N_126CatArrayBatchedCopy_contigINS1_10OpaqueTypeILj8EEEjLi1ELi64ELi64EEEvPT_NS1_25CatArrInputTensorMetadataIS5_T0_XT2_EXT3_EEENS1_16TensorSizeStrideIS8_Lj4EEEiS8_: ; @_ZN2at6native12_GLOBAL__N_126CatArrayBatchedCopy_contigINS1_10OpaqueTypeILj8EEEjLi1ELi64ELi64EEEvPT_NS1_25CatArrInputTensorMetadataIS5_T0_XT2_EXT3_EEENS1_16TensorSizeStrideIS8_Lj4EEEiS8_
; %bb.0:
	s_load_dword s2, s[4:5], 0xd7c
	s_mov_b32 s0, s7
	s_mov_b32 s1, 0
	s_add_u32 s8, s4, 0xd70
	s_addc_u32 s9, s5, 0
	s_lshl_b64 s[10:11], s[0:1], 2
	s_waitcnt lgkmcnt(0)
	s_and_b32 s0, s2, 0xffff
	s_add_u32 s2, s4, s10
	s_addc_u32 s3, s5, s11
	v_mad_u64_u32 v[0:1], null, s6, s0, v[0:1]
	s_load_dword s7, s[2:3], 0x408
	s_add_u32 s2, s2, 8
	s_addc_u32 s3, s3, 0
	s_mov_b32 s6, exec_lo
	s_waitcnt lgkmcnt(0)
	v_cmpx_gt_u32_e64 s7, v0
	s_cbranch_execz .LBB163_3
; %bb.1:
	s_add_u32 s12, s2, s10
	s_addc_u32 s13, s3, s11
	s_sub_u32 s6, 0, s10
	s_clause 0x1
	s_load_dwordx2 s[2:3], s[12:13], 0x0
	s_load_dword s14, s[4:5], 0xd58
	s_subb_u32 s11, 0, s11
	s_add_u32 s10, s12, s6
	s_addc_u32 s11, s13, s11
	s_clause 0x1
	s_load_dword s6, s[4:5], 0xd6c
	s_load_dword s10, s[10:11], 0x200
	s_load_dword s8, s[8:9], 0x0
	s_load_dwordx2 s[4:5], s[4:5], 0x0
	s_waitcnt lgkmcnt(0)
	v_mul_lo_u32 v1, s14, v0
	v_mad_u64_u32 v[2:3], null, s10, s6, v[1:2]
	v_mov_b32_e32 v1, 0
	s_mul_i32 s6, s8, s0
	s_mul_i32 s8, s6, s14
	.p2align	6
.LBB163_2:                              ; =>This Inner Loop Header: Depth=1
	v_lshlrev_b64 v[3:4], 3, v[0:1]
	v_add_nc_u32_e32 v0, s6, v0
	v_add_co_u32 v3, vcc_lo, s2, v3
	v_add_co_ci_u32_e64 v4, null, s3, v4, vcc_lo
	v_cmp_le_u32_e32 vcc_lo, s7, v0
	global_load_dwordx2 v[4:5], v[3:4], off
	v_mov_b32_e32 v3, v1
	s_or_b32 s1, vcc_lo, s1
	v_lshlrev_b64 v[6:7], 3, v[2:3]
	v_add_nc_u32_e32 v2, s8, v2
	v_add_co_u32 v6, s0, s4, v6
	v_add_co_ci_u32_e64 v7, null, s5, v7, s0
	s_waitcnt vmcnt(0)
	global_store_dwordx2 v[6:7], v[4:5], off
	s_andn2_b32 exec_lo, exec_lo, s1
	s_cbranch_execnz .LBB163_2
.LBB163_3:
	s_endpgm
	.section	.rodata,"a",@progbits
	.p2align	6, 0x0
	.amdhsa_kernel _ZN2at6native12_GLOBAL__N_126CatArrayBatchedCopy_contigINS1_10OpaqueTypeILj8EEEjLi1ELi64ELi64EEEvPT_NS1_25CatArrInputTensorMetadataIS5_T0_XT2_EXT3_EEENS1_16TensorSizeStrideIS8_Lj4EEEiS8_
		.amdhsa_group_segment_fixed_size 0
		.amdhsa_private_segment_fixed_size 0
		.amdhsa_kernarg_size 3696
		.amdhsa_user_sgpr_count 6
		.amdhsa_user_sgpr_private_segment_buffer 1
		.amdhsa_user_sgpr_dispatch_ptr 0
		.amdhsa_user_sgpr_queue_ptr 0
		.amdhsa_user_sgpr_kernarg_segment_ptr 1
		.amdhsa_user_sgpr_dispatch_id 0
		.amdhsa_user_sgpr_flat_scratch_init 0
		.amdhsa_user_sgpr_private_segment_size 0
		.amdhsa_wavefront_size32 1
		.amdhsa_uses_dynamic_stack 0
		.amdhsa_system_sgpr_private_segment_wavefront_offset 0
		.amdhsa_system_sgpr_workgroup_id_x 1
		.amdhsa_system_sgpr_workgroup_id_y 1
		.amdhsa_system_sgpr_workgroup_id_z 0
		.amdhsa_system_sgpr_workgroup_info 0
		.amdhsa_system_vgpr_workitem_id 0
		.amdhsa_next_free_vgpr 8
		.amdhsa_next_free_sgpr 15
		.amdhsa_reserve_vcc 1
		.amdhsa_reserve_flat_scratch 0
		.amdhsa_float_round_mode_32 0
		.amdhsa_float_round_mode_16_64 0
		.amdhsa_float_denorm_mode_32 3
		.amdhsa_float_denorm_mode_16_64 3
		.amdhsa_dx10_clamp 1
		.amdhsa_ieee_mode 1
		.amdhsa_fp16_overflow 0
		.amdhsa_workgroup_processor_mode 1
		.amdhsa_memory_ordered 1
		.amdhsa_forward_progress 1
		.amdhsa_shared_vgpr_count 0
		.amdhsa_exception_fp_ieee_invalid_op 0
		.amdhsa_exception_fp_denorm_src 0
		.amdhsa_exception_fp_ieee_div_zero 0
		.amdhsa_exception_fp_ieee_overflow 0
		.amdhsa_exception_fp_ieee_underflow 0
		.amdhsa_exception_fp_ieee_inexact 0
		.amdhsa_exception_int_div_zero 0
	.end_amdhsa_kernel
	.section	.text._ZN2at6native12_GLOBAL__N_126CatArrayBatchedCopy_contigINS1_10OpaqueTypeILj8EEEjLi1ELi64ELi64EEEvPT_NS1_25CatArrInputTensorMetadataIS5_T0_XT2_EXT3_EEENS1_16TensorSizeStrideIS8_Lj4EEEiS8_,"axG",@progbits,_ZN2at6native12_GLOBAL__N_126CatArrayBatchedCopy_contigINS1_10OpaqueTypeILj8EEEjLi1ELi64ELi64EEEvPT_NS1_25CatArrInputTensorMetadataIS5_T0_XT2_EXT3_EEENS1_16TensorSizeStrideIS8_Lj4EEEiS8_,comdat
.Lfunc_end163:
	.size	_ZN2at6native12_GLOBAL__N_126CatArrayBatchedCopy_contigINS1_10OpaqueTypeILj8EEEjLi1ELi64ELi64EEEvPT_NS1_25CatArrInputTensorMetadataIS5_T0_XT2_EXT3_EEENS1_16TensorSizeStrideIS8_Lj4EEEiS8_, .Lfunc_end163-_ZN2at6native12_GLOBAL__N_126CatArrayBatchedCopy_contigINS1_10OpaqueTypeILj8EEEjLi1ELi64ELi64EEEvPT_NS1_25CatArrInputTensorMetadataIS5_T0_XT2_EXT3_EEENS1_16TensorSizeStrideIS8_Lj4EEEiS8_
                                        ; -- End function
	.set _ZN2at6native12_GLOBAL__N_126CatArrayBatchedCopy_contigINS1_10OpaqueTypeILj8EEEjLi1ELi64ELi64EEEvPT_NS1_25CatArrInputTensorMetadataIS5_T0_XT2_EXT3_EEENS1_16TensorSizeStrideIS8_Lj4EEEiS8_.num_vgpr, 8
	.set _ZN2at6native12_GLOBAL__N_126CatArrayBatchedCopy_contigINS1_10OpaqueTypeILj8EEEjLi1ELi64ELi64EEEvPT_NS1_25CatArrInputTensorMetadataIS5_T0_XT2_EXT3_EEENS1_16TensorSizeStrideIS8_Lj4EEEiS8_.num_agpr, 0
	.set _ZN2at6native12_GLOBAL__N_126CatArrayBatchedCopy_contigINS1_10OpaqueTypeILj8EEEjLi1ELi64ELi64EEEvPT_NS1_25CatArrInputTensorMetadataIS5_T0_XT2_EXT3_EEENS1_16TensorSizeStrideIS8_Lj4EEEiS8_.numbered_sgpr, 15
	.set _ZN2at6native12_GLOBAL__N_126CatArrayBatchedCopy_contigINS1_10OpaqueTypeILj8EEEjLi1ELi64ELi64EEEvPT_NS1_25CatArrInputTensorMetadataIS5_T0_XT2_EXT3_EEENS1_16TensorSizeStrideIS8_Lj4EEEiS8_.num_named_barrier, 0
	.set _ZN2at6native12_GLOBAL__N_126CatArrayBatchedCopy_contigINS1_10OpaqueTypeILj8EEEjLi1ELi64ELi64EEEvPT_NS1_25CatArrInputTensorMetadataIS5_T0_XT2_EXT3_EEENS1_16TensorSizeStrideIS8_Lj4EEEiS8_.private_seg_size, 0
	.set _ZN2at6native12_GLOBAL__N_126CatArrayBatchedCopy_contigINS1_10OpaqueTypeILj8EEEjLi1ELi64ELi64EEEvPT_NS1_25CatArrInputTensorMetadataIS5_T0_XT2_EXT3_EEENS1_16TensorSizeStrideIS8_Lj4EEEiS8_.uses_vcc, 1
	.set _ZN2at6native12_GLOBAL__N_126CatArrayBatchedCopy_contigINS1_10OpaqueTypeILj8EEEjLi1ELi64ELi64EEEvPT_NS1_25CatArrInputTensorMetadataIS5_T0_XT2_EXT3_EEENS1_16TensorSizeStrideIS8_Lj4EEEiS8_.uses_flat_scratch, 0
	.set _ZN2at6native12_GLOBAL__N_126CatArrayBatchedCopy_contigINS1_10OpaqueTypeILj8EEEjLi1ELi64ELi64EEEvPT_NS1_25CatArrInputTensorMetadataIS5_T0_XT2_EXT3_EEENS1_16TensorSizeStrideIS8_Lj4EEEiS8_.has_dyn_sized_stack, 0
	.set _ZN2at6native12_GLOBAL__N_126CatArrayBatchedCopy_contigINS1_10OpaqueTypeILj8EEEjLi1ELi64ELi64EEEvPT_NS1_25CatArrInputTensorMetadataIS5_T0_XT2_EXT3_EEENS1_16TensorSizeStrideIS8_Lj4EEEiS8_.has_recursion, 0
	.set _ZN2at6native12_GLOBAL__N_126CatArrayBatchedCopy_contigINS1_10OpaqueTypeILj8EEEjLi1ELi64ELi64EEEvPT_NS1_25CatArrInputTensorMetadataIS5_T0_XT2_EXT3_EEENS1_16TensorSizeStrideIS8_Lj4EEEiS8_.has_indirect_call, 0
	.section	.AMDGPU.csdata,"",@progbits
; Kernel info:
; codeLenInByte = 356
; TotalNumSgprs: 17
; NumVgprs: 8
; ScratchSize: 0
; MemoryBound: 0
; FloatMode: 240
; IeeeMode: 1
; LDSByteSize: 0 bytes/workgroup (compile time only)
; SGPRBlocks: 0
; VGPRBlocks: 0
; NumSGPRsForWavesPerEU: 17
; NumVGPRsForWavesPerEU: 8
; Occupancy: 16
; WaveLimiterHint : 1
; COMPUTE_PGM_RSRC2:SCRATCH_EN: 0
; COMPUTE_PGM_RSRC2:USER_SGPR: 6
; COMPUTE_PGM_RSRC2:TRAP_HANDLER: 0
; COMPUTE_PGM_RSRC2:TGID_X_EN: 1
; COMPUTE_PGM_RSRC2:TGID_Y_EN: 1
; COMPUTE_PGM_RSRC2:TGID_Z_EN: 0
; COMPUTE_PGM_RSRC2:TIDIG_COMP_CNT: 0
	.section	.text._ZN2at6native12_GLOBAL__N_119CatArrayBatchedCopyINS1_10OpaqueTypeILj8EEEjLi1ELi64ELi64EEEvPT_NS1_25CatArrInputTensorMetadataIS5_T0_XT2_EXT3_EEENS1_16TensorSizeStrideIS8_Lj4EEEiS8_,"axG",@progbits,_ZN2at6native12_GLOBAL__N_119CatArrayBatchedCopyINS1_10OpaqueTypeILj8EEEjLi1ELi64ELi64EEEvPT_NS1_25CatArrInputTensorMetadataIS5_T0_XT2_EXT3_EEENS1_16TensorSizeStrideIS8_Lj4EEEiS8_,comdat
	.globl	_ZN2at6native12_GLOBAL__N_119CatArrayBatchedCopyINS1_10OpaqueTypeILj8EEEjLi1ELi64ELi64EEEvPT_NS1_25CatArrInputTensorMetadataIS5_T0_XT2_EXT3_EEENS1_16TensorSizeStrideIS8_Lj4EEEiS8_ ; -- Begin function _ZN2at6native12_GLOBAL__N_119CatArrayBatchedCopyINS1_10OpaqueTypeILj8EEEjLi1ELi64ELi64EEEvPT_NS1_25CatArrInputTensorMetadataIS5_T0_XT2_EXT3_EEENS1_16TensorSizeStrideIS8_Lj4EEEiS8_
	.p2align	8
	.type	_ZN2at6native12_GLOBAL__N_119CatArrayBatchedCopyINS1_10OpaqueTypeILj8EEEjLi1ELi64ELi64EEEvPT_NS1_25CatArrInputTensorMetadataIS5_T0_XT2_EXT3_EEENS1_16TensorSizeStrideIS8_Lj4EEEiS8_,@function
_ZN2at6native12_GLOBAL__N_119CatArrayBatchedCopyINS1_10OpaqueTypeILj8EEEjLi1ELi64ELi64EEEvPT_NS1_25CatArrInputTensorMetadataIS5_T0_XT2_EXT3_EEENS1_16TensorSizeStrideIS8_Lj4EEEiS8_: ; @_ZN2at6native12_GLOBAL__N_119CatArrayBatchedCopyINS1_10OpaqueTypeILj8EEEjLi1ELi64ELi64EEEvPT_NS1_25CatArrInputTensorMetadataIS5_T0_XT2_EXT3_EEENS1_16TensorSizeStrideIS8_Lj4EEEiS8_
; %bb.0:
	s_mov_b32 s0, s7
	s_load_dword s7, s[4:5], 0xd7c
	s_or_b32 s13, s4, 8
	s_mov_b32 s1, 0
	s_add_u32 s2, s4, 0xd70
	s_addc_u32 s3, s5, 0
	s_lshl_b64 s[8:9], s[0:1], 2
	s_mov_b32 s14, exec_lo
	s_waitcnt lgkmcnt(0)
	s_and_b32 s12, s7, 0xffff
	s_add_u32 s10, s13, s8
	s_addc_u32 s11, s5, s9
	v_mad_u64_u32 v[0:1], null, s6, s12, v[0:1]
	s_load_dword s7, s[10:11], 0x400
	s_waitcnt lgkmcnt(0)
	v_cmpx_gt_u32_e64 s7, v0
	s_cbranch_execz .LBB164_3
; %bb.1:
	s_mul_i32 s14, s0, 28
	s_mul_hi_u32 s15, s0, 28
	s_add_u32 s10, s10, s14
	v_mov_b32_e32 v2, 0
	s_addc_u32 s11, s11, s15
	s_add_u32 s14, s13, s0
	s_addc_u32 s15, s5, 0
	s_mul_i32 s13, s0, 7
	global_load_ubyte v1, v2, s[14:15] offset:1280
	s_clause 0x1
	s_load_dword s16, s[10:11], 0x550
	s_load_dword s17, s[4:5], 0xd58
	s_mul_hi_u32 s0, s0, 7
	s_waitcnt lgkmcnt(0)
	v_mul_lo_u32 v3, s17, v0
	s_waitcnt vmcnt(0)
	v_readfirstlane_b32 s6, v1
	s_and_b32 s6, 1, s6
	s_add_u32 s10, s14, s13
	s_addc_u32 s11, s15, s0
	s_sub_u32 s0, 0, s8
	s_subb_u32 s9, 0, s9
	s_add_u32 s8, s10, s0
	s_addc_u32 s9, s11, s9
	s_clause 0x1
	s_load_dword s0, s[4:5], 0xd6c
	s_load_dword s8, s[8:9], 0x200
	;; [unrolled: 1-line block ×3, first 2 shown]
	s_clause 0x1
	s_load_dwordx2 s[2:3], s[4:5], 0x0
	s_load_dwordx2 s[4:5], s[10:11], 0x0
	s_cmp_eq_u32 s6, 1
	s_cselect_b32 s10, 1, s16
	v_mul_lo_u32 v1, s10, v0
	s_waitcnt lgkmcnt(0)
	v_mad_u64_u32 v[3:4], null, s8, s0, v[3:4]
	s_mul_i32 s6, s9, s12
	s_mul_i32 s8, s6, s10
	;; [unrolled: 1-line block ×3, first 2 shown]
	.p2align	6
.LBB164_2:                              ; =>This Inner Loop Header: Depth=1
	v_lshlrev_b64 v[4:5], 3, v[1:2]
	v_add_nc_u32_e32 v0, s6, v0
	v_add_nc_u32_e32 v1, s8, v1
	v_add_co_u32 v4, vcc_lo, s4, v4
	v_add_co_ci_u32_e64 v5, null, s5, v5, vcc_lo
	v_cmp_le_u32_e32 vcc_lo, s7, v0
	global_load_dwordx2 v[5:6], v[4:5], off
	v_mov_b32_e32 v4, v2
	s_or_b32 s1, vcc_lo, s1
	v_lshlrev_b64 v[7:8], 3, v[3:4]
	v_add_nc_u32_e32 v3, s9, v3
	v_add_co_u32 v7, s0, s2, v7
	v_add_co_ci_u32_e64 v8, null, s3, v8, s0
	s_waitcnt vmcnt(0)
	global_store_dwordx2 v[7:8], v[5:6], off
	s_andn2_b32 exec_lo, exec_lo, s1
	s_cbranch_execnz .LBB164_2
.LBB164_3:
	s_endpgm
	.section	.rodata,"a",@progbits
	.p2align	6, 0x0
	.amdhsa_kernel _ZN2at6native12_GLOBAL__N_119CatArrayBatchedCopyINS1_10OpaqueTypeILj8EEEjLi1ELi64ELi64EEEvPT_NS1_25CatArrInputTensorMetadataIS5_T0_XT2_EXT3_EEENS1_16TensorSizeStrideIS8_Lj4EEEiS8_
		.amdhsa_group_segment_fixed_size 0
		.amdhsa_private_segment_fixed_size 0
		.amdhsa_kernarg_size 3696
		.amdhsa_user_sgpr_count 6
		.amdhsa_user_sgpr_private_segment_buffer 1
		.amdhsa_user_sgpr_dispatch_ptr 0
		.amdhsa_user_sgpr_queue_ptr 0
		.amdhsa_user_sgpr_kernarg_segment_ptr 1
		.amdhsa_user_sgpr_dispatch_id 0
		.amdhsa_user_sgpr_flat_scratch_init 0
		.amdhsa_user_sgpr_private_segment_size 0
		.amdhsa_wavefront_size32 1
		.amdhsa_uses_dynamic_stack 0
		.amdhsa_system_sgpr_private_segment_wavefront_offset 0
		.amdhsa_system_sgpr_workgroup_id_x 1
		.amdhsa_system_sgpr_workgroup_id_y 1
		.amdhsa_system_sgpr_workgroup_id_z 0
		.amdhsa_system_sgpr_workgroup_info 0
		.amdhsa_system_vgpr_workitem_id 0
		.amdhsa_next_free_vgpr 9
		.amdhsa_next_free_sgpr 18
		.amdhsa_reserve_vcc 1
		.amdhsa_reserve_flat_scratch 0
		.amdhsa_float_round_mode_32 0
		.amdhsa_float_round_mode_16_64 0
		.amdhsa_float_denorm_mode_32 3
		.amdhsa_float_denorm_mode_16_64 3
		.amdhsa_dx10_clamp 1
		.amdhsa_ieee_mode 1
		.amdhsa_fp16_overflow 0
		.amdhsa_workgroup_processor_mode 1
		.amdhsa_memory_ordered 1
		.amdhsa_forward_progress 1
		.amdhsa_shared_vgpr_count 0
		.amdhsa_exception_fp_ieee_invalid_op 0
		.amdhsa_exception_fp_denorm_src 0
		.amdhsa_exception_fp_ieee_div_zero 0
		.amdhsa_exception_fp_ieee_overflow 0
		.amdhsa_exception_fp_ieee_underflow 0
		.amdhsa_exception_fp_ieee_inexact 0
		.amdhsa_exception_int_div_zero 0
	.end_amdhsa_kernel
	.section	.text._ZN2at6native12_GLOBAL__N_119CatArrayBatchedCopyINS1_10OpaqueTypeILj8EEEjLi1ELi64ELi64EEEvPT_NS1_25CatArrInputTensorMetadataIS5_T0_XT2_EXT3_EEENS1_16TensorSizeStrideIS8_Lj4EEEiS8_,"axG",@progbits,_ZN2at6native12_GLOBAL__N_119CatArrayBatchedCopyINS1_10OpaqueTypeILj8EEEjLi1ELi64ELi64EEEvPT_NS1_25CatArrInputTensorMetadataIS5_T0_XT2_EXT3_EEENS1_16TensorSizeStrideIS8_Lj4EEEiS8_,comdat
.Lfunc_end164:
	.size	_ZN2at6native12_GLOBAL__N_119CatArrayBatchedCopyINS1_10OpaqueTypeILj8EEEjLi1ELi64ELi64EEEvPT_NS1_25CatArrInputTensorMetadataIS5_T0_XT2_EXT3_EEENS1_16TensorSizeStrideIS8_Lj4EEEiS8_, .Lfunc_end164-_ZN2at6native12_GLOBAL__N_119CatArrayBatchedCopyINS1_10OpaqueTypeILj8EEEjLi1ELi64ELi64EEEvPT_NS1_25CatArrInputTensorMetadataIS5_T0_XT2_EXT3_EEENS1_16TensorSizeStrideIS8_Lj4EEEiS8_
                                        ; -- End function
	.set _ZN2at6native12_GLOBAL__N_119CatArrayBatchedCopyINS1_10OpaqueTypeILj8EEEjLi1ELi64ELi64EEEvPT_NS1_25CatArrInputTensorMetadataIS5_T0_XT2_EXT3_EEENS1_16TensorSizeStrideIS8_Lj4EEEiS8_.num_vgpr, 9
	.set _ZN2at6native12_GLOBAL__N_119CatArrayBatchedCopyINS1_10OpaqueTypeILj8EEEjLi1ELi64ELi64EEEvPT_NS1_25CatArrInputTensorMetadataIS5_T0_XT2_EXT3_EEENS1_16TensorSizeStrideIS8_Lj4EEEiS8_.num_agpr, 0
	.set _ZN2at6native12_GLOBAL__N_119CatArrayBatchedCopyINS1_10OpaqueTypeILj8EEEjLi1ELi64ELi64EEEvPT_NS1_25CatArrInputTensorMetadataIS5_T0_XT2_EXT3_EEENS1_16TensorSizeStrideIS8_Lj4EEEiS8_.numbered_sgpr, 18
	.set _ZN2at6native12_GLOBAL__N_119CatArrayBatchedCopyINS1_10OpaqueTypeILj8EEEjLi1ELi64ELi64EEEvPT_NS1_25CatArrInputTensorMetadataIS5_T0_XT2_EXT3_EEENS1_16TensorSizeStrideIS8_Lj4EEEiS8_.num_named_barrier, 0
	.set _ZN2at6native12_GLOBAL__N_119CatArrayBatchedCopyINS1_10OpaqueTypeILj8EEEjLi1ELi64ELi64EEEvPT_NS1_25CatArrInputTensorMetadataIS5_T0_XT2_EXT3_EEENS1_16TensorSizeStrideIS8_Lj4EEEiS8_.private_seg_size, 0
	.set _ZN2at6native12_GLOBAL__N_119CatArrayBatchedCopyINS1_10OpaqueTypeILj8EEEjLi1ELi64ELi64EEEvPT_NS1_25CatArrInputTensorMetadataIS5_T0_XT2_EXT3_EEENS1_16TensorSizeStrideIS8_Lj4EEEiS8_.uses_vcc, 1
	.set _ZN2at6native12_GLOBAL__N_119CatArrayBatchedCopyINS1_10OpaqueTypeILj8EEEjLi1ELi64ELi64EEEvPT_NS1_25CatArrInputTensorMetadataIS5_T0_XT2_EXT3_EEENS1_16TensorSizeStrideIS8_Lj4EEEiS8_.uses_flat_scratch, 0
	.set _ZN2at6native12_GLOBAL__N_119CatArrayBatchedCopyINS1_10OpaqueTypeILj8EEEjLi1ELi64ELi64EEEvPT_NS1_25CatArrInputTensorMetadataIS5_T0_XT2_EXT3_EEENS1_16TensorSizeStrideIS8_Lj4EEEiS8_.has_dyn_sized_stack, 0
	.set _ZN2at6native12_GLOBAL__N_119CatArrayBatchedCopyINS1_10OpaqueTypeILj8EEEjLi1ELi64ELi64EEEvPT_NS1_25CatArrInputTensorMetadataIS5_T0_XT2_EXT3_EEENS1_16TensorSizeStrideIS8_Lj4EEEiS8_.has_recursion, 0
	.set _ZN2at6native12_GLOBAL__N_119CatArrayBatchedCopyINS1_10OpaqueTypeILj8EEEjLi1ELi64ELi64EEEvPT_NS1_25CatArrInputTensorMetadataIS5_T0_XT2_EXT3_EEENS1_16TensorSizeStrideIS8_Lj4EEEiS8_.has_indirect_call, 0
	.section	.AMDGPU.csdata,"",@progbits
; Kernel info:
; codeLenInByte = 424
; TotalNumSgprs: 20
; NumVgprs: 9
; ScratchSize: 0
; MemoryBound: 0
; FloatMode: 240
; IeeeMode: 1
; LDSByteSize: 0 bytes/workgroup (compile time only)
; SGPRBlocks: 0
; VGPRBlocks: 1
; NumSGPRsForWavesPerEU: 20
; NumVGPRsForWavesPerEU: 9
; Occupancy: 16
; WaveLimiterHint : 1
; COMPUTE_PGM_RSRC2:SCRATCH_EN: 0
; COMPUTE_PGM_RSRC2:USER_SGPR: 6
; COMPUTE_PGM_RSRC2:TRAP_HANDLER: 0
; COMPUTE_PGM_RSRC2:TGID_X_EN: 1
; COMPUTE_PGM_RSRC2:TGID_Y_EN: 1
; COMPUTE_PGM_RSRC2:TGID_Z_EN: 0
; COMPUTE_PGM_RSRC2:TIDIG_COMP_CNT: 0
	.section	.text._ZN2at6native12_GLOBAL__N_130CatArrayBatchedCopy_vectorizedINS1_10OpaqueTypeILj8EEEjLi2ELi64ELi64ELi16ELi2EEEvPcNS1_25CatArrInputTensorMetadataIT_T0_XT2_EXT3_EEENS1_16TensorSizeStrideIS8_Lj4EEEiS8_,"axG",@progbits,_ZN2at6native12_GLOBAL__N_130CatArrayBatchedCopy_vectorizedINS1_10OpaqueTypeILj8EEEjLi2ELi64ELi64ELi16ELi2EEEvPcNS1_25CatArrInputTensorMetadataIT_T0_XT2_EXT3_EEENS1_16TensorSizeStrideIS8_Lj4EEEiS8_,comdat
	.globl	_ZN2at6native12_GLOBAL__N_130CatArrayBatchedCopy_vectorizedINS1_10OpaqueTypeILj8EEEjLi2ELi64ELi64ELi16ELi2EEEvPcNS1_25CatArrInputTensorMetadataIT_T0_XT2_EXT3_EEENS1_16TensorSizeStrideIS8_Lj4EEEiS8_ ; -- Begin function _ZN2at6native12_GLOBAL__N_130CatArrayBatchedCopy_vectorizedINS1_10OpaqueTypeILj8EEEjLi2ELi64ELi64ELi16ELi2EEEvPcNS1_25CatArrInputTensorMetadataIT_T0_XT2_EXT3_EEENS1_16TensorSizeStrideIS8_Lj4EEEiS8_
	.p2align	8
	.type	_ZN2at6native12_GLOBAL__N_130CatArrayBatchedCopy_vectorizedINS1_10OpaqueTypeILj8EEEjLi2ELi64ELi64ELi16ELi2EEEvPcNS1_25CatArrInputTensorMetadataIT_T0_XT2_EXT3_EEENS1_16TensorSizeStrideIS8_Lj4EEEiS8_,@function
_ZN2at6native12_GLOBAL__N_130CatArrayBatchedCopy_vectorizedINS1_10OpaqueTypeILj8EEEjLi2ELi64ELi64ELi16ELi2EEEvPcNS1_25CatArrInputTensorMetadataIT_T0_XT2_EXT3_EEENS1_16TensorSizeStrideIS8_Lj4EEEiS8_: ; @_ZN2at6native12_GLOBAL__N_130CatArrayBatchedCopy_vectorizedINS1_10OpaqueTypeILj8EEEjLi2ELi64ELi64ELi16ELi2EEEvPcNS1_25CatArrInputTensorMetadataIT_T0_XT2_EXT3_EEENS1_16TensorSizeStrideIS8_Lj4EEEiS8_
; %bb.0:
	s_mov_b32 s0, s7
	s_load_dword s7, s[4:5], 0xd7c
	s_mov_b32 s1, 0
	s_add_u32 s8, s4, 0xd70
	s_addc_u32 s9, s5, 0
	s_lshl_b64 s[2:3], s[0:1], 2
	s_waitcnt lgkmcnt(0)
	s_and_b32 s13, s7, 0xffff
	s_add_u32 s10, s4, s2
	s_addc_u32 s11, s5, s3
	v_mad_u64_u32 v[0:1], null, s6, s13, v[0:1]
	s_load_dword s12, s[10:11], 0x408
	s_add_u32 s0, s10, 8
	s_addc_u32 s7, s11, 0
	s_mov_b32 s10, exec_lo
	s_waitcnt lgkmcnt(0)
	s_lshr_b32 s6, s12, 1
	v_cmpx_gt_u32_e64 s6, v0
	s_cbranch_execz .LBB165_3
; %bb.1:
	s_add_u32 s14, s0, s2
	s_addc_u32 s15, s7, s3
	s_sub_u32 s0, 0, s2
	s_subb_u32 s3, 0, s3
	s_add_u32 s2, s14, s0
	s_addc_u32 s3, s15, s3
	s_clause 0x5
	s_load_dwordx2 s[10:11], s[4:5], 0xd68
	s_load_dword s0, s[2:3], 0x200
	s_load_dword s7, s[2:3], 0x300
	;; [unrolled: 1-line block ×3, first 2 shown]
	s_load_dwordx2 s[2:3], s[4:5], 0xd58
	s_load_dwordx2 s[4:5], s[4:5], 0x0
	s_load_dword s8, s[8:9], 0x0
	s_waitcnt lgkmcnt(0)
	s_mul_i32 s0, s0, s11
	s_mul_i32 s7, s7, s11
	s_lshr_b32 s0, s0, 1
	s_lshr_b32 s7, s7, 1
	s_lshl_b64 s[16:17], s[0:1], 4
	s_cmp_eq_u32 s10, 1
	s_mul_i32 s8, s8, s13
	s_cselect_b32 s7, s7, s12
	s_add_u32 s10, s4, s16
	v_cvt_f32_u32_e32 v1, s7
	s_addc_u32 s11, s5, s17
	s_sub_i32 s12, 0, s7
	s_load_dwordx2 s[4:5], s[14:15], 0x0
	v_rcp_iflag_f32_e32 v1, v1
	v_mul_f32_e32 v1, 0x4f7ffffe, v1
	v_cvt_u32_f32_e32 v1, v1
	v_mul_lo_u32 v2, s12, v1
	v_mul_hi_u32 v2, v1, v2
	v_add_nc_u32_e32 v2, v1, v2
	v_mov_b32_e32 v1, 0
	s_inst_prefetch 0x1
	.p2align	6
.LBB165_2:                              ; =>This Inner Loop Header: Depth=1
	v_lshlrev_b64 v[3:4], 4, v[0:1]
	v_mul_hi_u32 v9, v2, v0
	s_waitcnt lgkmcnt(0)
	v_add_co_u32 v3, vcc_lo, s4, v3
	v_add_co_ci_u32_e64 v4, null, s5, v4, vcc_lo
	v_mul_lo_u32 v10, s7, v9
	v_not_b32_e32 v7, v9
	v_add_nc_u32_e32 v11, 1, v9
	global_load_dwordx4 v[3:6], v[3:4], off
	v_mad_u64_u32 v[7:8], null, s7, v7, v[0:1]
	v_sub_nc_u32_e32 v8, v0, v10
	v_cmp_le_u32_e32 vcc_lo, s7, v8
	v_cndmask_b32_e32 v9, v9, v11, vcc_lo
	v_cndmask_b32_e32 v7, v8, v7, vcc_lo
	v_add_nc_u32_e32 v8, 1, v9
	v_cmp_le_u32_e32 vcc_lo, s7, v7
	v_cndmask_b32_e32 v9, v9, v8, vcc_lo
	v_mad_u64_u32 v[7:8], null, s12, v9, v[0:1]
	v_mul_lo_u32 v8, v9, s2
	v_add_nc_u32_e32 v0, s8, v0
	v_cmp_le_u32_e32 vcc_lo, s6, v0
	v_mad_u64_u32 v[7:8], null, v7, s3, v[8:9]
	v_mov_b32_e32 v8, v1
	s_or_b32 s1, vcc_lo, s1
	v_lshlrev_b64 v[7:8], 4, v[7:8]
	v_add_co_u32 v7, s0, s10, v7
	v_add_co_ci_u32_e64 v8, null, s11, v8, s0
	s_waitcnt vmcnt(0)
	global_store_dwordx4 v[7:8], v[3:6], off
	s_andn2_b32 exec_lo, exec_lo, s1
	s_cbranch_execnz .LBB165_2
.LBB165_3:
	s_inst_prefetch 0x2
	s_endpgm
	.section	.rodata,"a",@progbits
	.p2align	6, 0x0
	.amdhsa_kernel _ZN2at6native12_GLOBAL__N_130CatArrayBatchedCopy_vectorizedINS1_10OpaqueTypeILj8EEEjLi2ELi64ELi64ELi16ELi2EEEvPcNS1_25CatArrInputTensorMetadataIT_T0_XT2_EXT3_EEENS1_16TensorSizeStrideIS8_Lj4EEEiS8_
		.amdhsa_group_segment_fixed_size 0
		.amdhsa_private_segment_fixed_size 0
		.amdhsa_kernarg_size 3696
		.amdhsa_user_sgpr_count 6
		.amdhsa_user_sgpr_private_segment_buffer 1
		.amdhsa_user_sgpr_dispatch_ptr 0
		.amdhsa_user_sgpr_queue_ptr 0
		.amdhsa_user_sgpr_kernarg_segment_ptr 1
		.amdhsa_user_sgpr_dispatch_id 0
		.amdhsa_user_sgpr_flat_scratch_init 0
		.amdhsa_user_sgpr_private_segment_size 0
		.amdhsa_wavefront_size32 1
		.amdhsa_uses_dynamic_stack 0
		.amdhsa_system_sgpr_private_segment_wavefront_offset 0
		.amdhsa_system_sgpr_workgroup_id_x 1
		.amdhsa_system_sgpr_workgroup_id_y 1
		.amdhsa_system_sgpr_workgroup_id_z 0
		.amdhsa_system_sgpr_workgroup_info 0
		.amdhsa_system_vgpr_workitem_id 0
		.amdhsa_next_free_vgpr 12
		.amdhsa_next_free_sgpr 18
		.amdhsa_reserve_vcc 1
		.amdhsa_reserve_flat_scratch 0
		.amdhsa_float_round_mode_32 0
		.amdhsa_float_round_mode_16_64 0
		.amdhsa_float_denorm_mode_32 3
		.amdhsa_float_denorm_mode_16_64 3
		.amdhsa_dx10_clamp 1
		.amdhsa_ieee_mode 1
		.amdhsa_fp16_overflow 0
		.amdhsa_workgroup_processor_mode 1
		.amdhsa_memory_ordered 1
		.amdhsa_forward_progress 1
		.amdhsa_shared_vgpr_count 0
		.amdhsa_exception_fp_ieee_invalid_op 0
		.amdhsa_exception_fp_denorm_src 0
		.amdhsa_exception_fp_ieee_div_zero 0
		.amdhsa_exception_fp_ieee_overflow 0
		.amdhsa_exception_fp_ieee_underflow 0
		.amdhsa_exception_fp_ieee_inexact 0
		.amdhsa_exception_int_div_zero 0
	.end_amdhsa_kernel
	.section	.text._ZN2at6native12_GLOBAL__N_130CatArrayBatchedCopy_vectorizedINS1_10OpaqueTypeILj8EEEjLi2ELi64ELi64ELi16ELi2EEEvPcNS1_25CatArrInputTensorMetadataIT_T0_XT2_EXT3_EEENS1_16TensorSizeStrideIS8_Lj4EEEiS8_,"axG",@progbits,_ZN2at6native12_GLOBAL__N_130CatArrayBatchedCopy_vectorizedINS1_10OpaqueTypeILj8EEEjLi2ELi64ELi64ELi16ELi2EEEvPcNS1_25CatArrInputTensorMetadataIT_T0_XT2_EXT3_EEENS1_16TensorSizeStrideIS8_Lj4EEEiS8_,comdat
.Lfunc_end165:
	.size	_ZN2at6native12_GLOBAL__N_130CatArrayBatchedCopy_vectorizedINS1_10OpaqueTypeILj8EEEjLi2ELi64ELi64ELi16ELi2EEEvPcNS1_25CatArrInputTensorMetadataIT_T0_XT2_EXT3_EEENS1_16TensorSizeStrideIS8_Lj4EEEiS8_, .Lfunc_end165-_ZN2at6native12_GLOBAL__N_130CatArrayBatchedCopy_vectorizedINS1_10OpaqueTypeILj8EEEjLi2ELi64ELi64ELi16ELi2EEEvPcNS1_25CatArrInputTensorMetadataIT_T0_XT2_EXT3_EEENS1_16TensorSizeStrideIS8_Lj4EEEiS8_
                                        ; -- End function
	.set _ZN2at6native12_GLOBAL__N_130CatArrayBatchedCopy_vectorizedINS1_10OpaqueTypeILj8EEEjLi2ELi64ELi64ELi16ELi2EEEvPcNS1_25CatArrInputTensorMetadataIT_T0_XT2_EXT3_EEENS1_16TensorSizeStrideIS8_Lj4EEEiS8_.num_vgpr, 12
	.set _ZN2at6native12_GLOBAL__N_130CatArrayBatchedCopy_vectorizedINS1_10OpaqueTypeILj8EEEjLi2ELi64ELi64ELi16ELi2EEEvPcNS1_25CatArrInputTensorMetadataIT_T0_XT2_EXT3_EEENS1_16TensorSizeStrideIS8_Lj4EEEiS8_.num_agpr, 0
	.set _ZN2at6native12_GLOBAL__N_130CatArrayBatchedCopy_vectorizedINS1_10OpaqueTypeILj8EEEjLi2ELi64ELi64ELi16ELi2EEEvPcNS1_25CatArrInputTensorMetadataIT_T0_XT2_EXT3_EEENS1_16TensorSizeStrideIS8_Lj4EEEiS8_.numbered_sgpr, 18
	.set _ZN2at6native12_GLOBAL__N_130CatArrayBatchedCopy_vectorizedINS1_10OpaqueTypeILj8EEEjLi2ELi64ELi64ELi16ELi2EEEvPcNS1_25CatArrInputTensorMetadataIT_T0_XT2_EXT3_EEENS1_16TensorSizeStrideIS8_Lj4EEEiS8_.num_named_barrier, 0
	.set _ZN2at6native12_GLOBAL__N_130CatArrayBatchedCopy_vectorizedINS1_10OpaqueTypeILj8EEEjLi2ELi64ELi64ELi16ELi2EEEvPcNS1_25CatArrInputTensorMetadataIT_T0_XT2_EXT3_EEENS1_16TensorSizeStrideIS8_Lj4EEEiS8_.private_seg_size, 0
	.set _ZN2at6native12_GLOBAL__N_130CatArrayBatchedCopy_vectorizedINS1_10OpaqueTypeILj8EEEjLi2ELi64ELi64ELi16ELi2EEEvPcNS1_25CatArrInputTensorMetadataIT_T0_XT2_EXT3_EEENS1_16TensorSizeStrideIS8_Lj4EEEiS8_.uses_vcc, 1
	.set _ZN2at6native12_GLOBAL__N_130CatArrayBatchedCopy_vectorizedINS1_10OpaqueTypeILj8EEEjLi2ELi64ELi64ELi16ELi2EEEvPcNS1_25CatArrInputTensorMetadataIT_T0_XT2_EXT3_EEENS1_16TensorSizeStrideIS8_Lj4EEEiS8_.uses_flat_scratch, 0
	.set _ZN2at6native12_GLOBAL__N_130CatArrayBatchedCopy_vectorizedINS1_10OpaqueTypeILj8EEEjLi2ELi64ELi64ELi16ELi2EEEvPcNS1_25CatArrInputTensorMetadataIT_T0_XT2_EXT3_EEENS1_16TensorSizeStrideIS8_Lj4EEEiS8_.has_dyn_sized_stack, 0
	.set _ZN2at6native12_GLOBAL__N_130CatArrayBatchedCopy_vectorizedINS1_10OpaqueTypeILj8EEEjLi2ELi64ELi64ELi16ELi2EEEvPcNS1_25CatArrInputTensorMetadataIT_T0_XT2_EXT3_EEENS1_16TensorSizeStrideIS8_Lj4EEEiS8_.has_recursion, 0
	.set _ZN2at6native12_GLOBAL__N_130CatArrayBatchedCopy_vectorizedINS1_10OpaqueTypeILj8EEEjLi2ELi64ELi64ELi16ELi2EEEvPcNS1_25CatArrInputTensorMetadataIT_T0_XT2_EXT3_EEENS1_16TensorSizeStrideIS8_Lj4EEEiS8_.has_indirect_call, 0
	.section	.AMDGPU.csdata,"",@progbits
; Kernel info:
; codeLenInByte = 508
; TotalNumSgprs: 20
; NumVgprs: 12
; ScratchSize: 0
; MemoryBound: 0
; FloatMode: 240
; IeeeMode: 1
; LDSByteSize: 0 bytes/workgroup (compile time only)
; SGPRBlocks: 0
; VGPRBlocks: 1
; NumSGPRsForWavesPerEU: 20
; NumVGPRsForWavesPerEU: 12
; Occupancy: 16
; WaveLimiterHint : 1
; COMPUTE_PGM_RSRC2:SCRATCH_EN: 0
; COMPUTE_PGM_RSRC2:USER_SGPR: 6
; COMPUTE_PGM_RSRC2:TRAP_HANDLER: 0
; COMPUTE_PGM_RSRC2:TGID_X_EN: 1
; COMPUTE_PGM_RSRC2:TGID_Y_EN: 1
; COMPUTE_PGM_RSRC2:TGID_Z_EN: 0
; COMPUTE_PGM_RSRC2:TIDIG_COMP_CNT: 0
	.section	.text._ZN2at6native12_GLOBAL__N_135CatArrayBatchedCopy_alignedK_contigINS1_10OpaqueTypeILj8EEEjLi2ELi64ELi64ELi16EEEvPT_NS1_25CatArrInputTensorMetadataIS5_T0_XT2_EXT3_EEENS1_16TensorSizeStrideIS8_Lj4EEEiS8_,"axG",@progbits,_ZN2at6native12_GLOBAL__N_135CatArrayBatchedCopy_alignedK_contigINS1_10OpaqueTypeILj8EEEjLi2ELi64ELi64ELi16EEEvPT_NS1_25CatArrInputTensorMetadataIS5_T0_XT2_EXT3_EEENS1_16TensorSizeStrideIS8_Lj4EEEiS8_,comdat
	.globl	_ZN2at6native12_GLOBAL__N_135CatArrayBatchedCopy_alignedK_contigINS1_10OpaqueTypeILj8EEEjLi2ELi64ELi64ELi16EEEvPT_NS1_25CatArrInputTensorMetadataIS5_T0_XT2_EXT3_EEENS1_16TensorSizeStrideIS8_Lj4EEEiS8_ ; -- Begin function _ZN2at6native12_GLOBAL__N_135CatArrayBatchedCopy_alignedK_contigINS1_10OpaqueTypeILj8EEEjLi2ELi64ELi64ELi16EEEvPT_NS1_25CatArrInputTensorMetadataIS5_T0_XT2_EXT3_EEENS1_16TensorSizeStrideIS8_Lj4EEEiS8_
	.p2align	8
	.type	_ZN2at6native12_GLOBAL__N_135CatArrayBatchedCopy_alignedK_contigINS1_10OpaqueTypeILj8EEEjLi2ELi64ELi64ELi16EEEvPT_NS1_25CatArrInputTensorMetadataIS5_T0_XT2_EXT3_EEENS1_16TensorSizeStrideIS8_Lj4EEEiS8_,@function
_ZN2at6native12_GLOBAL__N_135CatArrayBatchedCopy_alignedK_contigINS1_10OpaqueTypeILj8EEEjLi2ELi64ELi64ELi16EEEvPT_NS1_25CatArrInputTensorMetadataIS5_T0_XT2_EXT3_EEENS1_16TensorSizeStrideIS8_Lj4EEEiS8_: ; @_ZN2at6native12_GLOBAL__N_135CatArrayBatchedCopy_alignedK_contigINS1_10OpaqueTypeILj8EEEjLi2ELi64ELi64ELi16EEEvPT_NS1_25CatArrInputTensorMetadataIS5_T0_XT2_EXT3_EEENS1_16TensorSizeStrideIS8_Lj4EEEiS8_
; %bb.0:
	s_mov_b32 s2, s7
	s_load_dword s7, s[4:5], 0xd7c
	s_mov_b32 s3, 0
	s_add_u32 s0, s4, 0xd70
	s_addc_u32 s1, s5, 0
	s_lshl_b64 s[2:3], s[2:3], 2
	s_waitcnt lgkmcnt(0)
	s_and_b32 s10, s7, 0xffff
	s_add_u32 s8, s4, s2
	s_addc_u32 s9, s5, s3
	s_mul_i32 s6, s6, s10
	s_load_dword s11, s[8:9], 0x408
	v_add_lshl_u32 v0, s6, v0, 1
	s_add_u32 s6, s8, 8
	s_addc_u32 s7, s9, 0
	s_mov_b32 s8, exec_lo
	s_waitcnt lgkmcnt(0)
	v_cmpx_gt_u32_e64 s11, v0
	s_cbranch_execz .LBB166_8
; %bb.1:
	s_add_u32 s6, s6, s2
	s_addc_u32 s7, s7, s3
	s_sub_u32 s2, 0, s2
	s_subb_u32 s3, 0, s3
	s_add_u32 s14, s6, s2
	s_addc_u32 s15, s7, s3
	s_clause 0x6
	s_load_dwordx2 s[2:3], s[4:5], 0x0
	s_load_dwordx2 s[8:9], s[4:5], 0xd68
	s_load_dword s12, s[4:5], 0xd4c
	s_load_dwordx2 s[4:5], s[4:5], 0xd58
	s_load_dword s16, s[14:15], 0x200
	;; [unrolled: 2-line block ×3, first 2 shown]
	v_add_nc_u32_e32 v1, 2, v0
	s_mov_b32 s14, exec_lo
	s_waitcnt lgkmcnt(0)
	s_mul_i32 s9, s16, s9
	v_cmpx_ge_u32_e64 s11, v1
	s_cbranch_execz .LBB166_5
; %bb.2:
	s_load_dword s0, s[0:1], 0x0
	s_mov_b32 s17, 0
	s_waitcnt lgkmcnt(0)
	s_mul_i32 s0, s0, s10
	s_mov_b32 s10, s5
	s_lshl_b32 s1, s0, 1
	s_cmp_eq_u32 s8, 1
	s_cselect_b32 s15, s13, s12
	v_cvt_f32_u32_e32 v1, s15
	s_sub_i32 s16, 0, s15
	v_rcp_iflag_f32_e32 v1, v1
	v_mul_f32_e32 v1, 0x4f7ffffe, v1
	v_cvt_u32_f32_e32 v2, v1
	v_mul_lo_u32 v1, s16, v2
	v_mul_hi_u32 v3, v2, v1
	v_mov_b32_e32 v1, 0
	v_add_nc_u32_e32 v2, v2, v3
	v_add_nc_u32_e32 v3, 1, v0
.LBB166_3:                              ; =>This Inner Loop Header: Depth=1
	v_lshlrev_b64 v[4:5], 3, v[0:1]
	v_mul_hi_u32 v10, v2, v0
	v_mul_hi_u32 v14, v2, v3
	v_add_nc_u32_e32 v8, 1, v0
	v_mov_b32_e32 v9, v1
	v_mov_b32_e32 v11, v1
	v_add_co_u32 v4, vcc_lo, s6, v4
	v_add_co_ci_u32_e64 v5, null, s7, v5, vcc_lo
	v_not_b32_e32 v15, v10
	v_mad_u64_u32 v[12:13], null, s16, v10, v[0:1]
	global_load_dwordx4 v[4:7], v[4:5], off
	v_not_b32_e32 v16, v14
	v_mad_u64_u32 v[13:14], null, s16, v14, v[8:9]
	v_mul_hi_u32 v17, v8, v2
	v_mad_u64_u32 v[14:15], null, s15, v15, v[0:1]
	v_add_nc_u32_e32 v18, 1, v10
	v_cmp_le_u32_e32 vcc_lo, s15, v12
	v_mad_u64_u32 v[15:16], null, s15, v16, v[8:9]
	v_cmp_le_u32_e64 s0, s15, v13
	v_add_nc_u32_e32 v19, 1, v17
	v_cndmask_b32_e32 v8, v10, v18, vcc_lo
	v_cndmask_b32_e32 v12, v12, v14, vcc_lo
	v_add_nc_u32_e32 v3, s1, v3
	v_cndmask_b32_e64 v10, v17, v19, s0
	v_add_nc_u32_e32 v14, 1, v8
	v_cndmask_b32_e64 v13, v13, v15, s0
	v_cmp_le_u32_e32 vcc_lo, s15, v12
	v_add_nc_u32_e32 v15, 1, v10
	v_cndmask_b32_e32 v8, v8, v14, vcc_lo
	v_cmp_le_u32_e32 vcc_lo, s15, v13
	v_mad_u64_u32 v[12:13], null, s16, v8, v[0:1]
	v_cndmask_b32_e32 v10, v10, v15, vcc_lo
	v_mul_lo_u32 v8, v8, s4
	v_mad_u64_u32 v[13:14], null, s16, v10, v[0:1]
	v_mul_lo_u32 v15, v12, s5
	v_mul_lo_u32 v10, v10, s4
	v_add_nc_u32_e32 v0, s1, v0
	v_mad_u64_u32 v[12:13], null, s5, v13, s[10:11]
	v_add3_u32 v8, v15, v8, s9
	v_add_nc_u32_e32 v14, 2, v0
	v_lshlrev_b64 v[8:9], 3, v[8:9]
	v_add3_u32 v10, v12, v10, s9
	v_cmp_lt_u32_e32 vcc_lo, s11, v14
	v_lshlrev_b64 v[10:11], 3, v[10:11]
	v_add_co_u32 v8, s0, s2, v8
	v_add_co_ci_u32_e64 v9, null, s3, v9, s0
	s_or_b32 s17, vcc_lo, s17
	v_add_co_u32 v10, s0, s2, v10
	v_add_co_ci_u32_e64 v11, null, s3, v11, s0
	s_waitcnt vmcnt(0)
	global_store_dwordx2 v[8:9], v[4:5], off
	global_store_dwordx2 v[10:11], v[6:7], off
	s_andn2_b32 exec_lo, exec_lo, s17
	s_cbranch_execnz .LBB166_3
; %bb.4:
	s_or_b32 exec_lo, exec_lo, s17
.LBB166_5:
	s_or_b32 exec_lo, exec_lo, s14
	v_cmp_gt_u32_e32 vcc_lo, s11, v0
	s_and_b32 exec_lo, exec_lo, vcc_lo
	s_cbranch_execz .LBB166_8
; %bb.6:
	s_cmp_eq_u32 s8, 1
	v_mov_b32_e32 v2, 0
	s_cselect_b32 s8, s13, s12
	v_cvt_f32_u32_e32 v1, s8
	s_sub_i32 s10, 0, s8
	v_rcp_iflag_f32_e32 v1, v1
	v_mul_f32_e32 v1, 0x4f7ffffe, v1
	v_cvt_u32_f32_e32 v3, v1
	v_mul_lo_u32 v1, s10, v3
	v_mul_hi_u32 v4, v3, v1
	v_mov_b32_e32 v1, v2
	v_lshlrev_b64 v[5:6], 3, v[0:1]
	v_add_nc_u32_e32 v7, v3, v4
	v_add_co_u32 v5, vcc_lo, s6, v5
	v_mad_u64_u32 v[3:4], null, v0, v7, 0
	v_add_co_ci_u32_e64 v6, null, s7, v6, vcc_lo
	s_mov_b32 s6, 0
	s_inst_prefetch 0x1
	.p2align	6
.LBB166_7:                              ; =>This Inner Loop Header: Depth=1
	global_load_dwordx2 v[8:9], v[5:6], off
	v_mul_lo_u32 v1, s8, v4
	v_not_b32_e32 v10, v4
	v_add_nc_u32_e32 v12, 1, v4
	v_add_co_u32 v5, s0, v5, 8
	v_add_co_ci_u32_e64 v6, null, 0, v6, s0
	v_mad_u64_u32 v[10:11], null, s8, v10, v[0:1]
	v_sub_nc_u32_e32 v1, v0, v1
	v_cmp_le_u32_e32 vcc_lo, s8, v1
	v_cndmask_b32_e32 v11, v4, v12, vcc_lo
	v_cndmask_b32_e32 v1, v1, v10, vcc_lo
	v_add_nc_u32_e32 v10, 1, v11
	v_cmp_le_u32_e32 vcc_lo, s8, v1
	v_cndmask_b32_e32 v1, v11, v10, vcc_lo
	v_add_co_u32 v3, vcc_lo, v3, v7
	v_add_co_ci_u32_e64 v4, null, 0, v4, vcc_lo
	v_mad_u64_u32 v[10:11], null, s10, v1, v[0:1]
	v_mul_lo_u32 v1, v1, s4
	v_add_nc_u32_e32 v0, 1, v0
	v_mul_lo_u32 v10, v10, s5
	v_cmp_le_u32_e64 s0, s11, v0
	s_or_b32 s6, s0, s6
	v_add3_u32 v1, v10, v1, s9
	v_lshlrev_b64 v[10:11], 3, v[1:2]
	v_add_co_u32 v10, s1, s2, v10
	v_add_co_ci_u32_e64 v11, null, s3, v11, s1
	s_waitcnt vmcnt(0)
	global_store_dwordx2 v[10:11], v[8:9], off
	s_andn2_b32 exec_lo, exec_lo, s6
	s_cbranch_execnz .LBB166_7
.LBB166_8:
	s_inst_prefetch 0x2
	s_endpgm
	.section	.rodata,"a",@progbits
	.p2align	6, 0x0
	.amdhsa_kernel _ZN2at6native12_GLOBAL__N_135CatArrayBatchedCopy_alignedK_contigINS1_10OpaqueTypeILj8EEEjLi2ELi64ELi64ELi16EEEvPT_NS1_25CatArrInputTensorMetadataIS5_T0_XT2_EXT3_EEENS1_16TensorSizeStrideIS8_Lj4EEEiS8_
		.amdhsa_group_segment_fixed_size 0
		.amdhsa_private_segment_fixed_size 0
		.amdhsa_kernarg_size 3696
		.amdhsa_user_sgpr_count 6
		.amdhsa_user_sgpr_private_segment_buffer 1
		.amdhsa_user_sgpr_dispatch_ptr 0
		.amdhsa_user_sgpr_queue_ptr 0
		.amdhsa_user_sgpr_kernarg_segment_ptr 1
		.amdhsa_user_sgpr_dispatch_id 0
		.amdhsa_user_sgpr_flat_scratch_init 0
		.amdhsa_user_sgpr_private_segment_size 0
		.amdhsa_wavefront_size32 1
		.amdhsa_uses_dynamic_stack 0
		.amdhsa_system_sgpr_private_segment_wavefront_offset 0
		.amdhsa_system_sgpr_workgroup_id_x 1
		.amdhsa_system_sgpr_workgroup_id_y 1
		.amdhsa_system_sgpr_workgroup_id_z 0
		.amdhsa_system_sgpr_workgroup_info 0
		.amdhsa_system_vgpr_workitem_id 0
		.amdhsa_next_free_vgpr 20
		.amdhsa_next_free_sgpr 18
		.amdhsa_reserve_vcc 1
		.amdhsa_reserve_flat_scratch 0
		.amdhsa_float_round_mode_32 0
		.amdhsa_float_round_mode_16_64 0
		.amdhsa_float_denorm_mode_32 3
		.amdhsa_float_denorm_mode_16_64 3
		.amdhsa_dx10_clamp 1
		.amdhsa_ieee_mode 1
		.amdhsa_fp16_overflow 0
		.amdhsa_workgroup_processor_mode 1
		.amdhsa_memory_ordered 1
		.amdhsa_forward_progress 1
		.amdhsa_shared_vgpr_count 0
		.amdhsa_exception_fp_ieee_invalid_op 0
		.amdhsa_exception_fp_denorm_src 0
		.amdhsa_exception_fp_ieee_div_zero 0
		.amdhsa_exception_fp_ieee_overflow 0
		.amdhsa_exception_fp_ieee_underflow 0
		.amdhsa_exception_fp_ieee_inexact 0
		.amdhsa_exception_int_div_zero 0
	.end_amdhsa_kernel
	.section	.text._ZN2at6native12_GLOBAL__N_135CatArrayBatchedCopy_alignedK_contigINS1_10OpaqueTypeILj8EEEjLi2ELi64ELi64ELi16EEEvPT_NS1_25CatArrInputTensorMetadataIS5_T0_XT2_EXT3_EEENS1_16TensorSizeStrideIS8_Lj4EEEiS8_,"axG",@progbits,_ZN2at6native12_GLOBAL__N_135CatArrayBatchedCopy_alignedK_contigINS1_10OpaqueTypeILj8EEEjLi2ELi64ELi64ELi16EEEvPT_NS1_25CatArrInputTensorMetadataIS5_T0_XT2_EXT3_EEENS1_16TensorSizeStrideIS8_Lj4EEEiS8_,comdat
.Lfunc_end166:
	.size	_ZN2at6native12_GLOBAL__N_135CatArrayBatchedCopy_alignedK_contigINS1_10OpaqueTypeILj8EEEjLi2ELi64ELi64ELi16EEEvPT_NS1_25CatArrInputTensorMetadataIS5_T0_XT2_EXT3_EEENS1_16TensorSizeStrideIS8_Lj4EEEiS8_, .Lfunc_end166-_ZN2at6native12_GLOBAL__N_135CatArrayBatchedCopy_alignedK_contigINS1_10OpaqueTypeILj8EEEjLi2ELi64ELi64ELi16EEEvPT_NS1_25CatArrInputTensorMetadataIS5_T0_XT2_EXT3_EEENS1_16TensorSizeStrideIS8_Lj4EEEiS8_
                                        ; -- End function
	.set _ZN2at6native12_GLOBAL__N_135CatArrayBatchedCopy_alignedK_contigINS1_10OpaqueTypeILj8EEEjLi2ELi64ELi64ELi16EEEvPT_NS1_25CatArrInputTensorMetadataIS5_T0_XT2_EXT3_EEENS1_16TensorSizeStrideIS8_Lj4EEEiS8_.num_vgpr, 20
	.set _ZN2at6native12_GLOBAL__N_135CatArrayBatchedCopy_alignedK_contigINS1_10OpaqueTypeILj8EEEjLi2ELi64ELi64ELi16EEEvPT_NS1_25CatArrInputTensorMetadataIS5_T0_XT2_EXT3_EEENS1_16TensorSizeStrideIS8_Lj4EEEiS8_.num_agpr, 0
	.set _ZN2at6native12_GLOBAL__N_135CatArrayBatchedCopy_alignedK_contigINS1_10OpaqueTypeILj8EEEjLi2ELi64ELi64ELi16EEEvPT_NS1_25CatArrInputTensorMetadataIS5_T0_XT2_EXT3_EEENS1_16TensorSizeStrideIS8_Lj4EEEiS8_.numbered_sgpr, 18
	.set _ZN2at6native12_GLOBAL__N_135CatArrayBatchedCopy_alignedK_contigINS1_10OpaqueTypeILj8EEEjLi2ELi64ELi64ELi16EEEvPT_NS1_25CatArrInputTensorMetadataIS5_T0_XT2_EXT3_EEENS1_16TensorSizeStrideIS8_Lj4EEEiS8_.num_named_barrier, 0
	.set _ZN2at6native12_GLOBAL__N_135CatArrayBatchedCopy_alignedK_contigINS1_10OpaqueTypeILj8EEEjLi2ELi64ELi64ELi16EEEvPT_NS1_25CatArrInputTensorMetadataIS5_T0_XT2_EXT3_EEENS1_16TensorSizeStrideIS8_Lj4EEEiS8_.private_seg_size, 0
	.set _ZN2at6native12_GLOBAL__N_135CatArrayBatchedCopy_alignedK_contigINS1_10OpaqueTypeILj8EEEjLi2ELi64ELi64ELi16EEEvPT_NS1_25CatArrInputTensorMetadataIS5_T0_XT2_EXT3_EEENS1_16TensorSizeStrideIS8_Lj4EEEiS8_.uses_vcc, 1
	.set _ZN2at6native12_GLOBAL__N_135CatArrayBatchedCopy_alignedK_contigINS1_10OpaqueTypeILj8EEEjLi2ELi64ELi64ELi16EEEvPT_NS1_25CatArrInputTensorMetadataIS5_T0_XT2_EXT3_EEENS1_16TensorSizeStrideIS8_Lj4EEEiS8_.uses_flat_scratch, 0
	.set _ZN2at6native12_GLOBAL__N_135CatArrayBatchedCopy_alignedK_contigINS1_10OpaqueTypeILj8EEEjLi2ELi64ELi64ELi16EEEvPT_NS1_25CatArrInputTensorMetadataIS5_T0_XT2_EXT3_EEENS1_16TensorSizeStrideIS8_Lj4EEEiS8_.has_dyn_sized_stack, 0
	.set _ZN2at6native12_GLOBAL__N_135CatArrayBatchedCopy_alignedK_contigINS1_10OpaqueTypeILj8EEEjLi2ELi64ELi64ELi16EEEvPT_NS1_25CatArrInputTensorMetadataIS5_T0_XT2_EXT3_EEENS1_16TensorSizeStrideIS8_Lj4EEEiS8_.has_recursion, 0
	.set _ZN2at6native12_GLOBAL__N_135CatArrayBatchedCopy_alignedK_contigINS1_10OpaqueTypeILj8EEEjLi2ELi64ELi64ELi16EEEvPT_NS1_25CatArrInputTensorMetadataIS5_T0_XT2_EXT3_EEENS1_16TensorSizeStrideIS8_Lj4EEEiS8_.has_indirect_call, 0
	.section	.AMDGPU.csdata,"",@progbits
; Kernel info:
; codeLenInByte = 960
; TotalNumSgprs: 20
; NumVgprs: 20
; ScratchSize: 0
; MemoryBound: 0
; FloatMode: 240
; IeeeMode: 1
; LDSByteSize: 0 bytes/workgroup (compile time only)
; SGPRBlocks: 0
; VGPRBlocks: 2
; NumSGPRsForWavesPerEU: 20
; NumVGPRsForWavesPerEU: 20
; Occupancy: 16
; WaveLimiterHint : 1
; COMPUTE_PGM_RSRC2:SCRATCH_EN: 0
; COMPUTE_PGM_RSRC2:USER_SGPR: 6
; COMPUTE_PGM_RSRC2:TRAP_HANDLER: 0
; COMPUTE_PGM_RSRC2:TGID_X_EN: 1
; COMPUTE_PGM_RSRC2:TGID_Y_EN: 1
; COMPUTE_PGM_RSRC2:TGID_Z_EN: 0
; COMPUTE_PGM_RSRC2:TIDIG_COMP_CNT: 0
	.section	.text._ZN2at6native12_GLOBAL__N_135CatArrayBatchedCopy_alignedK_contigINS1_10OpaqueTypeILj8EEEjLi2ELi64ELi64ELi8EEEvPT_NS1_25CatArrInputTensorMetadataIS5_T0_XT2_EXT3_EEENS1_16TensorSizeStrideIS8_Lj4EEEiS8_,"axG",@progbits,_ZN2at6native12_GLOBAL__N_135CatArrayBatchedCopy_alignedK_contigINS1_10OpaqueTypeILj8EEEjLi2ELi64ELi64ELi8EEEvPT_NS1_25CatArrInputTensorMetadataIS5_T0_XT2_EXT3_EEENS1_16TensorSizeStrideIS8_Lj4EEEiS8_,comdat
	.globl	_ZN2at6native12_GLOBAL__N_135CatArrayBatchedCopy_alignedK_contigINS1_10OpaqueTypeILj8EEEjLi2ELi64ELi64ELi8EEEvPT_NS1_25CatArrInputTensorMetadataIS5_T0_XT2_EXT3_EEENS1_16TensorSizeStrideIS8_Lj4EEEiS8_ ; -- Begin function _ZN2at6native12_GLOBAL__N_135CatArrayBatchedCopy_alignedK_contigINS1_10OpaqueTypeILj8EEEjLi2ELi64ELi64ELi8EEEvPT_NS1_25CatArrInputTensorMetadataIS5_T0_XT2_EXT3_EEENS1_16TensorSizeStrideIS8_Lj4EEEiS8_
	.p2align	8
	.type	_ZN2at6native12_GLOBAL__N_135CatArrayBatchedCopy_alignedK_contigINS1_10OpaqueTypeILj8EEEjLi2ELi64ELi64ELi8EEEvPT_NS1_25CatArrInputTensorMetadataIS5_T0_XT2_EXT3_EEENS1_16TensorSizeStrideIS8_Lj4EEEiS8_,@function
_ZN2at6native12_GLOBAL__N_135CatArrayBatchedCopy_alignedK_contigINS1_10OpaqueTypeILj8EEEjLi2ELi64ELi64ELi8EEEvPT_NS1_25CatArrInputTensorMetadataIS5_T0_XT2_EXT3_EEENS1_16TensorSizeStrideIS8_Lj4EEEiS8_: ; @_ZN2at6native12_GLOBAL__N_135CatArrayBatchedCopy_alignedK_contigINS1_10OpaqueTypeILj8EEEjLi2ELi64ELi64ELi8EEEvPT_NS1_25CatArrInputTensorMetadataIS5_T0_XT2_EXT3_EEENS1_16TensorSizeStrideIS8_Lj4EEEiS8_
; %bb.0:
	s_mov_b32 s0, s7
	s_load_dword s7, s[4:5], 0xd7c
	s_mov_b32 s1, 0
	s_add_u32 s8, s4, 0xd70
	s_addc_u32 s9, s5, 0
	s_lshl_b64 s[2:3], s[0:1], 2
	s_mov_b32 s11, exec_lo
	s_waitcnt lgkmcnt(0)
	s_and_b32 s0, s7, 0xffff
	s_add_u32 s12, s4, s2
	s_addc_u32 s13, s5, s3
	v_mad_u64_u32 v[0:1], null, s6, s0, v[0:1]
	s_load_dword s10, s[12:13], 0x408
	s_add_u32 s6, s12, 8
	s_addc_u32 s7, s13, 0
	s_waitcnt lgkmcnt(0)
	v_cmpx_gt_u32_e64 s10, v0
	s_cbranch_execz .LBB167_6
; %bb.1:
	s_add_u32 s6, s6, s2
	s_addc_u32 s7, s7, s3
	s_sub_u32 s2, 0, s2
	s_subb_u32 s3, 0, s3
	s_add_u32 s12, s6, s2
	s_addc_u32 s13, s7, s3
	s_clause 0x4
	s_load_dwordx2 s[14:15], s[4:5], 0xd68
	s_load_dword s11, s[12:13], 0x300
	s_load_dword s16, s[4:5], 0xd4c
	s_load_dwordx2 s[2:3], s[4:5], 0xd58
	s_load_dword s13, s[12:13], 0x200
	s_load_dword s9, s[8:9], 0x0
	s_clause 0x1
	s_load_dwordx2 s[4:5], s[4:5], 0x0
	s_load_dwordx2 s[6:7], s[6:7], 0x0
	s_waitcnt lgkmcnt(0)
	s_cmp_eq_u32 s14, 1
	s_cselect_b32 s11, s11, s16
	v_cvt_f32_u32_e32 v1, s11
	s_sub_i32 s12, 0, s11
	s_mul_i32 s9, s9, s0
	s_mul_i32 s8, s13, s15
	v_rcp_iflag_f32_e32 v1, v1
	v_mul_f32_e32 v1, 0x4f7ffffe, v1
	v_cvt_u32_f32_e32 v1, v1
	v_mul_lo_u32 v2, s12, v1
	v_mul_hi_u32 v3, v1, v2
	v_mov_b32_e32 v2, 0
	v_add_nc_u32_e32 v7, v1, v3
	v_add_nc_u32_e32 v3, 1, v0
	s_inst_prefetch 0x1
	.p2align	6
.LBB167_2:                              ; =>This Inner Loop Header: Depth=1
	v_add_nc_u32_e32 v1, -1, v3
	v_mul_hi_u32 v6, v7, v0
	v_add_nc_u32_e32 v3, s9, v3
	v_lshlrev_b64 v[4:5], 3, v[1:2]
	v_mul_hi_u32 v10, v1, v7
	v_mul_lo_u32 v8, s11, v6
	v_not_b32_e32 v6, v6
	v_add_co_u32 v4, vcc_lo, s6, v4
	v_add_co_ci_u32_e64 v5, null, s7, v5, vcc_lo
	v_add_nc_u32_e32 v11, 1, v10
	v_sub_nc_u32_e32 v12, v0, v8
	global_load_dwordx2 v[4:5], v[4:5], off
	v_mad_u64_u32 v[8:9], null, s11, v6, v[0:1]
	v_add_nc_u32_e32 v0, s9, v0
	v_cmp_le_u32_e32 vcc_lo, s11, v12
	v_cndmask_b32_e32 v6, v10, v11, vcc_lo
	v_cndmask_b32_e32 v8, v12, v8, vcc_lo
	v_add_nc_u32_e32 v9, 1, v6
	v_cmp_le_u32_e32 vcc_lo, s11, v8
	v_cndmask_b32_e32 v6, v6, v9, vcc_lo
	v_cmp_lt_u32_e32 vcc_lo, s10, v3
	v_mad_u64_u32 v[8:9], null, s12, v6, v[1:2]
	v_mul_lo_u32 v1, v6, s2
	s_or_b32 s1, vcc_lo, s1
	v_mul_lo_u32 v6, v8, s3
	v_add3_u32 v1, v6, v1, s8
	v_lshlrev_b64 v[8:9], 3, v[1:2]
	v_add_co_u32 v8, s0, s4, v8
	v_add_co_ci_u32_e64 v9, null, s5, v9, s0
	s_waitcnt vmcnt(0)
	global_store_dwordx2 v[8:9], v[4:5], off
	s_andn2_b32 exec_lo, exec_lo, s1
	s_cbranch_execnz .LBB167_2
; %bb.3:
	s_inst_prefetch 0x2
	s_or_b32 exec_lo, exec_lo, s1
	v_add_nc_u32_e32 v0, -1, v3
	v_cmp_gt_u32_e32 vcc_lo, s10, v0
	s_and_b32 exec_lo, exec_lo, vcc_lo
	s_cbranch_execz .LBB167_6
; %bb.4:
	v_mov_b32_e32 v2, 0
	v_mad_u64_u32 v[3:4], null, v7, v0, 0
	v_mov_b32_e32 v1, v2
	v_lshlrev_b64 v[5:6], 3, v[0:1]
	v_add_co_u32 v5, vcc_lo, s6, v5
	v_add_co_ci_u32_e64 v6, null, s7, v6, vcc_lo
	s_mov_b32 s6, 0
	s_inst_prefetch 0x1
	.p2align	6
.LBB167_5:                              ; =>This Inner Loop Header: Depth=1
	global_load_dwordx2 v[8:9], v[5:6], off
	v_mul_lo_u32 v1, s11, v4
	v_not_b32_e32 v10, v4
	v_add_nc_u32_e32 v12, 1, v4
	v_add_co_u32 v5, s0, v5, 8
	v_add_co_ci_u32_e64 v6, null, 0, v6, s0
	v_mad_u64_u32 v[10:11], null, s11, v10, v[0:1]
	v_sub_nc_u32_e32 v1, v0, v1
	v_cmp_le_u32_e32 vcc_lo, s11, v1
	v_cndmask_b32_e32 v11, v4, v12, vcc_lo
	v_cndmask_b32_e32 v1, v1, v10, vcc_lo
	v_add_nc_u32_e32 v10, 1, v11
	v_cmp_le_u32_e32 vcc_lo, s11, v1
	v_cndmask_b32_e32 v1, v11, v10, vcc_lo
	v_add_co_u32 v3, vcc_lo, v3, v7
	v_add_co_ci_u32_e64 v4, null, 0, v4, vcc_lo
	v_mad_u64_u32 v[10:11], null, s12, v1, v[0:1]
	v_mul_lo_u32 v1, v1, s2
	v_add_nc_u32_e32 v0, 1, v0
	v_mul_lo_u32 v10, v10, s3
	v_cmp_le_u32_e64 s0, s10, v0
	s_or_b32 s6, s0, s6
	v_add3_u32 v1, v1, s8, v10
	v_lshlrev_b64 v[10:11], 3, v[1:2]
	v_add_co_u32 v10, s1, s4, v10
	v_add_co_ci_u32_e64 v11, null, s5, v11, s1
	s_waitcnt vmcnt(0)
	global_store_dwordx2 v[10:11], v[8:9], off
	s_andn2_b32 exec_lo, exec_lo, s6
	s_cbranch_execnz .LBB167_5
.LBB167_6:
	s_inst_prefetch 0x2
	s_endpgm
	.section	.rodata,"a",@progbits
	.p2align	6, 0x0
	.amdhsa_kernel _ZN2at6native12_GLOBAL__N_135CatArrayBatchedCopy_alignedK_contigINS1_10OpaqueTypeILj8EEEjLi2ELi64ELi64ELi8EEEvPT_NS1_25CatArrInputTensorMetadataIS5_T0_XT2_EXT3_EEENS1_16TensorSizeStrideIS8_Lj4EEEiS8_
		.amdhsa_group_segment_fixed_size 0
		.amdhsa_private_segment_fixed_size 0
		.amdhsa_kernarg_size 3696
		.amdhsa_user_sgpr_count 6
		.amdhsa_user_sgpr_private_segment_buffer 1
		.amdhsa_user_sgpr_dispatch_ptr 0
		.amdhsa_user_sgpr_queue_ptr 0
		.amdhsa_user_sgpr_kernarg_segment_ptr 1
		.amdhsa_user_sgpr_dispatch_id 0
		.amdhsa_user_sgpr_flat_scratch_init 0
		.amdhsa_user_sgpr_private_segment_size 0
		.amdhsa_wavefront_size32 1
		.amdhsa_uses_dynamic_stack 0
		.amdhsa_system_sgpr_private_segment_wavefront_offset 0
		.amdhsa_system_sgpr_workgroup_id_x 1
		.amdhsa_system_sgpr_workgroup_id_y 1
		.amdhsa_system_sgpr_workgroup_id_z 0
		.amdhsa_system_sgpr_workgroup_info 0
		.amdhsa_system_vgpr_workitem_id 0
		.amdhsa_next_free_vgpr 13
		.amdhsa_next_free_sgpr 17
		.amdhsa_reserve_vcc 1
		.amdhsa_reserve_flat_scratch 0
		.amdhsa_float_round_mode_32 0
		.amdhsa_float_round_mode_16_64 0
		.amdhsa_float_denorm_mode_32 3
		.amdhsa_float_denorm_mode_16_64 3
		.amdhsa_dx10_clamp 1
		.amdhsa_ieee_mode 1
		.amdhsa_fp16_overflow 0
		.amdhsa_workgroup_processor_mode 1
		.amdhsa_memory_ordered 1
		.amdhsa_forward_progress 1
		.amdhsa_shared_vgpr_count 0
		.amdhsa_exception_fp_ieee_invalid_op 0
		.amdhsa_exception_fp_denorm_src 0
		.amdhsa_exception_fp_ieee_div_zero 0
		.amdhsa_exception_fp_ieee_overflow 0
		.amdhsa_exception_fp_ieee_underflow 0
		.amdhsa_exception_fp_ieee_inexact 0
		.amdhsa_exception_int_div_zero 0
	.end_amdhsa_kernel
	.section	.text._ZN2at6native12_GLOBAL__N_135CatArrayBatchedCopy_alignedK_contigINS1_10OpaqueTypeILj8EEEjLi2ELi64ELi64ELi8EEEvPT_NS1_25CatArrInputTensorMetadataIS5_T0_XT2_EXT3_EEENS1_16TensorSizeStrideIS8_Lj4EEEiS8_,"axG",@progbits,_ZN2at6native12_GLOBAL__N_135CatArrayBatchedCopy_alignedK_contigINS1_10OpaqueTypeILj8EEEjLi2ELi64ELi64ELi8EEEvPT_NS1_25CatArrInputTensorMetadataIS5_T0_XT2_EXT3_EEENS1_16TensorSizeStrideIS8_Lj4EEEiS8_,comdat
.Lfunc_end167:
	.size	_ZN2at6native12_GLOBAL__N_135CatArrayBatchedCopy_alignedK_contigINS1_10OpaqueTypeILj8EEEjLi2ELi64ELi64ELi8EEEvPT_NS1_25CatArrInputTensorMetadataIS5_T0_XT2_EXT3_EEENS1_16TensorSizeStrideIS8_Lj4EEEiS8_, .Lfunc_end167-_ZN2at6native12_GLOBAL__N_135CatArrayBatchedCopy_alignedK_contigINS1_10OpaqueTypeILj8EEEjLi2ELi64ELi64ELi8EEEvPT_NS1_25CatArrInputTensorMetadataIS5_T0_XT2_EXT3_EEENS1_16TensorSizeStrideIS8_Lj4EEEiS8_
                                        ; -- End function
	.set _ZN2at6native12_GLOBAL__N_135CatArrayBatchedCopy_alignedK_contigINS1_10OpaqueTypeILj8EEEjLi2ELi64ELi64ELi8EEEvPT_NS1_25CatArrInputTensorMetadataIS5_T0_XT2_EXT3_EEENS1_16TensorSizeStrideIS8_Lj4EEEiS8_.num_vgpr, 13
	.set _ZN2at6native12_GLOBAL__N_135CatArrayBatchedCopy_alignedK_contigINS1_10OpaqueTypeILj8EEEjLi2ELi64ELi64ELi8EEEvPT_NS1_25CatArrInputTensorMetadataIS5_T0_XT2_EXT3_EEENS1_16TensorSizeStrideIS8_Lj4EEEiS8_.num_agpr, 0
	.set _ZN2at6native12_GLOBAL__N_135CatArrayBatchedCopy_alignedK_contigINS1_10OpaqueTypeILj8EEEjLi2ELi64ELi64ELi8EEEvPT_NS1_25CatArrInputTensorMetadataIS5_T0_XT2_EXT3_EEENS1_16TensorSizeStrideIS8_Lj4EEEiS8_.numbered_sgpr, 17
	.set _ZN2at6native12_GLOBAL__N_135CatArrayBatchedCopy_alignedK_contigINS1_10OpaqueTypeILj8EEEjLi2ELi64ELi64ELi8EEEvPT_NS1_25CatArrInputTensorMetadataIS5_T0_XT2_EXT3_EEENS1_16TensorSizeStrideIS8_Lj4EEEiS8_.num_named_barrier, 0
	.set _ZN2at6native12_GLOBAL__N_135CatArrayBatchedCopy_alignedK_contigINS1_10OpaqueTypeILj8EEEjLi2ELi64ELi64ELi8EEEvPT_NS1_25CatArrInputTensorMetadataIS5_T0_XT2_EXT3_EEENS1_16TensorSizeStrideIS8_Lj4EEEiS8_.private_seg_size, 0
	.set _ZN2at6native12_GLOBAL__N_135CatArrayBatchedCopy_alignedK_contigINS1_10OpaqueTypeILj8EEEjLi2ELi64ELi64ELi8EEEvPT_NS1_25CatArrInputTensorMetadataIS5_T0_XT2_EXT3_EEENS1_16TensorSizeStrideIS8_Lj4EEEiS8_.uses_vcc, 1
	.set _ZN2at6native12_GLOBAL__N_135CatArrayBatchedCopy_alignedK_contigINS1_10OpaqueTypeILj8EEEjLi2ELi64ELi64ELi8EEEvPT_NS1_25CatArrInputTensorMetadataIS5_T0_XT2_EXT3_EEENS1_16TensorSizeStrideIS8_Lj4EEEiS8_.uses_flat_scratch, 0
	.set _ZN2at6native12_GLOBAL__N_135CatArrayBatchedCopy_alignedK_contigINS1_10OpaqueTypeILj8EEEjLi2ELi64ELi64ELi8EEEvPT_NS1_25CatArrInputTensorMetadataIS5_T0_XT2_EXT3_EEENS1_16TensorSizeStrideIS8_Lj4EEEiS8_.has_dyn_sized_stack, 0
	.set _ZN2at6native12_GLOBAL__N_135CatArrayBatchedCopy_alignedK_contigINS1_10OpaqueTypeILj8EEEjLi2ELi64ELi64ELi8EEEvPT_NS1_25CatArrInputTensorMetadataIS5_T0_XT2_EXT3_EEENS1_16TensorSizeStrideIS8_Lj4EEEiS8_.has_recursion, 0
	.set _ZN2at6native12_GLOBAL__N_135CatArrayBatchedCopy_alignedK_contigINS1_10OpaqueTypeILj8EEEjLi2ELi64ELi64ELi8EEEvPT_NS1_25CatArrInputTensorMetadataIS5_T0_XT2_EXT3_EEENS1_16TensorSizeStrideIS8_Lj4EEEiS8_.has_indirect_call, 0
	.section	.AMDGPU.csdata,"",@progbits
; Kernel info:
; codeLenInByte = 832
; TotalNumSgprs: 19
; NumVgprs: 13
; ScratchSize: 0
; MemoryBound: 0
; FloatMode: 240
; IeeeMode: 1
; LDSByteSize: 0 bytes/workgroup (compile time only)
; SGPRBlocks: 0
; VGPRBlocks: 1
; NumSGPRsForWavesPerEU: 19
; NumVGPRsForWavesPerEU: 13
; Occupancy: 16
; WaveLimiterHint : 1
; COMPUTE_PGM_RSRC2:SCRATCH_EN: 0
; COMPUTE_PGM_RSRC2:USER_SGPR: 6
; COMPUTE_PGM_RSRC2:TRAP_HANDLER: 0
; COMPUTE_PGM_RSRC2:TGID_X_EN: 1
; COMPUTE_PGM_RSRC2:TGID_Y_EN: 1
; COMPUTE_PGM_RSRC2:TGID_Z_EN: 0
; COMPUTE_PGM_RSRC2:TIDIG_COMP_CNT: 0
	.section	.text._ZN2at6native12_GLOBAL__N_126CatArrayBatchedCopy_contigINS1_10OpaqueTypeILj8EEEjLi2ELi64ELi64EEEvPT_NS1_25CatArrInputTensorMetadataIS5_T0_XT2_EXT3_EEENS1_16TensorSizeStrideIS8_Lj4EEEiS8_,"axG",@progbits,_ZN2at6native12_GLOBAL__N_126CatArrayBatchedCopy_contigINS1_10OpaqueTypeILj8EEEjLi2ELi64ELi64EEEvPT_NS1_25CatArrInputTensorMetadataIS5_T0_XT2_EXT3_EEENS1_16TensorSizeStrideIS8_Lj4EEEiS8_,comdat
	.globl	_ZN2at6native12_GLOBAL__N_126CatArrayBatchedCopy_contigINS1_10OpaqueTypeILj8EEEjLi2ELi64ELi64EEEvPT_NS1_25CatArrInputTensorMetadataIS5_T0_XT2_EXT3_EEENS1_16TensorSizeStrideIS8_Lj4EEEiS8_ ; -- Begin function _ZN2at6native12_GLOBAL__N_126CatArrayBatchedCopy_contigINS1_10OpaqueTypeILj8EEEjLi2ELi64ELi64EEEvPT_NS1_25CatArrInputTensorMetadataIS5_T0_XT2_EXT3_EEENS1_16TensorSizeStrideIS8_Lj4EEEiS8_
	.p2align	8
	.type	_ZN2at6native12_GLOBAL__N_126CatArrayBatchedCopy_contigINS1_10OpaqueTypeILj8EEEjLi2ELi64ELi64EEEvPT_NS1_25CatArrInputTensorMetadataIS5_T0_XT2_EXT3_EEENS1_16TensorSizeStrideIS8_Lj4EEEiS8_,@function
_ZN2at6native12_GLOBAL__N_126CatArrayBatchedCopy_contigINS1_10OpaqueTypeILj8EEEjLi2ELi64ELi64EEEvPT_NS1_25CatArrInputTensorMetadataIS5_T0_XT2_EXT3_EEENS1_16TensorSizeStrideIS8_Lj4EEEiS8_: ; @_ZN2at6native12_GLOBAL__N_126CatArrayBatchedCopy_contigINS1_10OpaqueTypeILj8EEEjLi2ELi64ELi64EEEvPT_NS1_25CatArrInputTensorMetadataIS5_T0_XT2_EXT3_EEENS1_16TensorSizeStrideIS8_Lj4EEEiS8_
; %bb.0:
	s_mov_b32 s0, s7
	s_load_dword s7, s[4:5], 0xd7c
	s_mov_b32 s1, 0
	s_add_u32 s8, s4, 0xd70
	s_addc_u32 s9, s5, 0
	s_lshl_b64 s[2:3], s[0:1], 2
	s_mov_b32 s11, exec_lo
	s_waitcnt lgkmcnt(0)
	s_and_b32 s0, s7, 0xffff
	s_add_u32 s12, s4, s2
	s_addc_u32 s13, s5, s3
	v_mad_u64_u32 v[0:1], null, s6, s0, v[0:1]
	s_load_dword s10, s[12:13], 0x408
	s_add_u32 s6, s12, 8
	s_addc_u32 s7, s13, 0
	s_waitcnt lgkmcnt(0)
	v_cmpx_gt_u32_e64 s10, v0
	s_cbranch_execz .LBB168_3
; %bb.1:
	s_add_u32 s6, s6, s2
	s_addc_u32 s7, s7, s3
	s_sub_u32 s2, 0, s2
	s_subb_u32 s3, 0, s3
	s_add_u32 s12, s6, s2
	s_addc_u32 s13, s7, s3
	s_clause 0x4
	s_load_dwordx2 s[14:15], s[4:5], 0xd68
	s_load_dword s11, s[12:13], 0x300
	s_load_dword s16, s[4:5], 0xd4c
	s_load_dwordx2 s[2:3], s[4:5], 0xd58
	s_load_dword s13, s[12:13], 0x200
	s_load_dword s9, s[8:9], 0x0
	s_clause 0x1
	s_load_dwordx2 s[4:5], s[4:5], 0x0
	s_load_dwordx2 s[6:7], s[6:7], 0x0
	s_waitcnt lgkmcnt(0)
	s_cmp_eq_u32 s14, 1
	s_cselect_b32 s11, s11, s16
	v_cvt_f32_u32_e32 v1, s11
	s_sub_i32 s12, 0, s11
	s_mul_i32 s8, s13, s15
	s_mul_i32 s9, s9, s0
	v_rcp_iflag_f32_e32 v1, v1
	v_mul_f32_e32 v1, 0x4f7ffffe, v1
	v_cvt_u32_f32_e32 v1, v1
	v_mul_lo_u32 v2, s12, v1
	v_mul_hi_u32 v2, v1, v2
	v_add_nc_u32_e32 v2, v1, v2
	v_mov_b32_e32 v1, 0
	s_inst_prefetch 0x1
	.p2align	6
.LBB168_2:                              ; =>This Inner Loop Header: Depth=1
	v_lshlrev_b64 v[3:4], 3, v[0:1]
	v_mul_hi_u32 v7, v2, v0
	v_add_co_u32 v3, vcc_lo, s6, v3
	v_add_co_ci_u32_e64 v4, null, s7, v4, vcc_lo
	v_mul_lo_u32 v5, s11, v7
	v_not_b32_e32 v6, v7
	v_add_nc_u32_e32 v8, 1, v7
	global_load_dwordx2 v[3:4], v[3:4], off
	v_sub_nc_u32_e32 v9, v0, v5
	v_mad_u64_u32 v[5:6], null, s11, v6, v[0:1]
	v_cmp_le_u32_e32 vcc_lo, s11, v9
	v_cndmask_b32_e32 v6, v7, v8, vcc_lo
	v_cndmask_b32_e32 v5, v9, v5, vcc_lo
	v_add_nc_u32_e32 v7, 1, v6
	v_cmp_le_u32_e32 vcc_lo, s11, v5
	v_cndmask_b32_e32 v7, v6, v7, vcc_lo
	v_mad_u64_u32 v[5:6], null, s12, v7, v[0:1]
	v_mul_lo_u32 v7, v7, s2
	v_mov_b32_e32 v6, v1
	v_add_nc_u32_e32 v0, s9, v0
	v_mul_lo_u32 v5, v5, s3
	v_cmp_le_u32_e32 vcc_lo, s10, v0
	s_or_b32 s1, vcc_lo, s1
	v_add3_u32 v5, v7, s8, v5
	v_lshlrev_b64 v[5:6], 3, v[5:6]
	v_add_co_u32 v5, s0, s4, v5
	v_add_co_ci_u32_e64 v6, null, s5, v6, s0
	s_waitcnt vmcnt(0)
	global_store_dwordx2 v[5:6], v[3:4], off
	s_andn2_b32 exec_lo, exec_lo, s1
	s_cbranch_execnz .LBB168_2
.LBB168_3:
	s_inst_prefetch 0x2
	s_endpgm
	.section	.rodata,"a",@progbits
	.p2align	6, 0x0
	.amdhsa_kernel _ZN2at6native12_GLOBAL__N_126CatArrayBatchedCopy_contigINS1_10OpaqueTypeILj8EEEjLi2ELi64ELi64EEEvPT_NS1_25CatArrInputTensorMetadataIS5_T0_XT2_EXT3_EEENS1_16TensorSizeStrideIS8_Lj4EEEiS8_
		.amdhsa_group_segment_fixed_size 0
		.amdhsa_private_segment_fixed_size 0
		.amdhsa_kernarg_size 3696
		.amdhsa_user_sgpr_count 6
		.amdhsa_user_sgpr_private_segment_buffer 1
		.amdhsa_user_sgpr_dispatch_ptr 0
		.amdhsa_user_sgpr_queue_ptr 0
		.amdhsa_user_sgpr_kernarg_segment_ptr 1
		.amdhsa_user_sgpr_dispatch_id 0
		.amdhsa_user_sgpr_flat_scratch_init 0
		.amdhsa_user_sgpr_private_segment_size 0
		.amdhsa_wavefront_size32 1
		.amdhsa_uses_dynamic_stack 0
		.amdhsa_system_sgpr_private_segment_wavefront_offset 0
		.amdhsa_system_sgpr_workgroup_id_x 1
		.amdhsa_system_sgpr_workgroup_id_y 1
		.amdhsa_system_sgpr_workgroup_id_z 0
		.amdhsa_system_sgpr_workgroup_info 0
		.amdhsa_system_vgpr_workitem_id 0
		.amdhsa_next_free_vgpr 10
		.amdhsa_next_free_sgpr 17
		.amdhsa_reserve_vcc 1
		.amdhsa_reserve_flat_scratch 0
		.amdhsa_float_round_mode_32 0
		.amdhsa_float_round_mode_16_64 0
		.amdhsa_float_denorm_mode_32 3
		.amdhsa_float_denorm_mode_16_64 3
		.amdhsa_dx10_clamp 1
		.amdhsa_ieee_mode 1
		.amdhsa_fp16_overflow 0
		.amdhsa_workgroup_processor_mode 1
		.amdhsa_memory_ordered 1
		.amdhsa_forward_progress 1
		.amdhsa_shared_vgpr_count 0
		.amdhsa_exception_fp_ieee_invalid_op 0
		.amdhsa_exception_fp_denorm_src 0
		.amdhsa_exception_fp_ieee_div_zero 0
		.amdhsa_exception_fp_ieee_overflow 0
		.amdhsa_exception_fp_ieee_underflow 0
		.amdhsa_exception_fp_ieee_inexact 0
		.amdhsa_exception_int_div_zero 0
	.end_amdhsa_kernel
	.section	.text._ZN2at6native12_GLOBAL__N_126CatArrayBatchedCopy_contigINS1_10OpaqueTypeILj8EEEjLi2ELi64ELi64EEEvPT_NS1_25CatArrInputTensorMetadataIS5_T0_XT2_EXT3_EEENS1_16TensorSizeStrideIS8_Lj4EEEiS8_,"axG",@progbits,_ZN2at6native12_GLOBAL__N_126CatArrayBatchedCopy_contigINS1_10OpaqueTypeILj8EEEjLi2ELi64ELi64EEEvPT_NS1_25CatArrInputTensorMetadataIS5_T0_XT2_EXT3_EEENS1_16TensorSizeStrideIS8_Lj4EEEiS8_,comdat
.Lfunc_end168:
	.size	_ZN2at6native12_GLOBAL__N_126CatArrayBatchedCopy_contigINS1_10OpaqueTypeILj8EEEjLi2ELi64ELi64EEEvPT_NS1_25CatArrInputTensorMetadataIS5_T0_XT2_EXT3_EEENS1_16TensorSizeStrideIS8_Lj4EEEiS8_, .Lfunc_end168-_ZN2at6native12_GLOBAL__N_126CatArrayBatchedCopy_contigINS1_10OpaqueTypeILj8EEEjLi2ELi64ELi64EEEvPT_NS1_25CatArrInputTensorMetadataIS5_T0_XT2_EXT3_EEENS1_16TensorSizeStrideIS8_Lj4EEEiS8_
                                        ; -- End function
	.set _ZN2at6native12_GLOBAL__N_126CatArrayBatchedCopy_contigINS1_10OpaqueTypeILj8EEEjLi2ELi64ELi64EEEvPT_NS1_25CatArrInputTensorMetadataIS5_T0_XT2_EXT3_EEENS1_16TensorSizeStrideIS8_Lj4EEEiS8_.num_vgpr, 10
	.set _ZN2at6native12_GLOBAL__N_126CatArrayBatchedCopy_contigINS1_10OpaqueTypeILj8EEEjLi2ELi64ELi64EEEvPT_NS1_25CatArrInputTensorMetadataIS5_T0_XT2_EXT3_EEENS1_16TensorSizeStrideIS8_Lj4EEEiS8_.num_agpr, 0
	.set _ZN2at6native12_GLOBAL__N_126CatArrayBatchedCopy_contigINS1_10OpaqueTypeILj8EEEjLi2ELi64ELi64EEEvPT_NS1_25CatArrInputTensorMetadataIS5_T0_XT2_EXT3_EEENS1_16TensorSizeStrideIS8_Lj4EEEiS8_.numbered_sgpr, 17
	.set _ZN2at6native12_GLOBAL__N_126CatArrayBatchedCopy_contigINS1_10OpaqueTypeILj8EEEjLi2ELi64ELi64EEEvPT_NS1_25CatArrInputTensorMetadataIS5_T0_XT2_EXT3_EEENS1_16TensorSizeStrideIS8_Lj4EEEiS8_.num_named_barrier, 0
	.set _ZN2at6native12_GLOBAL__N_126CatArrayBatchedCopy_contigINS1_10OpaqueTypeILj8EEEjLi2ELi64ELi64EEEvPT_NS1_25CatArrInputTensorMetadataIS5_T0_XT2_EXT3_EEENS1_16TensorSizeStrideIS8_Lj4EEEiS8_.private_seg_size, 0
	.set _ZN2at6native12_GLOBAL__N_126CatArrayBatchedCopy_contigINS1_10OpaqueTypeILj8EEEjLi2ELi64ELi64EEEvPT_NS1_25CatArrInputTensorMetadataIS5_T0_XT2_EXT3_EEENS1_16TensorSizeStrideIS8_Lj4EEEiS8_.uses_vcc, 1
	.set _ZN2at6native12_GLOBAL__N_126CatArrayBatchedCopy_contigINS1_10OpaqueTypeILj8EEEjLi2ELi64ELi64EEEvPT_NS1_25CatArrInputTensorMetadataIS5_T0_XT2_EXT3_EEENS1_16TensorSizeStrideIS8_Lj4EEEiS8_.uses_flat_scratch, 0
	.set _ZN2at6native12_GLOBAL__N_126CatArrayBatchedCopy_contigINS1_10OpaqueTypeILj8EEEjLi2ELi64ELi64EEEvPT_NS1_25CatArrInputTensorMetadataIS5_T0_XT2_EXT3_EEENS1_16TensorSizeStrideIS8_Lj4EEEiS8_.has_dyn_sized_stack, 0
	.set _ZN2at6native12_GLOBAL__N_126CatArrayBatchedCopy_contigINS1_10OpaqueTypeILj8EEEjLi2ELi64ELi64EEEvPT_NS1_25CatArrInputTensorMetadataIS5_T0_XT2_EXT3_EEENS1_16TensorSizeStrideIS8_Lj4EEEiS8_.has_recursion, 0
	.set _ZN2at6native12_GLOBAL__N_126CatArrayBatchedCopy_contigINS1_10OpaqueTypeILj8EEEjLi2ELi64ELi64EEEvPT_NS1_25CatArrInputTensorMetadataIS5_T0_XT2_EXT3_EEENS1_16TensorSizeStrideIS8_Lj4EEEiS8_.has_indirect_call, 0
	.section	.AMDGPU.csdata,"",@progbits
; Kernel info:
; codeLenInByte = 512
; TotalNumSgprs: 19
; NumVgprs: 10
; ScratchSize: 0
; MemoryBound: 0
; FloatMode: 240
; IeeeMode: 1
; LDSByteSize: 0 bytes/workgroup (compile time only)
; SGPRBlocks: 0
; VGPRBlocks: 1
; NumSGPRsForWavesPerEU: 19
; NumVGPRsForWavesPerEU: 10
; Occupancy: 16
; WaveLimiterHint : 1
; COMPUTE_PGM_RSRC2:SCRATCH_EN: 0
; COMPUTE_PGM_RSRC2:USER_SGPR: 6
; COMPUTE_PGM_RSRC2:TRAP_HANDLER: 0
; COMPUTE_PGM_RSRC2:TGID_X_EN: 1
; COMPUTE_PGM_RSRC2:TGID_Y_EN: 1
; COMPUTE_PGM_RSRC2:TGID_Z_EN: 0
; COMPUTE_PGM_RSRC2:TIDIG_COMP_CNT: 0
	.section	.text._ZN2at6native12_GLOBAL__N_119CatArrayBatchedCopyINS1_10OpaqueTypeILj8EEEjLi2ELi64ELi64EEEvPT_NS1_25CatArrInputTensorMetadataIS5_T0_XT2_EXT3_EEENS1_16TensorSizeStrideIS8_Lj4EEEiS8_,"axG",@progbits,_ZN2at6native12_GLOBAL__N_119CatArrayBatchedCopyINS1_10OpaqueTypeILj8EEEjLi2ELi64ELi64EEEvPT_NS1_25CatArrInputTensorMetadataIS5_T0_XT2_EXT3_EEENS1_16TensorSizeStrideIS8_Lj4EEEiS8_,comdat
	.globl	_ZN2at6native12_GLOBAL__N_119CatArrayBatchedCopyINS1_10OpaqueTypeILj8EEEjLi2ELi64ELi64EEEvPT_NS1_25CatArrInputTensorMetadataIS5_T0_XT2_EXT3_EEENS1_16TensorSizeStrideIS8_Lj4EEEiS8_ ; -- Begin function _ZN2at6native12_GLOBAL__N_119CatArrayBatchedCopyINS1_10OpaqueTypeILj8EEEjLi2ELi64ELi64EEEvPT_NS1_25CatArrInputTensorMetadataIS5_T0_XT2_EXT3_EEENS1_16TensorSizeStrideIS8_Lj4EEEiS8_
	.p2align	8
	.type	_ZN2at6native12_GLOBAL__N_119CatArrayBatchedCopyINS1_10OpaqueTypeILj8EEEjLi2ELi64ELi64EEEvPT_NS1_25CatArrInputTensorMetadataIS5_T0_XT2_EXT3_EEENS1_16TensorSizeStrideIS8_Lj4EEEiS8_,@function
_ZN2at6native12_GLOBAL__N_119CatArrayBatchedCopyINS1_10OpaqueTypeILj8EEEjLi2ELi64ELi64EEEvPT_NS1_25CatArrInputTensorMetadataIS5_T0_XT2_EXT3_EEENS1_16TensorSizeStrideIS8_Lj4EEEiS8_: ; @_ZN2at6native12_GLOBAL__N_119CatArrayBatchedCopyINS1_10OpaqueTypeILj8EEEjLi2ELi64ELi64EEEvPT_NS1_25CatArrInputTensorMetadataIS5_T0_XT2_EXT3_EEENS1_16TensorSizeStrideIS8_Lj4EEEiS8_
; %bb.0:
	s_load_dword s8, s[4:5], 0xd7c
	s_mov_b32 s0, s7
	s_or_b32 s7, s4, 8
	s_mov_b32 s1, 0
	s_add_u32 s10, s4, 0xd70
	s_addc_u32 s11, s5, 0
	s_lshl_b64 s[2:3], s[0:1], 2
	s_mov_b32 s13, exec_lo
	s_waitcnt lgkmcnt(0)
	s_and_b32 s17, s8, 0xffff
	s_add_u32 s8, s7, s2
	s_addc_u32 s9, s5, s3
	v_mad_u64_u32 v[0:1], null, s6, s17, v[0:1]
	s_load_dword s12, s[8:9], 0x400
	s_waitcnt lgkmcnt(0)
	v_cmpx_gt_u32_e64 s12, v0
	s_cbranch_execz .LBB169_5
; %bb.1:
	s_mul_i32 s13, s0, 28
	s_mul_hi_u32 s14, s0, 28
	s_add_u32 s8, s8, s13
	v_mov_b32_e32 v1, 0
	s_addc_u32 s9, s9, s14
	s_add_u32 s14, s7, s0
	s_addc_u32 s15, s5, 0
	s_load_dwordx2 s[18:19], s[4:5], 0xd68
	global_load_ubyte v2, v1, s[14:15] offset:1280
	s_mul_hi_u32 s6, s0, 7
	s_mul_i32 s0, s0, 7
	s_waitcnt vmcnt(0)
	v_and_b32_e32 v2, 1, v2
	v_cmp_eq_u32_e32 vcc_lo, 1, v2
	s_xor_b32 s13, vcc_lo, -1
	s_add_u32 s14, s14, s0
	s_addc_u32 s15, s15, s6
	s_sub_u32 s0, 0, s2
	s_subb_u32 s2, 0, s3
	s_add_u32 s20, s14, s0
	s_addc_u32 s21, s15, s2
	s_clause 0x3
	s_load_dword s0, s[4:5], 0xd4c
	s_load_dword s16, s[20:21], 0x300
	s_load_dword s22, s[8:9], 0x544
	s_load_dwordx2 s[2:3], s[4:5], 0xd58
	s_waitcnt lgkmcnt(0)
	s_cmp_eq_u32 s18, 1
	s_clause 0x3
	s_load_dwordx2 s[6:7], s[8:9], 0x550
	s_load_dwordx2 s[8:9], s[14:15], 0x0
	s_load_dword s18, s[20:21], 0x200
	s_load_dwordx2 s[4:5], s[4:5], 0x0
	s_cselect_b32 s14, s16, s0
	s_cselect_b32 s15, s16, s22
	v_cvt_f32_u32_e32 v2, s14
	v_cvt_f32_u32_e32 v3, s15
	s_load_dword s0, s[10:11], 0x0
	s_sub_i32 s10, 0, s14
	s_sub_i32 s11, 0, s15
	v_rcp_iflag_f32_e32 v2, v2
	v_rcp_iflag_f32_e32 v3, v3
	s_waitcnt lgkmcnt(0)
	s_mul_i32 s16, s18, s19
	v_mul_f32_e32 v2, 0x4f7ffffe, v2
	v_mul_f32_e32 v3, 0x4f7ffffe, v3
	v_cvt_u32_f32_e32 v2, v2
	v_cvt_u32_f32_e32 v3, v3
	s_mul_i32 s17, s0, s17
	v_mul_lo_u32 v4, s10, v2
	v_mul_lo_u32 v5, s11, v3
	v_mul_hi_u32 v4, v2, v4
	v_mul_hi_u32 v5, v3, v5
	v_add_nc_u32_e32 v4, v2, v4
	v_add_nc_u32_e32 v5, v3, v5
	s_branch .LBB169_3
.LBB169_2:                              ;   in Loop: Header=BB169_3 Depth=1
	v_lshlrev_b64 v[2:3], 3, v[2:3]
	v_mul_hi_u32 v9, v4, v0
	v_add_co_u32 v2, vcc_lo, s8, v2
	v_add_co_ci_u32_e64 v3, null, s9, v3, vcc_lo
	v_not_b32_e32 v8, v9
	v_mad_u64_u32 v[6:7], null, s10, v9, v[0:1]
	global_load_dwordx2 v[2:3], v[2:3], off
	v_add_nc_u32_e32 v10, 1, v9
	v_mad_u64_u32 v[7:8], null, s14, v8, v[0:1]
	v_cmp_le_u32_e32 vcc_lo, s14, v6
	v_cndmask_b32_e32 v8, v9, v10, vcc_lo
	v_cndmask_b32_e32 v6, v6, v7, vcc_lo
	v_add_nc_u32_e32 v7, 1, v8
	v_cmp_le_u32_e32 vcc_lo, s14, v6
	v_cndmask_b32_e32 v8, v8, v7, vcc_lo
	v_mad_u64_u32 v[6:7], null, s10, v8, v[0:1]
	v_mul_lo_u32 v7, v8, s2
	v_add_nc_u32_e32 v0, s17, v0
	v_mul_lo_u32 v6, v6, s3
	v_cmp_le_u32_e32 vcc_lo, s12, v0
	s_or_b32 s1, vcc_lo, s1
	v_add3_u32 v6, v6, v7, s16
	v_mov_b32_e32 v7, v1
	v_lshlrev_b64 v[6:7], 3, v[6:7]
	v_add_co_u32 v6, s0, s4, v6
	v_add_co_ci_u32_e64 v7, null, s5, v7, s0
	s_waitcnt vmcnt(0)
	global_store_dwordx2 v[6:7], v[2:3], off
	s_andn2_b32 exec_lo, exec_lo, s1
	s_cbranch_execz .LBB169_5
.LBB169_3:                              ; =>This Inner Loop Header: Depth=1
	v_mov_b32_e32 v3, v1
	v_mov_b32_e32 v2, v0
	s_andn2_b32 vcc_lo, exec_lo, s13
	s_cbranch_vccnz .LBB169_2
; %bb.4:                                ;   in Loop: Header=BB169_3 Depth=1
	v_mul_hi_u32 v8, v5, v0
	v_not_b32_e32 v6, v8
	v_mad_u64_u32 v[2:3], null, s11, v8, v[0:1]
	v_add_nc_u32_e32 v3, 1, v8
	v_mad_u64_u32 v[6:7], null, s15, v6, v[0:1]
	v_cmp_le_u32_e32 vcc_lo, s15, v2
	v_cndmask_b32_e32 v3, v8, v3, vcc_lo
	v_cndmask_b32_e32 v2, v2, v6, vcc_lo
	v_add_nc_u32_e32 v6, 1, v3
	v_cmp_le_u32_e32 vcc_lo, s15, v2
	v_cndmask_b32_e32 v6, v3, v6, vcc_lo
	v_mad_u64_u32 v[2:3], null, s11, v6, v[0:1]
	v_mul_lo_u32 v3, v6, s6
	v_mad_u64_u32 v[2:3], null, v2, s7, v[3:4]
	v_mov_b32_e32 v3, v1
	s_branch .LBB169_2
.LBB169_5:
	s_endpgm
	.section	.rodata,"a",@progbits
	.p2align	6, 0x0
	.amdhsa_kernel _ZN2at6native12_GLOBAL__N_119CatArrayBatchedCopyINS1_10OpaqueTypeILj8EEEjLi2ELi64ELi64EEEvPT_NS1_25CatArrInputTensorMetadataIS5_T0_XT2_EXT3_EEENS1_16TensorSizeStrideIS8_Lj4EEEiS8_
		.amdhsa_group_segment_fixed_size 0
		.amdhsa_private_segment_fixed_size 0
		.amdhsa_kernarg_size 3696
		.amdhsa_user_sgpr_count 6
		.amdhsa_user_sgpr_private_segment_buffer 1
		.amdhsa_user_sgpr_dispatch_ptr 0
		.amdhsa_user_sgpr_queue_ptr 0
		.amdhsa_user_sgpr_kernarg_segment_ptr 1
		.amdhsa_user_sgpr_dispatch_id 0
		.amdhsa_user_sgpr_flat_scratch_init 0
		.amdhsa_user_sgpr_private_segment_size 0
		.amdhsa_wavefront_size32 1
		.amdhsa_uses_dynamic_stack 0
		.amdhsa_system_sgpr_private_segment_wavefront_offset 0
		.amdhsa_system_sgpr_workgroup_id_x 1
		.amdhsa_system_sgpr_workgroup_id_y 1
		.amdhsa_system_sgpr_workgroup_id_z 0
		.amdhsa_system_sgpr_workgroup_info 0
		.amdhsa_system_vgpr_workitem_id 0
		.amdhsa_next_free_vgpr 11
		.amdhsa_next_free_sgpr 23
		.amdhsa_reserve_vcc 1
		.amdhsa_reserve_flat_scratch 0
		.amdhsa_float_round_mode_32 0
		.amdhsa_float_round_mode_16_64 0
		.amdhsa_float_denorm_mode_32 3
		.amdhsa_float_denorm_mode_16_64 3
		.amdhsa_dx10_clamp 1
		.amdhsa_ieee_mode 1
		.amdhsa_fp16_overflow 0
		.amdhsa_workgroup_processor_mode 1
		.amdhsa_memory_ordered 1
		.amdhsa_forward_progress 1
		.amdhsa_shared_vgpr_count 0
		.amdhsa_exception_fp_ieee_invalid_op 0
		.amdhsa_exception_fp_denorm_src 0
		.amdhsa_exception_fp_ieee_div_zero 0
		.amdhsa_exception_fp_ieee_overflow 0
		.amdhsa_exception_fp_ieee_underflow 0
		.amdhsa_exception_fp_ieee_inexact 0
		.amdhsa_exception_int_div_zero 0
	.end_amdhsa_kernel
	.section	.text._ZN2at6native12_GLOBAL__N_119CatArrayBatchedCopyINS1_10OpaqueTypeILj8EEEjLi2ELi64ELi64EEEvPT_NS1_25CatArrInputTensorMetadataIS5_T0_XT2_EXT3_EEENS1_16TensorSizeStrideIS8_Lj4EEEiS8_,"axG",@progbits,_ZN2at6native12_GLOBAL__N_119CatArrayBatchedCopyINS1_10OpaqueTypeILj8EEEjLi2ELi64ELi64EEEvPT_NS1_25CatArrInputTensorMetadataIS5_T0_XT2_EXT3_EEENS1_16TensorSizeStrideIS8_Lj4EEEiS8_,comdat
.Lfunc_end169:
	.size	_ZN2at6native12_GLOBAL__N_119CatArrayBatchedCopyINS1_10OpaqueTypeILj8EEEjLi2ELi64ELi64EEEvPT_NS1_25CatArrInputTensorMetadataIS5_T0_XT2_EXT3_EEENS1_16TensorSizeStrideIS8_Lj4EEEiS8_, .Lfunc_end169-_ZN2at6native12_GLOBAL__N_119CatArrayBatchedCopyINS1_10OpaqueTypeILj8EEEjLi2ELi64ELi64EEEvPT_NS1_25CatArrInputTensorMetadataIS5_T0_XT2_EXT3_EEENS1_16TensorSizeStrideIS8_Lj4EEEiS8_
                                        ; -- End function
	.set _ZN2at6native12_GLOBAL__N_119CatArrayBatchedCopyINS1_10OpaqueTypeILj8EEEjLi2ELi64ELi64EEEvPT_NS1_25CatArrInputTensorMetadataIS5_T0_XT2_EXT3_EEENS1_16TensorSizeStrideIS8_Lj4EEEiS8_.num_vgpr, 11
	.set _ZN2at6native12_GLOBAL__N_119CatArrayBatchedCopyINS1_10OpaqueTypeILj8EEEjLi2ELi64ELi64EEEvPT_NS1_25CatArrInputTensorMetadataIS5_T0_XT2_EXT3_EEENS1_16TensorSizeStrideIS8_Lj4EEEiS8_.num_agpr, 0
	.set _ZN2at6native12_GLOBAL__N_119CatArrayBatchedCopyINS1_10OpaqueTypeILj8EEEjLi2ELi64ELi64EEEvPT_NS1_25CatArrInputTensorMetadataIS5_T0_XT2_EXT3_EEENS1_16TensorSizeStrideIS8_Lj4EEEiS8_.numbered_sgpr, 23
	.set _ZN2at6native12_GLOBAL__N_119CatArrayBatchedCopyINS1_10OpaqueTypeILj8EEEjLi2ELi64ELi64EEEvPT_NS1_25CatArrInputTensorMetadataIS5_T0_XT2_EXT3_EEENS1_16TensorSizeStrideIS8_Lj4EEEiS8_.num_named_barrier, 0
	.set _ZN2at6native12_GLOBAL__N_119CatArrayBatchedCopyINS1_10OpaqueTypeILj8EEEjLi2ELi64ELi64EEEvPT_NS1_25CatArrInputTensorMetadataIS5_T0_XT2_EXT3_EEENS1_16TensorSizeStrideIS8_Lj4EEEiS8_.private_seg_size, 0
	.set _ZN2at6native12_GLOBAL__N_119CatArrayBatchedCopyINS1_10OpaqueTypeILj8EEEjLi2ELi64ELi64EEEvPT_NS1_25CatArrInputTensorMetadataIS5_T0_XT2_EXT3_EEENS1_16TensorSizeStrideIS8_Lj4EEEiS8_.uses_vcc, 1
	.set _ZN2at6native12_GLOBAL__N_119CatArrayBatchedCopyINS1_10OpaqueTypeILj8EEEjLi2ELi64ELi64EEEvPT_NS1_25CatArrInputTensorMetadataIS5_T0_XT2_EXT3_EEENS1_16TensorSizeStrideIS8_Lj4EEEiS8_.uses_flat_scratch, 0
	.set _ZN2at6native12_GLOBAL__N_119CatArrayBatchedCopyINS1_10OpaqueTypeILj8EEEjLi2ELi64ELi64EEEvPT_NS1_25CatArrInputTensorMetadataIS5_T0_XT2_EXT3_EEENS1_16TensorSizeStrideIS8_Lj4EEEiS8_.has_dyn_sized_stack, 0
	.set _ZN2at6native12_GLOBAL__N_119CatArrayBatchedCopyINS1_10OpaqueTypeILj8EEEjLi2ELi64ELi64EEEvPT_NS1_25CatArrInputTensorMetadataIS5_T0_XT2_EXT3_EEENS1_16TensorSizeStrideIS8_Lj4EEEiS8_.has_recursion, 0
	.set _ZN2at6native12_GLOBAL__N_119CatArrayBatchedCopyINS1_10OpaqueTypeILj8EEEjLi2ELi64ELi64EEEvPT_NS1_25CatArrInputTensorMetadataIS5_T0_XT2_EXT3_EEENS1_16TensorSizeStrideIS8_Lj4EEEiS8_.has_indirect_call, 0
	.section	.AMDGPU.csdata,"",@progbits
; Kernel info:
; codeLenInByte = 672
; TotalNumSgprs: 25
; NumVgprs: 11
; ScratchSize: 0
; MemoryBound: 0
; FloatMode: 240
; IeeeMode: 1
; LDSByteSize: 0 bytes/workgroup (compile time only)
; SGPRBlocks: 0
; VGPRBlocks: 1
; NumSGPRsForWavesPerEU: 25
; NumVGPRsForWavesPerEU: 11
; Occupancy: 16
; WaveLimiterHint : 1
; COMPUTE_PGM_RSRC2:SCRATCH_EN: 0
; COMPUTE_PGM_RSRC2:USER_SGPR: 6
; COMPUTE_PGM_RSRC2:TRAP_HANDLER: 0
; COMPUTE_PGM_RSRC2:TGID_X_EN: 1
; COMPUTE_PGM_RSRC2:TGID_Y_EN: 1
; COMPUTE_PGM_RSRC2:TGID_Z_EN: 0
; COMPUTE_PGM_RSRC2:TIDIG_COMP_CNT: 0
	.section	.text._ZN2at6native12_GLOBAL__N_130CatArrayBatchedCopy_vectorizedINS1_10OpaqueTypeILj8EEEjLi3ELi64ELi64ELi16ELi2EEEvPcNS1_25CatArrInputTensorMetadataIT_T0_XT2_EXT3_EEENS1_16TensorSizeStrideIS8_Lj4EEEiS8_,"axG",@progbits,_ZN2at6native12_GLOBAL__N_130CatArrayBatchedCopy_vectorizedINS1_10OpaqueTypeILj8EEEjLi3ELi64ELi64ELi16ELi2EEEvPcNS1_25CatArrInputTensorMetadataIT_T0_XT2_EXT3_EEENS1_16TensorSizeStrideIS8_Lj4EEEiS8_,comdat
	.globl	_ZN2at6native12_GLOBAL__N_130CatArrayBatchedCopy_vectorizedINS1_10OpaqueTypeILj8EEEjLi3ELi64ELi64ELi16ELi2EEEvPcNS1_25CatArrInputTensorMetadataIT_T0_XT2_EXT3_EEENS1_16TensorSizeStrideIS8_Lj4EEEiS8_ ; -- Begin function _ZN2at6native12_GLOBAL__N_130CatArrayBatchedCopy_vectorizedINS1_10OpaqueTypeILj8EEEjLi3ELi64ELi64ELi16ELi2EEEvPcNS1_25CatArrInputTensorMetadataIT_T0_XT2_EXT3_EEENS1_16TensorSizeStrideIS8_Lj4EEEiS8_
	.p2align	8
	.type	_ZN2at6native12_GLOBAL__N_130CatArrayBatchedCopy_vectorizedINS1_10OpaqueTypeILj8EEEjLi3ELi64ELi64ELi16ELi2EEEvPcNS1_25CatArrInputTensorMetadataIT_T0_XT2_EXT3_EEENS1_16TensorSizeStrideIS8_Lj4EEEiS8_,@function
_ZN2at6native12_GLOBAL__N_130CatArrayBatchedCopy_vectorizedINS1_10OpaqueTypeILj8EEEjLi3ELi64ELi64ELi16ELi2EEEvPcNS1_25CatArrInputTensorMetadataIT_T0_XT2_EXT3_EEENS1_16TensorSizeStrideIS8_Lj4EEEiS8_: ; @_ZN2at6native12_GLOBAL__N_130CatArrayBatchedCopy_vectorizedINS1_10OpaqueTypeILj8EEEjLi3ELi64ELi64ELi16ELi2EEEvPcNS1_25CatArrInputTensorMetadataIT_T0_XT2_EXT3_EEENS1_16TensorSizeStrideIS8_Lj4EEEiS8_
; %bb.0:
	s_mov_b32 s0, s7
	s_load_dword s7, s[4:5], 0xd7c
	s_mov_b32 s1, 0
	s_add_u32 s2, s4, 0xd70
	s_addc_u32 s3, s5, 0
	s_lshl_b64 s[8:9], s[0:1], 2
	s_waitcnt lgkmcnt(0)
	s_and_b32 s13, s7, 0xffff
	s_add_u32 s10, s4, s8
	s_addc_u32 s11, s5, s9
	v_mad_u64_u32 v[0:1], null, s6, s13, v[0:1]
	s_load_dword s12, s[10:11], 0x408
	s_add_u32 s0, s10, 8
	s_addc_u32 s7, s11, 0
	s_mov_b32 s10, exec_lo
	s_waitcnt lgkmcnt(0)
	s_lshr_b32 s6, s12, 1
	v_cmpx_gt_u32_e64 s6, v0
	s_cbranch_execz .LBB170_3
; %bb.1:
	s_add_u32 s14, s0, s8
	s_addc_u32 s15, s7, s9
	s_sub_u32 s0, 0, s8
	s_subb_u32 s7, 0, s9
	s_add_u32 s8, s14, s0
	s_addc_u32 s9, s15, s7
	s_clause 0x5
	s_load_dwordx2 s[16:17], s[4:5], 0xd68
	s_load_dword s0, s[8:9], 0x200
	s_load_dword s7, s[8:9], 0x300
	s_load_dwordx2 s[18:19], s[4:5], 0xd4c
	s_load_dwordx4 s[8:11], s[4:5], 0xd58
	s_load_dwordx2 s[22:23], s[4:5], 0x0
	s_waitcnt lgkmcnt(0)
	s_mul_i32 s0, s0, s17
	s_mul_i32 s7, s7, s17
	s_lshr_b32 s0, s0, 1
	s_lshr_b32 s7, s7, 1
	s_lshl_b64 s[20:21], s[0:1], 4
	s_cmp_eq_u32 s16, 2
	s_cselect_b32 s4, s7, s19
	s_cmp_eq_u32 s16, 1
	v_cvt_f32_u32_e32 v1, s4
	s_cselect_b32 s5, s7, s18
	s_add_u32 s7, s22, s20
	v_cvt_f32_u32_e32 v2, s5
	s_addc_u32 s11, s23, s21
	v_rcp_iflag_f32_e32 v1, v1
	s_sub_i32 s12, 0, s4
	s_sub_i32 s0, 0, s5
	v_rcp_iflag_f32_e32 v2, v2
	s_load_dword s16, s[2:3], 0x0
	s_load_dwordx2 s[2:3], s[14:15], 0x0
	v_mul_f32_e32 v1, 0x4f7ffffe, v1
	v_mul_f32_e32 v2, 0x4f7ffffe, v2
	v_cvt_u32_f32_e32 v1, v1
	v_cvt_u32_f32_e32 v3, v2
	v_mul_lo_u32 v2, s12, v1
	v_mul_lo_u32 v4, s0, v3
	s_waitcnt lgkmcnt(0)
	s_mul_i32 s13, s16, s13
	v_mul_hi_u32 v2, v1, v2
	v_mul_hi_u32 v4, v3, v4
	v_add_nc_u32_e32 v2, v1, v2
	v_mov_b32_e32 v1, 0
	v_add_nc_u32_e32 v3, v3, v4
.LBB170_2:                              ; =>This Inner Loop Header: Depth=1
	v_lshlrev_b64 v[4:5], 4, v[0:1]
	v_mul_hi_u32 v10, v2, v0
	v_add_co_u32 v4, vcc_lo, s2, v4
	v_add_co_ci_u32_e64 v5, null, s3, v5, vcc_lo
	v_mul_lo_u32 v11, s4, v10
	v_not_b32_e32 v8, v10
	v_add_nc_u32_e32 v12, 1, v10
	global_load_dwordx4 v[4:7], v[4:5], off
	v_mad_u64_u32 v[8:9], null, s4, v8, v[0:1]
	v_sub_nc_u32_e32 v9, v0, v11
	v_cmp_le_u32_e32 vcc_lo, s4, v9
	v_cndmask_b32_e32 v10, v10, v12, vcc_lo
	v_cndmask_b32_e32 v8, v9, v8, vcc_lo
	v_add_nc_u32_e32 v9, 1, v10
	v_cmp_le_u32_e32 vcc_lo, s4, v8
	v_cndmask_b32_e32 v10, v10, v9, vcc_lo
	v_mul_hi_u32 v8, v10, v3
	v_mul_lo_u32 v9, v8, s5
	v_add_nc_u32_e32 v11, 1, v8
	v_sub_nc_u32_e32 v9, v10, v9
	v_subrev_nc_u32_e32 v12, s5, v9
	v_cmp_le_u32_e32 vcc_lo, s5, v9
	v_cndmask_b32_e32 v8, v8, v11, vcc_lo
	v_cndmask_b32_e32 v9, v9, v12, vcc_lo
	v_add_nc_u32_e32 v11, 1, v8
	v_cmp_le_u32_e32 vcc_lo, s5, v9
	v_cndmask_b32_e32 v11, v8, v11, vcc_lo
	v_mad_u64_u32 v[8:9], null, s12, v10, v[0:1]
	v_add_nc_u32_e32 v0, s13, v0
	v_mul_lo_u32 v12, v11, s5
	v_cmp_le_u32_e32 vcc_lo, s6, v0
	v_mul_lo_u32 v8, v8, s10
	v_sub_nc_u32_e32 v9, v10, v12
	v_mul_lo_u32 v10, v11, s8
	s_or_b32 s1, vcc_lo, s1
	v_mul_lo_u32 v11, v9, s9
	v_mov_b32_e32 v9, v1
	v_add3_u32 v8, v8, v10, v11
	v_lshlrev_b64 v[8:9], 4, v[8:9]
	v_add_co_u32 v8, s0, s7, v8
	v_add_co_ci_u32_e64 v9, null, s11, v9, s0
	s_waitcnt vmcnt(0)
	global_store_dwordx4 v[8:9], v[4:7], off
	s_andn2_b32 exec_lo, exec_lo, s1
	s_cbranch_execnz .LBB170_2
.LBB170_3:
	s_endpgm
	.section	.rodata,"a",@progbits
	.p2align	6, 0x0
	.amdhsa_kernel _ZN2at6native12_GLOBAL__N_130CatArrayBatchedCopy_vectorizedINS1_10OpaqueTypeILj8EEEjLi3ELi64ELi64ELi16ELi2EEEvPcNS1_25CatArrInputTensorMetadataIT_T0_XT2_EXT3_EEENS1_16TensorSizeStrideIS8_Lj4EEEiS8_
		.amdhsa_group_segment_fixed_size 0
		.amdhsa_private_segment_fixed_size 0
		.amdhsa_kernarg_size 3696
		.amdhsa_user_sgpr_count 6
		.amdhsa_user_sgpr_private_segment_buffer 1
		.amdhsa_user_sgpr_dispatch_ptr 0
		.amdhsa_user_sgpr_queue_ptr 0
		.amdhsa_user_sgpr_kernarg_segment_ptr 1
		.amdhsa_user_sgpr_dispatch_id 0
		.amdhsa_user_sgpr_flat_scratch_init 0
		.amdhsa_user_sgpr_private_segment_size 0
		.amdhsa_wavefront_size32 1
		.amdhsa_uses_dynamic_stack 0
		.amdhsa_system_sgpr_private_segment_wavefront_offset 0
		.amdhsa_system_sgpr_workgroup_id_x 1
		.amdhsa_system_sgpr_workgroup_id_y 1
		.amdhsa_system_sgpr_workgroup_id_z 0
		.amdhsa_system_sgpr_workgroup_info 0
		.amdhsa_system_vgpr_workitem_id 0
		.amdhsa_next_free_vgpr 13
		.amdhsa_next_free_sgpr 24
		.amdhsa_reserve_vcc 1
		.amdhsa_reserve_flat_scratch 0
		.amdhsa_float_round_mode_32 0
		.amdhsa_float_round_mode_16_64 0
		.amdhsa_float_denorm_mode_32 3
		.amdhsa_float_denorm_mode_16_64 3
		.amdhsa_dx10_clamp 1
		.amdhsa_ieee_mode 1
		.amdhsa_fp16_overflow 0
		.amdhsa_workgroup_processor_mode 1
		.amdhsa_memory_ordered 1
		.amdhsa_forward_progress 1
		.amdhsa_shared_vgpr_count 0
		.amdhsa_exception_fp_ieee_invalid_op 0
		.amdhsa_exception_fp_denorm_src 0
		.amdhsa_exception_fp_ieee_div_zero 0
		.amdhsa_exception_fp_ieee_overflow 0
		.amdhsa_exception_fp_ieee_underflow 0
		.amdhsa_exception_fp_ieee_inexact 0
		.amdhsa_exception_int_div_zero 0
	.end_amdhsa_kernel
	.section	.text._ZN2at6native12_GLOBAL__N_130CatArrayBatchedCopy_vectorizedINS1_10OpaqueTypeILj8EEEjLi3ELi64ELi64ELi16ELi2EEEvPcNS1_25CatArrInputTensorMetadataIT_T0_XT2_EXT3_EEENS1_16TensorSizeStrideIS8_Lj4EEEiS8_,"axG",@progbits,_ZN2at6native12_GLOBAL__N_130CatArrayBatchedCopy_vectorizedINS1_10OpaqueTypeILj8EEEjLi3ELi64ELi64ELi16ELi2EEEvPcNS1_25CatArrInputTensorMetadataIT_T0_XT2_EXT3_EEENS1_16TensorSizeStrideIS8_Lj4EEEiS8_,comdat
.Lfunc_end170:
	.size	_ZN2at6native12_GLOBAL__N_130CatArrayBatchedCopy_vectorizedINS1_10OpaqueTypeILj8EEEjLi3ELi64ELi64ELi16ELi2EEEvPcNS1_25CatArrInputTensorMetadataIT_T0_XT2_EXT3_EEENS1_16TensorSizeStrideIS8_Lj4EEEiS8_, .Lfunc_end170-_ZN2at6native12_GLOBAL__N_130CatArrayBatchedCopy_vectorizedINS1_10OpaqueTypeILj8EEEjLi3ELi64ELi64ELi16ELi2EEEvPcNS1_25CatArrInputTensorMetadataIT_T0_XT2_EXT3_EEENS1_16TensorSizeStrideIS8_Lj4EEEiS8_
                                        ; -- End function
	.set _ZN2at6native12_GLOBAL__N_130CatArrayBatchedCopy_vectorizedINS1_10OpaqueTypeILj8EEEjLi3ELi64ELi64ELi16ELi2EEEvPcNS1_25CatArrInputTensorMetadataIT_T0_XT2_EXT3_EEENS1_16TensorSizeStrideIS8_Lj4EEEiS8_.num_vgpr, 13
	.set _ZN2at6native12_GLOBAL__N_130CatArrayBatchedCopy_vectorizedINS1_10OpaqueTypeILj8EEEjLi3ELi64ELi64ELi16ELi2EEEvPcNS1_25CatArrInputTensorMetadataIT_T0_XT2_EXT3_EEENS1_16TensorSizeStrideIS8_Lj4EEEiS8_.num_agpr, 0
	.set _ZN2at6native12_GLOBAL__N_130CatArrayBatchedCopy_vectorizedINS1_10OpaqueTypeILj8EEEjLi3ELi64ELi64ELi16ELi2EEEvPcNS1_25CatArrInputTensorMetadataIT_T0_XT2_EXT3_EEENS1_16TensorSizeStrideIS8_Lj4EEEiS8_.numbered_sgpr, 24
	.set _ZN2at6native12_GLOBAL__N_130CatArrayBatchedCopy_vectorizedINS1_10OpaqueTypeILj8EEEjLi3ELi64ELi64ELi16ELi2EEEvPcNS1_25CatArrInputTensorMetadataIT_T0_XT2_EXT3_EEENS1_16TensorSizeStrideIS8_Lj4EEEiS8_.num_named_barrier, 0
	.set _ZN2at6native12_GLOBAL__N_130CatArrayBatchedCopy_vectorizedINS1_10OpaqueTypeILj8EEEjLi3ELi64ELi64ELi16ELi2EEEvPcNS1_25CatArrInputTensorMetadataIT_T0_XT2_EXT3_EEENS1_16TensorSizeStrideIS8_Lj4EEEiS8_.private_seg_size, 0
	.set _ZN2at6native12_GLOBAL__N_130CatArrayBatchedCopy_vectorizedINS1_10OpaqueTypeILj8EEEjLi3ELi64ELi64ELi16ELi2EEEvPcNS1_25CatArrInputTensorMetadataIT_T0_XT2_EXT3_EEENS1_16TensorSizeStrideIS8_Lj4EEEiS8_.uses_vcc, 1
	.set _ZN2at6native12_GLOBAL__N_130CatArrayBatchedCopy_vectorizedINS1_10OpaqueTypeILj8EEEjLi3ELi64ELi64ELi16ELi2EEEvPcNS1_25CatArrInputTensorMetadataIT_T0_XT2_EXT3_EEENS1_16TensorSizeStrideIS8_Lj4EEEiS8_.uses_flat_scratch, 0
	.set _ZN2at6native12_GLOBAL__N_130CatArrayBatchedCopy_vectorizedINS1_10OpaqueTypeILj8EEEjLi3ELi64ELi64ELi16ELi2EEEvPcNS1_25CatArrInputTensorMetadataIT_T0_XT2_EXT3_EEENS1_16TensorSizeStrideIS8_Lj4EEEiS8_.has_dyn_sized_stack, 0
	.set _ZN2at6native12_GLOBAL__N_130CatArrayBatchedCopy_vectorizedINS1_10OpaqueTypeILj8EEEjLi3ELi64ELi64ELi16ELi2EEEvPcNS1_25CatArrInputTensorMetadataIT_T0_XT2_EXT3_EEENS1_16TensorSizeStrideIS8_Lj4EEEiS8_.has_recursion, 0
	.set _ZN2at6native12_GLOBAL__N_130CatArrayBatchedCopy_vectorizedINS1_10OpaqueTypeILj8EEEjLi3ELi64ELi64ELi16ELi2EEEvPcNS1_25CatArrInputTensorMetadataIT_T0_XT2_EXT3_EEENS1_16TensorSizeStrideIS8_Lj4EEEiS8_.has_indirect_call, 0
	.section	.AMDGPU.csdata,"",@progbits
; Kernel info:
; codeLenInByte = 600
; TotalNumSgprs: 26
; NumVgprs: 13
; ScratchSize: 0
; MemoryBound: 0
; FloatMode: 240
; IeeeMode: 1
; LDSByteSize: 0 bytes/workgroup (compile time only)
; SGPRBlocks: 0
; VGPRBlocks: 1
; NumSGPRsForWavesPerEU: 26
; NumVGPRsForWavesPerEU: 13
; Occupancy: 16
; WaveLimiterHint : 1
; COMPUTE_PGM_RSRC2:SCRATCH_EN: 0
; COMPUTE_PGM_RSRC2:USER_SGPR: 6
; COMPUTE_PGM_RSRC2:TRAP_HANDLER: 0
; COMPUTE_PGM_RSRC2:TGID_X_EN: 1
; COMPUTE_PGM_RSRC2:TGID_Y_EN: 1
; COMPUTE_PGM_RSRC2:TGID_Z_EN: 0
; COMPUTE_PGM_RSRC2:TIDIG_COMP_CNT: 0
	.section	.text._ZN2at6native12_GLOBAL__N_135CatArrayBatchedCopy_alignedK_contigINS1_10OpaqueTypeILj8EEEjLi3ELi64ELi64ELi16EEEvPT_NS1_25CatArrInputTensorMetadataIS5_T0_XT2_EXT3_EEENS1_16TensorSizeStrideIS8_Lj4EEEiS8_,"axG",@progbits,_ZN2at6native12_GLOBAL__N_135CatArrayBatchedCopy_alignedK_contigINS1_10OpaqueTypeILj8EEEjLi3ELi64ELi64ELi16EEEvPT_NS1_25CatArrInputTensorMetadataIS5_T0_XT2_EXT3_EEENS1_16TensorSizeStrideIS8_Lj4EEEiS8_,comdat
	.globl	_ZN2at6native12_GLOBAL__N_135CatArrayBatchedCopy_alignedK_contigINS1_10OpaqueTypeILj8EEEjLi3ELi64ELi64ELi16EEEvPT_NS1_25CatArrInputTensorMetadataIS5_T0_XT2_EXT3_EEENS1_16TensorSizeStrideIS8_Lj4EEEiS8_ ; -- Begin function _ZN2at6native12_GLOBAL__N_135CatArrayBatchedCopy_alignedK_contigINS1_10OpaqueTypeILj8EEEjLi3ELi64ELi64ELi16EEEvPT_NS1_25CatArrInputTensorMetadataIS5_T0_XT2_EXT3_EEENS1_16TensorSizeStrideIS8_Lj4EEEiS8_
	.p2align	8
	.type	_ZN2at6native12_GLOBAL__N_135CatArrayBatchedCopy_alignedK_contigINS1_10OpaqueTypeILj8EEEjLi3ELi64ELi64ELi16EEEvPT_NS1_25CatArrInputTensorMetadataIS5_T0_XT2_EXT3_EEENS1_16TensorSizeStrideIS8_Lj4EEEiS8_,@function
_ZN2at6native12_GLOBAL__N_135CatArrayBatchedCopy_alignedK_contigINS1_10OpaqueTypeILj8EEEjLi3ELi64ELi64ELi16EEEvPT_NS1_25CatArrInputTensorMetadataIS5_T0_XT2_EXT3_EEENS1_16TensorSizeStrideIS8_Lj4EEEiS8_: ; @_ZN2at6native12_GLOBAL__N_135CatArrayBatchedCopy_alignedK_contigINS1_10OpaqueTypeILj8EEEjLi3ELi64ELi64ELi16EEEvPT_NS1_25CatArrInputTensorMetadataIS5_T0_XT2_EXT3_EEENS1_16TensorSizeStrideIS8_Lj4EEEiS8_
; %bb.0:
	s_mov_b32 s2, s7
	s_load_dword s7, s[4:5], 0xd7c
	s_mov_b32 s3, 0
	s_add_u32 s0, s4, 0xd70
	s_addc_u32 s1, s5, 0
	s_lshl_b64 s[8:9], s[2:3], 2
	s_waitcnt lgkmcnt(0)
	s_and_b32 s16, s7, 0xffff
	s_add_u32 s2, s4, s8
	s_addc_u32 s3, s5, s9
	s_mul_i32 s6, s6, s16
	s_load_dword s14, s[2:3], 0x408
	v_add_lshl_u32 v0, s6, v0, 1
	s_add_u32 s6, s2, 8
	s_addc_u32 s7, s3, 0
	s_mov_b32 s2, exec_lo
	s_waitcnt lgkmcnt(0)
	v_cmpx_gt_u32_e64 s14, v0
	s_cbranch_execz .LBB171_8
; %bb.1:
	s_add_u32 s18, s6, s8
	s_addc_u32 s19, s7, s9
	s_sub_u32 s6, 0, s8
	s_subb_u32 s7, 0, s9
	s_add_u32 s20, s18, s6
	s_addc_u32 s21, s19, s7
	s_clause 0x3
	s_load_dwordx2 s[2:3], s[4:5], 0x0
	s_load_dwordx2 s[10:11], s[4:5], 0xd4c
	;; [unrolled: 1-line block ×3, first 2 shown]
	s_load_dwordx4 s[4:7], s[4:5], 0xd58
	s_waitcnt lgkmcnt(0)
	s_clause 0x2
	s_load_dword s7, s[20:21], 0x200
	s_load_dwordx2 s[8:9], s[18:19], 0x0
	s_load_dword s15, s[20:21], 0x300
	v_add_nc_u32_e32 v1, 2, v0
	s_waitcnt lgkmcnt(0)
	s_mul_i32 s7, s7, s13
	s_mov_b32 s13, exec_lo
	v_cmpx_ge_u32_e64 s14, v1
	s_cbranch_execz .LBB171_5
; %bb.2:
	s_load_dword s0, s[0:1], 0x0
	s_mov_b32 s20, 0
	s_waitcnt lgkmcnt(0)
	s_mul_i32 s0, s0, s16
	s_lshl_b32 s16, s0, 1
	s_cmp_eq_u32 s12, 2
	s_cselect_b32 s17, s15, s11
	s_cmp_eq_u32 s12, 1
	v_cvt_f32_u32_e32 v1, s17
	s_cselect_b32 s18, s15, s10
	s_sub_i32 s19, 0, s17
	v_cvt_f32_u32_e32 v2, s18
	s_sub_i32 s0, 0, s18
	v_rcp_iflag_f32_e32 v1, v1
	v_rcp_iflag_f32_e32 v2, v2
	v_mul_f32_e32 v1, 0x4f7ffffe, v1
	v_mul_f32_e32 v2, 0x4f7ffffe, v2
	v_cvt_u32_f32_e32 v3, v1
	v_cvt_u32_f32_e32 v4, v2
	v_mul_lo_u32 v1, s19, v3
	v_mul_lo_u32 v2, s0, v4
	v_mul_hi_u32 v5, v3, v1
	v_mov_b32_e32 v1, 0
	v_mul_hi_u32 v6, v4, v2
	v_add_nc_u32_e32 v2, v3, v5
	v_add_nc_u32_e32 v3, v4, v6
	;; [unrolled: 1-line block ×3, first 2 shown]
.LBB171_3:                              ; =>This Inner Loop Header: Depth=1
	v_lshlrev_b64 v[5:6], 3, v[0:1]
	v_mul_hi_u32 v11, v2, v0
	v_mul_hi_u32 v15, v2, v4
	v_add_nc_u32_e32 v9, 1, v0
	v_mov_b32_e32 v10, v1
	v_mov_b32_e32 v12, v1
	v_add_co_u32 v5, vcc_lo, s8, v5
	v_add_co_ci_u32_e64 v6, null, s9, v6, vcc_lo
	v_not_b32_e32 v16, v11
	v_mad_u64_u32 v[13:14], null, s19, v11, v[0:1]
	global_load_dwordx4 v[5:8], v[5:6], off
	v_not_b32_e32 v17, v15
	v_mad_u64_u32 v[14:15], null, s19, v15, v[9:10]
	v_mul_hi_u32 v18, v9, v2
	v_mad_u64_u32 v[15:16], null, s17, v16, v[0:1]
	v_add_nc_u32_e32 v19, 1, v11
	v_cmp_le_u32_e32 vcc_lo, s17, v13
	v_mad_u64_u32 v[16:17], null, s17, v17, v[9:10]
	v_cmp_le_u32_e64 s0, s17, v14
	v_add_nc_u32_e32 v20, 1, v18
	v_cndmask_b32_e32 v9, v11, v19, vcc_lo
	v_cndmask_b32_e32 v13, v13, v15, vcc_lo
	v_add_nc_u32_e32 v4, s16, v4
	v_cndmask_b32_e64 v11, v18, v20, s0
	v_add_nc_u32_e32 v15, 1, v9
	v_cndmask_b32_e64 v14, v14, v16, s0
	v_cmp_le_u32_e32 vcc_lo, s17, v13
	v_add_nc_u32_e32 v16, 1, v11
	v_cndmask_b32_e32 v17, v9, v15, vcc_lo
	v_cmp_le_u32_e32 vcc_lo, s17, v14
	v_mad_u64_u32 v[13:14], null, s19, v17, v[0:1]
	v_cndmask_b32_e32 v11, v11, v16, vcc_lo
	v_mul_hi_u32 v9, v17, v3
	v_mad_u64_u32 v[14:15], null, s19, v11, v[0:1]
	v_mul_hi_u32 v15, v11, v3
	v_add_nc_u32_e32 v0, s16, v0
	v_mul_lo_u32 v18, v9, s18
	v_add_nc_u32_e32 v19, 1, v9
	v_add_nc_u32_e32 v16, 2, v0
	v_mul_lo_u32 v21, s6, v14
	v_mul_lo_u32 v20, v15, s18
	v_add_nc_u32_e32 v14, 1, v15
	v_cmp_lt_u32_e32 vcc_lo, s14, v16
	v_sub_nc_u32_e32 v16, v17, v18
	v_sub_nc_u32_e32 v18, v11, v20
	v_subrev_nc_u32_e32 v20, s18, v16
	v_cmp_le_u32_e64 s0, s18, v16
	s_or_b32 s20, vcc_lo, s20
	v_cmp_le_u32_e64 s1, s18, v18
	v_cndmask_b32_e64 v9, v9, v19, s0
	v_subrev_nc_u32_e32 v19, s18, v18
	v_cndmask_b32_e64 v14, v15, v14, s1
	v_cndmask_b32_e64 v15, v16, v20, s0
	v_add_nc_u32_e32 v16, 1, v9
	v_cndmask_b32_e64 v18, v18, v19, s1
	v_add_nc_u32_e32 v19, 1, v14
	v_cmp_le_u32_e64 s0, s18, v15
	v_cndmask_b32_e64 v9, v9, v16, s0
	v_cmp_le_u32_e64 s0, s18, v18
	v_mul_lo_u32 v15, v9, s18
	v_cndmask_b32_e64 v14, v14, v19, s0
	v_mul_lo_u32 v9, v9, s4
	v_mul_lo_u32 v16, v14, s18
	;; [unrolled: 1-line block ×3, first 2 shown]
	v_sub_nc_u32_e32 v15, v17, v15
	v_mad_u64_u32 v[13:14], null, v13, s6, v[9:10]
	v_sub_nc_u32_e32 v9, v11, v16
	v_mul_lo_u32 v11, v15, s5
	v_add3_u32 v15, v21, s6, v18
	v_mul_lo_u32 v14, v9, s5
	v_add3_u32 v9, v13, v11, s7
	v_add3_u32 v11, v15, v14, s7
	v_lshlrev_b64 v[9:10], 3, v[9:10]
	v_lshlrev_b64 v[11:12], 3, v[11:12]
	v_add_co_u32 v9, s0, s2, v9
	v_add_co_ci_u32_e64 v10, null, s3, v10, s0
	v_add_co_u32 v11, s0, s2, v11
	v_add_co_ci_u32_e64 v12, null, s3, v12, s0
	s_waitcnt vmcnt(0)
	global_store_dwordx2 v[9:10], v[5:6], off
	global_store_dwordx2 v[11:12], v[7:8], off
	s_andn2_b32 exec_lo, exec_lo, s20
	s_cbranch_execnz .LBB171_3
; %bb.4:
	s_or_b32 exec_lo, exec_lo, s20
.LBB171_5:
	s_or_b32 exec_lo, exec_lo, s13
	v_cmp_gt_u32_e32 vcc_lo, s14, v0
	s_and_b32 exec_lo, exec_lo, vcc_lo
	s_cbranch_execz .LBB171_8
; %bb.6:
	s_cmp_eq_u32 s12, 2
	s_cselect_b32 s11, s15, s11
	s_cmp_eq_u32 s12, 1
	v_cvt_f32_u32_e32 v1, s11
	s_cselect_b32 s10, s15, s10
	s_sub_i32 s12, 0, s11
	v_cvt_f32_u32_e32 v2, s10
	s_sub_i32 s0, 0, s10
	v_rcp_iflag_f32_e32 v1, v1
	v_rcp_iflag_f32_e32 v2, v2
	v_mul_f32_e32 v1, 0x4f7ffffe, v1
	v_mul_f32_e32 v2, 0x4f7ffffe, v2
	v_cvt_u32_f32_e32 v3, v1
	v_cvt_u32_f32_e32 v4, v2
	v_mov_b32_e32 v2, 0
	v_mul_lo_u32 v1, s12, v3
	v_mul_lo_u32 v5, s0, v4
	v_mul_hi_u32 v6, v3, v1
	v_mov_b32_e32 v1, v2
	v_mul_hi_u32 v8, v4, v5
	v_add_nc_u32_e32 v7, v3, v6
	v_lshlrev_b64 v[5:6], 3, v[0:1]
	v_add_nc_u32_e32 v8, v4, v8
	v_mad_u64_u32 v[3:4], null, v0, v7, 0
	v_add_co_u32 v5, vcc_lo, s8, v5
	v_add_co_ci_u32_e64 v6, null, s9, v6, vcc_lo
	s_mov_b32 s8, 0
.LBB171_7:                              ; =>This Inner Loop Header: Depth=1
	global_load_dwordx2 v[9:10], v[5:6], off
	v_mul_lo_u32 v1, s11, v4
	v_not_b32_e32 v11, v4
	v_add_nc_u32_e32 v13, 1, v4
	v_mad_u64_u32 v[11:12], null, s11, v11, v[0:1]
	v_sub_nc_u32_e32 v1, v0, v1
	v_cmp_le_u32_e32 vcc_lo, s11, v1
	v_cndmask_b32_e32 v12, v4, v13, vcc_lo
	v_cndmask_b32_e32 v1, v1, v11, vcc_lo
	v_add_nc_u32_e32 v11, 1, v12
	v_cmp_le_u32_e32 vcc_lo, s11, v1
	v_cndmask_b32_e32 v13, v12, v11, vcc_lo
	v_add_co_u32 v3, vcc_lo, v3, v7
	v_add_co_ci_u32_e64 v4, null, 0, v4, vcc_lo
	v_mul_hi_u32 v1, v13, v8
	v_mul_lo_u32 v11, v1, s10
	v_add_nc_u32_e32 v12, 1, v1
	v_sub_nc_u32_e32 v11, v13, v11
	v_subrev_nc_u32_e32 v14, s10, v11
	v_cmp_le_u32_e64 s0, s10, v11
	v_cndmask_b32_e64 v1, v1, v12, s0
	v_cndmask_b32_e64 v11, v11, v14, s0
	v_add_nc_u32_e32 v12, 1, v1
	v_cmp_le_u32_e64 s0, s10, v11
	v_cndmask_b32_e64 v1, v1, v12, s0
	v_add_co_u32 v5, s0, v5, 8
	v_add_co_ci_u32_e64 v6, null, 0, v6, s0
	v_mad_u64_u32 v[11:12], null, s12, v13, v[0:1]
	v_mul_lo_u32 v12, v1, s10
	v_mul_lo_u32 v1, v1, s4
	v_add_nc_u32_e32 v0, 1, v0
	v_cmp_le_u32_e64 s0, s14, v0
	v_sub_nc_u32_e32 v13, v13, v12
	v_mad_u64_u32 v[11:12], null, v11, s6, v[1:2]
	s_or_b32 s8, s0, s8
	v_mul_lo_u32 v1, v13, s5
	v_add3_u32 v1, v11, v1, s7
	v_lshlrev_b64 v[11:12], 3, v[1:2]
	v_add_co_u32 v11, s1, s2, v11
	v_add_co_ci_u32_e64 v12, null, s3, v12, s1
	s_waitcnt vmcnt(0)
	global_store_dwordx2 v[11:12], v[9:10], off
	s_andn2_b32 exec_lo, exec_lo, s8
	s_cbranch_execnz .LBB171_7
.LBB171_8:
	s_endpgm
	.section	.rodata,"a",@progbits
	.p2align	6, 0x0
	.amdhsa_kernel _ZN2at6native12_GLOBAL__N_135CatArrayBatchedCopy_alignedK_contigINS1_10OpaqueTypeILj8EEEjLi3ELi64ELi64ELi16EEEvPT_NS1_25CatArrInputTensorMetadataIS5_T0_XT2_EXT3_EEENS1_16TensorSizeStrideIS8_Lj4EEEiS8_
		.amdhsa_group_segment_fixed_size 0
		.amdhsa_private_segment_fixed_size 0
		.amdhsa_kernarg_size 3696
		.amdhsa_user_sgpr_count 6
		.amdhsa_user_sgpr_private_segment_buffer 1
		.amdhsa_user_sgpr_dispatch_ptr 0
		.amdhsa_user_sgpr_queue_ptr 0
		.amdhsa_user_sgpr_kernarg_segment_ptr 1
		.amdhsa_user_sgpr_dispatch_id 0
		.amdhsa_user_sgpr_flat_scratch_init 0
		.amdhsa_user_sgpr_private_segment_size 0
		.amdhsa_wavefront_size32 1
		.amdhsa_uses_dynamic_stack 0
		.amdhsa_system_sgpr_private_segment_wavefront_offset 0
		.amdhsa_system_sgpr_workgroup_id_x 1
		.amdhsa_system_sgpr_workgroup_id_y 1
		.amdhsa_system_sgpr_workgroup_id_z 0
		.amdhsa_system_sgpr_workgroup_info 0
		.amdhsa_system_vgpr_workitem_id 0
		.amdhsa_next_free_vgpr 22
		.amdhsa_next_free_sgpr 22
		.amdhsa_reserve_vcc 1
		.amdhsa_reserve_flat_scratch 0
		.amdhsa_float_round_mode_32 0
		.amdhsa_float_round_mode_16_64 0
		.amdhsa_float_denorm_mode_32 3
		.amdhsa_float_denorm_mode_16_64 3
		.amdhsa_dx10_clamp 1
		.amdhsa_ieee_mode 1
		.amdhsa_fp16_overflow 0
		.amdhsa_workgroup_processor_mode 1
		.amdhsa_memory_ordered 1
		.amdhsa_forward_progress 1
		.amdhsa_shared_vgpr_count 0
		.amdhsa_exception_fp_ieee_invalid_op 0
		.amdhsa_exception_fp_denorm_src 0
		.amdhsa_exception_fp_ieee_div_zero 0
		.amdhsa_exception_fp_ieee_overflow 0
		.amdhsa_exception_fp_ieee_underflow 0
		.amdhsa_exception_fp_ieee_inexact 0
		.amdhsa_exception_int_div_zero 0
	.end_amdhsa_kernel
	.section	.text._ZN2at6native12_GLOBAL__N_135CatArrayBatchedCopy_alignedK_contigINS1_10OpaqueTypeILj8EEEjLi3ELi64ELi64ELi16EEEvPT_NS1_25CatArrInputTensorMetadataIS5_T0_XT2_EXT3_EEENS1_16TensorSizeStrideIS8_Lj4EEEiS8_,"axG",@progbits,_ZN2at6native12_GLOBAL__N_135CatArrayBatchedCopy_alignedK_contigINS1_10OpaqueTypeILj8EEEjLi3ELi64ELi64ELi16EEEvPT_NS1_25CatArrInputTensorMetadataIS5_T0_XT2_EXT3_EEENS1_16TensorSizeStrideIS8_Lj4EEEiS8_,comdat
.Lfunc_end171:
	.size	_ZN2at6native12_GLOBAL__N_135CatArrayBatchedCopy_alignedK_contigINS1_10OpaqueTypeILj8EEEjLi3ELi64ELi64ELi16EEEvPT_NS1_25CatArrInputTensorMetadataIS5_T0_XT2_EXT3_EEENS1_16TensorSizeStrideIS8_Lj4EEEiS8_, .Lfunc_end171-_ZN2at6native12_GLOBAL__N_135CatArrayBatchedCopy_alignedK_contigINS1_10OpaqueTypeILj8EEEjLi3ELi64ELi64ELi16EEEvPT_NS1_25CatArrInputTensorMetadataIS5_T0_XT2_EXT3_EEENS1_16TensorSizeStrideIS8_Lj4EEEiS8_
                                        ; -- End function
	.set _ZN2at6native12_GLOBAL__N_135CatArrayBatchedCopy_alignedK_contigINS1_10OpaqueTypeILj8EEEjLi3ELi64ELi64ELi16EEEvPT_NS1_25CatArrInputTensorMetadataIS5_T0_XT2_EXT3_EEENS1_16TensorSizeStrideIS8_Lj4EEEiS8_.num_vgpr, 22
	.set _ZN2at6native12_GLOBAL__N_135CatArrayBatchedCopy_alignedK_contigINS1_10OpaqueTypeILj8EEEjLi3ELi64ELi64ELi16EEEvPT_NS1_25CatArrInputTensorMetadataIS5_T0_XT2_EXT3_EEENS1_16TensorSizeStrideIS8_Lj4EEEiS8_.num_agpr, 0
	.set _ZN2at6native12_GLOBAL__N_135CatArrayBatchedCopy_alignedK_contigINS1_10OpaqueTypeILj8EEEjLi3ELi64ELi64ELi16EEEvPT_NS1_25CatArrInputTensorMetadataIS5_T0_XT2_EXT3_EEENS1_16TensorSizeStrideIS8_Lj4EEEiS8_.numbered_sgpr, 22
	.set _ZN2at6native12_GLOBAL__N_135CatArrayBatchedCopy_alignedK_contigINS1_10OpaqueTypeILj8EEEjLi3ELi64ELi64ELi16EEEvPT_NS1_25CatArrInputTensorMetadataIS5_T0_XT2_EXT3_EEENS1_16TensorSizeStrideIS8_Lj4EEEiS8_.num_named_barrier, 0
	.set _ZN2at6native12_GLOBAL__N_135CatArrayBatchedCopy_alignedK_contigINS1_10OpaqueTypeILj8EEEjLi3ELi64ELi64ELi16EEEvPT_NS1_25CatArrInputTensorMetadataIS5_T0_XT2_EXT3_EEENS1_16TensorSizeStrideIS8_Lj4EEEiS8_.private_seg_size, 0
	.set _ZN2at6native12_GLOBAL__N_135CatArrayBatchedCopy_alignedK_contigINS1_10OpaqueTypeILj8EEEjLi3ELi64ELi64ELi16EEEvPT_NS1_25CatArrInputTensorMetadataIS5_T0_XT2_EXT3_EEENS1_16TensorSizeStrideIS8_Lj4EEEiS8_.uses_vcc, 1
	.set _ZN2at6native12_GLOBAL__N_135CatArrayBatchedCopy_alignedK_contigINS1_10OpaqueTypeILj8EEEjLi3ELi64ELi64ELi16EEEvPT_NS1_25CatArrInputTensorMetadataIS5_T0_XT2_EXT3_EEENS1_16TensorSizeStrideIS8_Lj4EEEiS8_.uses_flat_scratch, 0
	.set _ZN2at6native12_GLOBAL__N_135CatArrayBatchedCopy_alignedK_contigINS1_10OpaqueTypeILj8EEEjLi3ELi64ELi64ELi16EEEvPT_NS1_25CatArrInputTensorMetadataIS5_T0_XT2_EXT3_EEENS1_16TensorSizeStrideIS8_Lj4EEEiS8_.has_dyn_sized_stack, 0
	.set _ZN2at6native12_GLOBAL__N_135CatArrayBatchedCopy_alignedK_contigINS1_10OpaqueTypeILj8EEEjLi3ELi64ELi64ELi16EEEvPT_NS1_25CatArrInputTensorMetadataIS5_T0_XT2_EXT3_EEENS1_16TensorSizeStrideIS8_Lj4EEEiS8_.has_recursion, 0
	.set _ZN2at6native12_GLOBAL__N_135CatArrayBatchedCopy_alignedK_contigINS1_10OpaqueTypeILj8EEEjLi3ELi64ELi64ELi16EEEvPT_NS1_25CatArrInputTensorMetadataIS5_T0_XT2_EXT3_EEENS1_16TensorSizeStrideIS8_Lj4EEEiS8_.has_indirect_call, 0
	.section	.AMDGPU.csdata,"",@progbits
; Kernel info:
; codeLenInByte = 1332
; TotalNumSgprs: 24
; NumVgprs: 22
; ScratchSize: 0
; MemoryBound: 0
; FloatMode: 240
; IeeeMode: 1
; LDSByteSize: 0 bytes/workgroup (compile time only)
; SGPRBlocks: 0
; VGPRBlocks: 2
; NumSGPRsForWavesPerEU: 24
; NumVGPRsForWavesPerEU: 22
; Occupancy: 16
; WaveLimiterHint : 1
; COMPUTE_PGM_RSRC2:SCRATCH_EN: 0
; COMPUTE_PGM_RSRC2:USER_SGPR: 6
; COMPUTE_PGM_RSRC2:TRAP_HANDLER: 0
; COMPUTE_PGM_RSRC2:TGID_X_EN: 1
; COMPUTE_PGM_RSRC2:TGID_Y_EN: 1
; COMPUTE_PGM_RSRC2:TGID_Z_EN: 0
; COMPUTE_PGM_RSRC2:TIDIG_COMP_CNT: 0
	.section	.text._ZN2at6native12_GLOBAL__N_135CatArrayBatchedCopy_alignedK_contigINS1_10OpaqueTypeILj8EEEjLi3ELi64ELi64ELi8EEEvPT_NS1_25CatArrInputTensorMetadataIS5_T0_XT2_EXT3_EEENS1_16TensorSizeStrideIS8_Lj4EEEiS8_,"axG",@progbits,_ZN2at6native12_GLOBAL__N_135CatArrayBatchedCopy_alignedK_contigINS1_10OpaqueTypeILj8EEEjLi3ELi64ELi64ELi8EEEvPT_NS1_25CatArrInputTensorMetadataIS5_T0_XT2_EXT3_EEENS1_16TensorSizeStrideIS8_Lj4EEEiS8_,comdat
	.globl	_ZN2at6native12_GLOBAL__N_135CatArrayBatchedCopy_alignedK_contigINS1_10OpaqueTypeILj8EEEjLi3ELi64ELi64ELi8EEEvPT_NS1_25CatArrInputTensorMetadataIS5_T0_XT2_EXT3_EEENS1_16TensorSizeStrideIS8_Lj4EEEiS8_ ; -- Begin function _ZN2at6native12_GLOBAL__N_135CatArrayBatchedCopy_alignedK_contigINS1_10OpaqueTypeILj8EEEjLi3ELi64ELi64ELi8EEEvPT_NS1_25CatArrInputTensorMetadataIS5_T0_XT2_EXT3_EEENS1_16TensorSizeStrideIS8_Lj4EEEiS8_
	.p2align	8
	.type	_ZN2at6native12_GLOBAL__N_135CatArrayBatchedCopy_alignedK_contigINS1_10OpaqueTypeILj8EEEjLi3ELi64ELi64ELi8EEEvPT_NS1_25CatArrInputTensorMetadataIS5_T0_XT2_EXT3_EEENS1_16TensorSizeStrideIS8_Lj4EEEiS8_,@function
_ZN2at6native12_GLOBAL__N_135CatArrayBatchedCopy_alignedK_contigINS1_10OpaqueTypeILj8EEEjLi3ELi64ELi64ELi8EEEvPT_NS1_25CatArrInputTensorMetadataIS5_T0_XT2_EXT3_EEENS1_16TensorSizeStrideIS8_Lj4EEEiS8_: ; @_ZN2at6native12_GLOBAL__N_135CatArrayBatchedCopy_alignedK_contigINS1_10OpaqueTypeILj8EEEjLi3ELi64ELi64ELi8EEEvPT_NS1_25CatArrInputTensorMetadataIS5_T0_XT2_EXT3_EEENS1_16TensorSizeStrideIS8_Lj4EEEiS8_
; %bb.0:
	s_mov_b32 s0, s7
	s_load_dword s7, s[4:5], 0xd7c
	s_mov_b32 s1, 0
	s_add_u32 s2, s4, 0xd70
	s_addc_u32 s3, s5, 0
	s_lshl_b64 s[8:9], s[0:1], 2
	s_waitcnt lgkmcnt(0)
	s_and_b32 s0, s7, 0xffff
	s_add_u32 s10, s4, s8
	s_addc_u32 s11, s5, s9
	v_mad_u64_u32 v[0:1], null, s6, s0, v[0:1]
	s_load_dword s12, s[10:11], 0x408
	s_add_u32 s6, s10, 8
	s_addc_u32 s7, s11, 0
	s_mov_b32 s10, exec_lo
	s_waitcnt lgkmcnt(0)
	v_cmpx_gt_u32_e64 s12, v0
	s_cbranch_execz .LBB172_6
; %bb.1:
	s_add_u32 s6, s6, s8
	s_addc_u32 s7, s7, s9
	s_sub_u32 s8, 0, s8
	s_load_dwordx2 s[14:15], s[4:5], 0xd68
	s_subb_u32 s9, 0, s9
	s_add_u32 s16, s6, s8
	s_addc_u32 s17, s7, s9
	s_clause 0x3
	s_load_dwordx2 s[18:19], s[4:5], 0xd4c
	s_load_dword s13, s[16:17], 0x300
	s_load_dwordx4 s[8:11], s[4:5], 0xd58
	s_load_dword s16, s[16:17], 0x200
	s_load_dword s17, s[2:3], 0x0
	s_waitcnt lgkmcnt(0)
	s_cmp_eq_u32 s14, 2
	s_cselect_b32 s11, s13, s19
	s_cmp_eq_u32 s14, 1
	v_cvt_f32_u32_e32 v1, s11
	s_cselect_b32 s13, s13, s18
	s_sub_i32 s14, 0, s11
	v_cvt_f32_u32_e32 v2, s13
	s_sub_i32 s2, 0, s13
	v_rcp_iflag_f32_e32 v1, v1
	v_rcp_iflag_f32_e32 v2, v2
	v_mul_f32_e32 v1, 0x4f7ffffe, v1
	v_mul_f32_e32 v2, 0x4f7ffffe, v2
	v_cvt_u32_f32_e32 v1, v1
	v_cvt_u32_f32_e32 v3, v2
	v_mul_lo_u32 v2, s14, v1
	v_mul_lo_u32 v4, s2, v3
	s_clause 0x1
	s_load_dwordx2 s[2:3], s[4:5], 0x0
	s_load_dwordx2 s[6:7], s[6:7], 0x0
	s_mul_i32 s5, s17, s0
	s_mul_i32 s4, s16, s15
	v_mul_hi_u32 v5, v1, v2
	v_mov_b32_e32 v2, 0
	v_mul_hi_u32 v4, v3, v4
	v_add_nc_u32_e32 v7, v1, v5
	v_add_nc_u32_e32 v8, v3, v4
	;; [unrolled: 1-line block ×3, first 2 shown]
.LBB172_2:                              ; =>This Inner Loop Header: Depth=1
	v_add_nc_u32_e32 v1, -1, v3
	v_mul_hi_u32 v6, v7, v0
	v_add_nc_u32_e32 v3, s5, v3
	v_lshlrev_b64 v[4:5], 3, v[1:2]
	v_mul_hi_u32 v11, v1, v7
	v_mul_lo_u32 v12, s11, v6
	v_not_b32_e32 v6, v6
	s_waitcnt lgkmcnt(0)
	v_add_co_u32 v4, vcc_lo, s6, v4
	v_add_co_ci_u32_e64 v5, null, s7, v5, vcc_lo
	v_mad_u64_u32 v[9:10], null, s11, v6, v[0:1]
	v_sub_nc_u32_e32 v10, v0, v12
	global_load_dwordx2 v[4:5], v[4:5], off
	v_add_nc_u32_e32 v6, 1, v11
	v_add_nc_u32_e32 v0, s5, v0
	v_cmp_le_u32_e32 vcc_lo, s11, v10
	v_cndmask_b32_e32 v6, v11, v6, vcc_lo
	v_cndmask_b32_e32 v9, v10, v9, vcc_lo
	v_add_nc_u32_e32 v10, 1, v6
	v_cmp_le_u32_e32 vcc_lo, s11, v9
	v_cndmask_b32_e32 v6, v6, v10, vcc_lo
	v_mul_hi_u32 v9, v6, v8
	v_mul_lo_u32 v10, v9, s13
	v_add_nc_u32_e32 v11, 1, v9
	v_sub_nc_u32_e32 v10, v6, v10
	v_subrev_nc_u32_e32 v12, s13, v10
	v_cmp_le_u32_e32 vcc_lo, s13, v10
	v_cndmask_b32_e32 v9, v9, v11, vcc_lo
	v_cndmask_b32_e32 v10, v10, v12, vcc_lo
	v_add_nc_u32_e32 v11, 1, v9
	v_cmp_le_u32_e32 vcc_lo, s13, v10
	v_cndmask_b32_e32 v11, v9, v11, vcc_lo
	v_mad_u64_u32 v[9:10], null, s14, v6, v[1:2]
	v_cmp_lt_u32_e32 vcc_lo, s12, v3
	v_mul_lo_u32 v12, v11, s13
	v_mul_lo_u32 v1, v11, s8
	s_or_b32 s1, vcc_lo, s1
	v_sub_nc_u32_e32 v6, v6, v12
	v_mad_u64_u32 v[9:10], null, v9, s10, v[1:2]
	v_mul_lo_u32 v1, v6, s9
	v_add3_u32 v1, v9, v1, s4
	v_lshlrev_b64 v[9:10], 3, v[1:2]
	v_add_co_u32 v9, s0, s2, v9
	v_add_co_ci_u32_e64 v10, null, s3, v10, s0
	s_waitcnt vmcnt(0)
	global_store_dwordx2 v[9:10], v[4:5], off
	s_andn2_b32 exec_lo, exec_lo, s1
	s_cbranch_execnz .LBB172_2
; %bb.3:
	s_or_b32 exec_lo, exec_lo, s1
	v_add_nc_u32_e32 v0, -1, v3
	v_cmp_gt_u32_e32 vcc_lo, s12, v0
	s_and_b32 exec_lo, exec_lo, vcc_lo
	s_cbranch_execz .LBB172_6
; %bb.4:
	v_mov_b32_e32 v2, 0
	v_mad_u64_u32 v[3:4], null, v7, v0, 0
	s_mov_b32 s5, 0
	v_mov_b32_e32 v1, v2
	v_lshlrev_b64 v[5:6], 3, v[0:1]
	v_add_co_u32 v5, vcc_lo, s6, v5
	v_add_co_ci_u32_e64 v6, null, s7, v6, vcc_lo
.LBB172_5:                              ; =>This Inner Loop Header: Depth=1
	global_load_dwordx2 v[9:10], v[5:6], off
	v_mul_lo_u32 v1, s11, v4
	v_not_b32_e32 v11, v4
	v_add_nc_u32_e32 v13, 1, v4
	v_add_co_u32 v3, vcc_lo, v3, v7
	v_mad_u64_u32 v[11:12], null, s11, v11, v[0:1]
	v_sub_nc_u32_e32 v1, v0, v1
	v_cmp_le_u32_e64 s0, s11, v1
	v_cndmask_b32_e64 v12, v4, v13, s0
	v_cndmask_b32_e64 v1, v1, v11, s0
	v_add_co_ci_u32_e64 v4, null, 0, v4, vcc_lo
	v_add_nc_u32_e32 v11, 1, v12
	v_cmp_le_u32_e64 s0, s11, v1
	v_cndmask_b32_e64 v1, v12, v11, s0
	v_mul_hi_u32 v11, v1, v8
	v_mul_lo_u32 v12, v11, s13
	v_add_nc_u32_e32 v13, 1, v11
	v_sub_nc_u32_e32 v12, v1, v12
	v_subrev_nc_u32_e32 v14, s13, v12
	v_cmp_le_u32_e64 s0, s13, v12
	v_cndmask_b32_e64 v11, v11, v13, s0
	v_cndmask_b32_e64 v12, v12, v14, s0
	v_add_nc_u32_e32 v13, 1, v11
	v_cmp_le_u32_e64 s0, s13, v12
	v_cndmask_b32_e64 v13, v11, v13, s0
	v_mad_u64_u32 v[11:12], null, s14, v1, v[0:1]
	v_add_nc_u32_e32 v0, 1, v0
	v_add_co_u32 v5, s0, v5, 8
	v_mul_lo_u32 v14, v13, s13
	v_add_co_ci_u32_e64 v6, null, 0, v6, s0
	v_mul_lo_u32 v15, v11, s10
	v_mad_u64_u32 v[11:12], null, v13, s8, s[4:5]
	v_cmp_le_u32_e64 s0, s12, v0
	v_sub_nc_u32_e32 v1, v1, v14
	s_or_b32 s5, s0, s5
	v_mul_lo_u32 v1, v1, s9
	v_add3_u32 v1, v11, v15, v1
	v_lshlrev_b64 v[11:12], 3, v[1:2]
	v_add_co_u32 v11, s1, s2, v11
	v_add_co_ci_u32_e64 v12, null, s3, v12, s1
	s_waitcnt vmcnt(0)
	global_store_dwordx2 v[11:12], v[9:10], off
	s_andn2_b32 exec_lo, exec_lo, s5
	s_cbranch_execnz .LBB172_5
.LBB172_6:
	s_endpgm
	.section	.rodata,"a",@progbits
	.p2align	6, 0x0
	.amdhsa_kernel _ZN2at6native12_GLOBAL__N_135CatArrayBatchedCopy_alignedK_contigINS1_10OpaqueTypeILj8EEEjLi3ELi64ELi64ELi8EEEvPT_NS1_25CatArrInputTensorMetadataIS5_T0_XT2_EXT3_EEENS1_16TensorSizeStrideIS8_Lj4EEEiS8_
		.amdhsa_group_segment_fixed_size 0
		.amdhsa_private_segment_fixed_size 0
		.amdhsa_kernarg_size 3696
		.amdhsa_user_sgpr_count 6
		.amdhsa_user_sgpr_private_segment_buffer 1
		.amdhsa_user_sgpr_dispatch_ptr 0
		.amdhsa_user_sgpr_queue_ptr 0
		.amdhsa_user_sgpr_kernarg_segment_ptr 1
		.amdhsa_user_sgpr_dispatch_id 0
		.amdhsa_user_sgpr_flat_scratch_init 0
		.amdhsa_user_sgpr_private_segment_size 0
		.amdhsa_wavefront_size32 1
		.amdhsa_uses_dynamic_stack 0
		.amdhsa_system_sgpr_private_segment_wavefront_offset 0
		.amdhsa_system_sgpr_workgroup_id_x 1
		.amdhsa_system_sgpr_workgroup_id_y 1
		.amdhsa_system_sgpr_workgroup_id_z 0
		.amdhsa_system_sgpr_workgroup_info 0
		.amdhsa_system_vgpr_workitem_id 0
		.amdhsa_next_free_vgpr 16
		.amdhsa_next_free_sgpr 20
		.amdhsa_reserve_vcc 1
		.amdhsa_reserve_flat_scratch 0
		.amdhsa_float_round_mode_32 0
		.amdhsa_float_round_mode_16_64 0
		.amdhsa_float_denorm_mode_32 3
		.amdhsa_float_denorm_mode_16_64 3
		.amdhsa_dx10_clamp 1
		.amdhsa_ieee_mode 1
		.amdhsa_fp16_overflow 0
		.amdhsa_workgroup_processor_mode 1
		.amdhsa_memory_ordered 1
		.amdhsa_forward_progress 1
		.amdhsa_shared_vgpr_count 0
		.amdhsa_exception_fp_ieee_invalid_op 0
		.amdhsa_exception_fp_denorm_src 0
		.amdhsa_exception_fp_ieee_div_zero 0
		.amdhsa_exception_fp_ieee_overflow 0
		.amdhsa_exception_fp_ieee_underflow 0
		.amdhsa_exception_fp_ieee_inexact 0
		.amdhsa_exception_int_div_zero 0
	.end_amdhsa_kernel
	.section	.text._ZN2at6native12_GLOBAL__N_135CatArrayBatchedCopy_alignedK_contigINS1_10OpaqueTypeILj8EEEjLi3ELi64ELi64ELi8EEEvPT_NS1_25CatArrInputTensorMetadataIS5_T0_XT2_EXT3_EEENS1_16TensorSizeStrideIS8_Lj4EEEiS8_,"axG",@progbits,_ZN2at6native12_GLOBAL__N_135CatArrayBatchedCopy_alignedK_contigINS1_10OpaqueTypeILj8EEEjLi3ELi64ELi64ELi8EEEvPT_NS1_25CatArrInputTensorMetadataIS5_T0_XT2_EXT3_EEENS1_16TensorSizeStrideIS8_Lj4EEEiS8_,comdat
.Lfunc_end172:
	.size	_ZN2at6native12_GLOBAL__N_135CatArrayBatchedCopy_alignedK_contigINS1_10OpaqueTypeILj8EEEjLi3ELi64ELi64ELi8EEEvPT_NS1_25CatArrInputTensorMetadataIS5_T0_XT2_EXT3_EEENS1_16TensorSizeStrideIS8_Lj4EEEiS8_, .Lfunc_end172-_ZN2at6native12_GLOBAL__N_135CatArrayBatchedCopy_alignedK_contigINS1_10OpaqueTypeILj8EEEjLi3ELi64ELi64ELi8EEEvPT_NS1_25CatArrInputTensorMetadataIS5_T0_XT2_EXT3_EEENS1_16TensorSizeStrideIS8_Lj4EEEiS8_
                                        ; -- End function
	.set _ZN2at6native12_GLOBAL__N_135CatArrayBatchedCopy_alignedK_contigINS1_10OpaqueTypeILj8EEEjLi3ELi64ELi64ELi8EEEvPT_NS1_25CatArrInputTensorMetadataIS5_T0_XT2_EXT3_EEENS1_16TensorSizeStrideIS8_Lj4EEEiS8_.num_vgpr, 16
	.set _ZN2at6native12_GLOBAL__N_135CatArrayBatchedCopy_alignedK_contigINS1_10OpaqueTypeILj8EEEjLi3ELi64ELi64ELi8EEEvPT_NS1_25CatArrInputTensorMetadataIS5_T0_XT2_EXT3_EEENS1_16TensorSizeStrideIS8_Lj4EEEiS8_.num_agpr, 0
	.set _ZN2at6native12_GLOBAL__N_135CatArrayBatchedCopy_alignedK_contigINS1_10OpaqueTypeILj8EEEjLi3ELi64ELi64ELi8EEEvPT_NS1_25CatArrInputTensorMetadataIS5_T0_XT2_EXT3_EEENS1_16TensorSizeStrideIS8_Lj4EEEiS8_.numbered_sgpr, 20
	.set _ZN2at6native12_GLOBAL__N_135CatArrayBatchedCopy_alignedK_contigINS1_10OpaqueTypeILj8EEEjLi3ELi64ELi64ELi8EEEvPT_NS1_25CatArrInputTensorMetadataIS5_T0_XT2_EXT3_EEENS1_16TensorSizeStrideIS8_Lj4EEEiS8_.num_named_barrier, 0
	.set _ZN2at6native12_GLOBAL__N_135CatArrayBatchedCopy_alignedK_contigINS1_10OpaqueTypeILj8EEEjLi3ELi64ELi64ELi8EEEvPT_NS1_25CatArrInputTensorMetadataIS5_T0_XT2_EXT3_EEENS1_16TensorSizeStrideIS8_Lj4EEEiS8_.private_seg_size, 0
	.set _ZN2at6native12_GLOBAL__N_135CatArrayBatchedCopy_alignedK_contigINS1_10OpaqueTypeILj8EEEjLi3ELi64ELi64ELi8EEEvPT_NS1_25CatArrInputTensorMetadataIS5_T0_XT2_EXT3_EEENS1_16TensorSizeStrideIS8_Lj4EEEiS8_.uses_vcc, 1
	.set _ZN2at6native12_GLOBAL__N_135CatArrayBatchedCopy_alignedK_contigINS1_10OpaqueTypeILj8EEEjLi3ELi64ELi64ELi8EEEvPT_NS1_25CatArrInputTensorMetadataIS5_T0_XT2_EXT3_EEENS1_16TensorSizeStrideIS8_Lj4EEEiS8_.uses_flat_scratch, 0
	.set _ZN2at6native12_GLOBAL__N_135CatArrayBatchedCopy_alignedK_contigINS1_10OpaqueTypeILj8EEEjLi3ELi64ELi64ELi8EEEvPT_NS1_25CatArrInputTensorMetadataIS5_T0_XT2_EXT3_EEENS1_16TensorSizeStrideIS8_Lj4EEEiS8_.has_dyn_sized_stack, 0
	.set _ZN2at6native12_GLOBAL__N_135CatArrayBatchedCopy_alignedK_contigINS1_10OpaqueTypeILj8EEEjLi3ELi64ELi64ELi8EEEvPT_NS1_25CatArrInputTensorMetadataIS5_T0_XT2_EXT3_EEENS1_16TensorSizeStrideIS8_Lj4EEEiS8_.has_recursion, 0
	.set _ZN2at6native12_GLOBAL__N_135CatArrayBatchedCopy_alignedK_contigINS1_10OpaqueTypeILj8EEEjLi3ELi64ELi64ELi8EEEvPT_NS1_25CatArrInputTensorMetadataIS5_T0_XT2_EXT3_EEENS1_16TensorSizeStrideIS8_Lj4EEEiS8_.has_indirect_call, 0
	.section	.AMDGPU.csdata,"",@progbits
; Kernel info:
; codeLenInByte = 952
; TotalNumSgprs: 22
; NumVgprs: 16
; ScratchSize: 0
; MemoryBound: 0
; FloatMode: 240
; IeeeMode: 1
; LDSByteSize: 0 bytes/workgroup (compile time only)
; SGPRBlocks: 0
; VGPRBlocks: 1
; NumSGPRsForWavesPerEU: 22
; NumVGPRsForWavesPerEU: 16
; Occupancy: 16
; WaveLimiterHint : 1
; COMPUTE_PGM_RSRC2:SCRATCH_EN: 0
; COMPUTE_PGM_RSRC2:USER_SGPR: 6
; COMPUTE_PGM_RSRC2:TRAP_HANDLER: 0
; COMPUTE_PGM_RSRC2:TGID_X_EN: 1
; COMPUTE_PGM_RSRC2:TGID_Y_EN: 1
; COMPUTE_PGM_RSRC2:TGID_Z_EN: 0
; COMPUTE_PGM_RSRC2:TIDIG_COMP_CNT: 0
	.section	.text._ZN2at6native12_GLOBAL__N_126CatArrayBatchedCopy_contigINS1_10OpaqueTypeILj8EEEjLi3ELi64ELi64EEEvPT_NS1_25CatArrInputTensorMetadataIS5_T0_XT2_EXT3_EEENS1_16TensorSizeStrideIS8_Lj4EEEiS8_,"axG",@progbits,_ZN2at6native12_GLOBAL__N_126CatArrayBatchedCopy_contigINS1_10OpaqueTypeILj8EEEjLi3ELi64ELi64EEEvPT_NS1_25CatArrInputTensorMetadataIS5_T0_XT2_EXT3_EEENS1_16TensorSizeStrideIS8_Lj4EEEiS8_,comdat
	.globl	_ZN2at6native12_GLOBAL__N_126CatArrayBatchedCopy_contigINS1_10OpaqueTypeILj8EEEjLi3ELi64ELi64EEEvPT_NS1_25CatArrInputTensorMetadataIS5_T0_XT2_EXT3_EEENS1_16TensorSizeStrideIS8_Lj4EEEiS8_ ; -- Begin function _ZN2at6native12_GLOBAL__N_126CatArrayBatchedCopy_contigINS1_10OpaqueTypeILj8EEEjLi3ELi64ELi64EEEvPT_NS1_25CatArrInputTensorMetadataIS5_T0_XT2_EXT3_EEENS1_16TensorSizeStrideIS8_Lj4EEEiS8_
	.p2align	8
	.type	_ZN2at6native12_GLOBAL__N_126CatArrayBatchedCopy_contigINS1_10OpaqueTypeILj8EEEjLi3ELi64ELi64EEEvPT_NS1_25CatArrInputTensorMetadataIS5_T0_XT2_EXT3_EEENS1_16TensorSizeStrideIS8_Lj4EEEiS8_,@function
_ZN2at6native12_GLOBAL__N_126CatArrayBatchedCopy_contigINS1_10OpaqueTypeILj8EEEjLi3ELi64ELi64EEEvPT_NS1_25CatArrInputTensorMetadataIS5_T0_XT2_EXT3_EEENS1_16TensorSizeStrideIS8_Lj4EEEiS8_: ; @_ZN2at6native12_GLOBAL__N_126CatArrayBatchedCopy_contigINS1_10OpaqueTypeILj8EEEjLi3ELi64ELi64EEEvPT_NS1_25CatArrInputTensorMetadataIS5_T0_XT2_EXT3_EEENS1_16TensorSizeStrideIS8_Lj4EEEiS8_
; %bb.0:
	s_mov_b32 s0, s7
	s_load_dword s7, s[4:5], 0xd7c
	s_mov_b32 s1, 0
	s_add_u32 s12, s4, 0xd70
	s_addc_u32 s13, s5, 0
	s_lshl_b64 s[2:3], s[0:1], 2
	s_waitcnt lgkmcnt(0)
	s_and_b32 s0, s7, 0xffff
	s_add_u32 s8, s4, s2
	s_addc_u32 s9, s5, s3
	v_mad_u64_u32 v[0:1], null, s6, s0, v[0:1]
	s_load_dword s7, s[8:9], 0x408
	s_add_u32 s6, s8, 8
	s_addc_u32 s8, s9, 0
	s_mov_b32 s9, exec_lo
	s_waitcnt lgkmcnt(0)
	v_cmpx_gt_u32_e64 s7, v0
	s_cbranch_execz .LBB173_3
; %bb.1:
	s_add_u32 s18, s6, s2
	s_addc_u32 s19, s8, s3
	s_sub_u32 s2, 0, s2
	s_load_dwordx2 s[16:17], s[4:5], 0xd68
	s_subb_u32 s3, 0, s3
	s_add_u32 s20, s18, s2
	s_addc_u32 s21, s19, s3
	s_clause 0x2
	s_load_dwordx2 s[2:3], s[4:5], 0xd4c
	s_load_dword s6, s[20:21], 0x300
	s_load_dwordx4 s[8:11], s[4:5], 0xd58
	s_load_dword s12, s[12:13], 0x0
	s_waitcnt lgkmcnt(0)
	s_cmp_eq_u32 s16, 2
	s_cselect_b32 s11, s6, s3
	s_cmp_eq_u32 s16, 1
	v_cvt_f32_u32_e32 v1, s11
	s_cselect_b32 s14, s6, s2
	s_load_dwordx2 s[2:3], s[4:5], 0x0
	v_cvt_f32_u32_e32 v2, s14
	s_sub_i32 s15, 0, s11
	v_rcp_iflag_f32_e32 v1, v1
	s_sub_i32 s4, 0, s14
	s_load_dword s6, s[20:21], 0x200
	v_rcp_iflag_f32_e32 v2, v2
	s_mul_i32 s12, s12, s0
	v_mul_f32_e32 v1, 0x4f7ffffe, v1
	v_mul_f32_e32 v2, 0x4f7ffffe, v2
	v_cvt_u32_f32_e32 v1, v1
	v_cvt_u32_f32_e32 v3, v2
	v_mul_lo_u32 v2, s15, v1
	v_mul_lo_u32 v4, s4, v3
	s_load_dwordx2 s[4:5], s[18:19], 0x0
	s_waitcnt lgkmcnt(0)
	s_mul_i32 s6, s6, s17
	v_mul_hi_u32 v2, v1, v2
	v_mul_hi_u32 v4, v3, v4
	v_add_nc_u32_e32 v2, v1, v2
	v_mov_b32_e32 v1, 0
	v_add_nc_u32_e32 v3, v3, v4
.LBB173_2:                              ; =>This Inner Loop Header: Depth=1
	v_lshlrev_b64 v[4:5], 3, v[0:1]
	v_mul_hi_u32 v8, v2, v0
	v_add_co_u32 v4, vcc_lo, s4, v4
	v_add_co_ci_u32_e64 v5, null, s5, v5, vcc_lo
	v_mul_lo_u32 v9, s11, v8
	v_not_b32_e32 v6, v8
	v_add_nc_u32_e32 v10, 1, v8
	global_load_dwordx2 v[4:5], v[4:5], off
	v_mad_u64_u32 v[6:7], null, s11, v6, v[0:1]
	v_sub_nc_u32_e32 v7, v0, v9
	v_cmp_le_u32_e32 vcc_lo, s11, v7
	v_cndmask_b32_e32 v8, v8, v10, vcc_lo
	v_cndmask_b32_e32 v6, v7, v6, vcc_lo
	v_add_nc_u32_e32 v7, 1, v8
	v_cmp_le_u32_e32 vcc_lo, s11, v6
	v_cndmask_b32_e32 v8, v8, v7, vcc_lo
	v_mul_hi_u32 v6, v8, v3
	v_mul_lo_u32 v7, v6, s14
	v_add_nc_u32_e32 v9, 1, v6
	v_sub_nc_u32_e32 v7, v8, v7
	v_subrev_nc_u32_e32 v10, s14, v7
	v_cmp_le_u32_e32 vcc_lo, s14, v7
	v_cndmask_b32_e32 v6, v6, v9, vcc_lo
	v_cndmask_b32_e32 v7, v7, v10, vcc_lo
	v_add_nc_u32_e32 v9, 1, v6
	v_cmp_le_u32_e32 vcc_lo, s14, v7
	v_cndmask_b32_e32 v9, v6, v9, vcc_lo
	v_mad_u64_u32 v[6:7], null, s15, v8, v[0:1]
	v_add_nc_u32_e32 v0, s12, v0
	v_mul_lo_u32 v10, v9, s14
	v_cmp_le_u32_e32 vcc_lo, s7, v0
	v_mul_lo_u32 v11, v6, s10
	v_mad_u64_u32 v[6:7], null, v9, s8, s[6:7]
	v_mov_b32_e32 v7, v1
	v_sub_nc_u32_e32 v8, v8, v10
	s_or_b32 s1, vcc_lo, s1
	v_mul_lo_u32 v8, v8, s9
	v_add3_u32 v6, v6, v11, v8
	v_lshlrev_b64 v[6:7], 3, v[6:7]
	v_add_co_u32 v6, s0, s2, v6
	v_add_co_ci_u32_e64 v7, null, s3, v7, s0
	s_waitcnt vmcnt(0)
	global_store_dwordx2 v[6:7], v[4:5], off
	s_andn2_b32 exec_lo, exec_lo, s1
	s_cbranch_execnz .LBB173_2
.LBB173_3:
	s_endpgm
	.section	.rodata,"a",@progbits
	.p2align	6, 0x0
	.amdhsa_kernel _ZN2at6native12_GLOBAL__N_126CatArrayBatchedCopy_contigINS1_10OpaqueTypeILj8EEEjLi3ELi64ELi64EEEvPT_NS1_25CatArrInputTensorMetadataIS5_T0_XT2_EXT3_EEENS1_16TensorSizeStrideIS8_Lj4EEEiS8_
		.amdhsa_group_segment_fixed_size 0
		.amdhsa_private_segment_fixed_size 0
		.amdhsa_kernarg_size 3696
		.amdhsa_user_sgpr_count 6
		.amdhsa_user_sgpr_private_segment_buffer 1
		.amdhsa_user_sgpr_dispatch_ptr 0
		.amdhsa_user_sgpr_queue_ptr 0
		.amdhsa_user_sgpr_kernarg_segment_ptr 1
		.amdhsa_user_sgpr_dispatch_id 0
		.amdhsa_user_sgpr_flat_scratch_init 0
		.amdhsa_user_sgpr_private_segment_size 0
		.amdhsa_wavefront_size32 1
		.amdhsa_uses_dynamic_stack 0
		.amdhsa_system_sgpr_private_segment_wavefront_offset 0
		.amdhsa_system_sgpr_workgroup_id_x 1
		.amdhsa_system_sgpr_workgroup_id_y 1
		.amdhsa_system_sgpr_workgroup_id_z 0
		.amdhsa_system_sgpr_workgroup_info 0
		.amdhsa_system_vgpr_workitem_id 0
		.amdhsa_next_free_vgpr 12
		.amdhsa_next_free_sgpr 22
		.amdhsa_reserve_vcc 1
		.amdhsa_reserve_flat_scratch 0
		.amdhsa_float_round_mode_32 0
		.amdhsa_float_round_mode_16_64 0
		.amdhsa_float_denorm_mode_32 3
		.amdhsa_float_denorm_mode_16_64 3
		.amdhsa_dx10_clamp 1
		.amdhsa_ieee_mode 1
		.amdhsa_fp16_overflow 0
		.amdhsa_workgroup_processor_mode 1
		.amdhsa_memory_ordered 1
		.amdhsa_forward_progress 1
		.amdhsa_shared_vgpr_count 0
		.amdhsa_exception_fp_ieee_invalid_op 0
		.amdhsa_exception_fp_denorm_src 0
		.amdhsa_exception_fp_ieee_div_zero 0
		.amdhsa_exception_fp_ieee_overflow 0
		.amdhsa_exception_fp_ieee_underflow 0
		.amdhsa_exception_fp_ieee_inexact 0
		.amdhsa_exception_int_div_zero 0
	.end_amdhsa_kernel
	.section	.text._ZN2at6native12_GLOBAL__N_126CatArrayBatchedCopy_contigINS1_10OpaqueTypeILj8EEEjLi3ELi64ELi64EEEvPT_NS1_25CatArrInputTensorMetadataIS5_T0_XT2_EXT3_EEENS1_16TensorSizeStrideIS8_Lj4EEEiS8_,"axG",@progbits,_ZN2at6native12_GLOBAL__N_126CatArrayBatchedCopy_contigINS1_10OpaqueTypeILj8EEEjLi3ELi64ELi64EEEvPT_NS1_25CatArrInputTensorMetadataIS5_T0_XT2_EXT3_EEENS1_16TensorSizeStrideIS8_Lj4EEEiS8_,comdat
.Lfunc_end173:
	.size	_ZN2at6native12_GLOBAL__N_126CatArrayBatchedCopy_contigINS1_10OpaqueTypeILj8EEEjLi3ELi64ELi64EEEvPT_NS1_25CatArrInputTensorMetadataIS5_T0_XT2_EXT3_EEENS1_16TensorSizeStrideIS8_Lj4EEEiS8_, .Lfunc_end173-_ZN2at6native12_GLOBAL__N_126CatArrayBatchedCopy_contigINS1_10OpaqueTypeILj8EEEjLi3ELi64ELi64EEEvPT_NS1_25CatArrInputTensorMetadataIS5_T0_XT2_EXT3_EEENS1_16TensorSizeStrideIS8_Lj4EEEiS8_
                                        ; -- End function
	.set _ZN2at6native12_GLOBAL__N_126CatArrayBatchedCopy_contigINS1_10OpaqueTypeILj8EEEjLi3ELi64ELi64EEEvPT_NS1_25CatArrInputTensorMetadataIS5_T0_XT2_EXT3_EEENS1_16TensorSizeStrideIS8_Lj4EEEiS8_.num_vgpr, 12
	.set _ZN2at6native12_GLOBAL__N_126CatArrayBatchedCopy_contigINS1_10OpaqueTypeILj8EEEjLi3ELi64ELi64EEEvPT_NS1_25CatArrInputTensorMetadataIS5_T0_XT2_EXT3_EEENS1_16TensorSizeStrideIS8_Lj4EEEiS8_.num_agpr, 0
	.set _ZN2at6native12_GLOBAL__N_126CatArrayBatchedCopy_contigINS1_10OpaqueTypeILj8EEEjLi3ELi64ELi64EEEvPT_NS1_25CatArrInputTensorMetadataIS5_T0_XT2_EXT3_EEENS1_16TensorSizeStrideIS8_Lj4EEEiS8_.numbered_sgpr, 22
	.set _ZN2at6native12_GLOBAL__N_126CatArrayBatchedCopy_contigINS1_10OpaqueTypeILj8EEEjLi3ELi64ELi64EEEvPT_NS1_25CatArrInputTensorMetadataIS5_T0_XT2_EXT3_EEENS1_16TensorSizeStrideIS8_Lj4EEEiS8_.num_named_barrier, 0
	.set _ZN2at6native12_GLOBAL__N_126CatArrayBatchedCopy_contigINS1_10OpaqueTypeILj8EEEjLi3ELi64ELi64EEEvPT_NS1_25CatArrInputTensorMetadataIS5_T0_XT2_EXT3_EEENS1_16TensorSizeStrideIS8_Lj4EEEiS8_.private_seg_size, 0
	.set _ZN2at6native12_GLOBAL__N_126CatArrayBatchedCopy_contigINS1_10OpaqueTypeILj8EEEjLi3ELi64ELi64EEEvPT_NS1_25CatArrInputTensorMetadataIS5_T0_XT2_EXT3_EEENS1_16TensorSizeStrideIS8_Lj4EEEiS8_.uses_vcc, 1
	.set _ZN2at6native12_GLOBAL__N_126CatArrayBatchedCopy_contigINS1_10OpaqueTypeILj8EEEjLi3ELi64ELi64EEEvPT_NS1_25CatArrInputTensorMetadataIS5_T0_XT2_EXT3_EEENS1_16TensorSizeStrideIS8_Lj4EEEiS8_.uses_flat_scratch, 0
	.set _ZN2at6native12_GLOBAL__N_126CatArrayBatchedCopy_contigINS1_10OpaqueTypeILj8EEEjLi3ELi64ELi64EEEvPT_NS1_25CatArrInputTensorMetadataIS5_T0_XT2_EXT3_EEENS1_16TensorSizeStrideIS8_Lj4EEEiS8_.has_dyn_sized_stack, 0
	.set _ZN2at6native12_GLOBAL__N_126CatArrayBatchedCopy_contigINS1_10OpaqueTypeILj8EEEjLi3ELi64ELi64EEEvPT_NS1_25CatArrInputTensorMetadataIS5_T0_XT2_EXT3_EEENS1_16TensorSizeStrideIS8_Lj4EEEiS8_.has_recursion, 0
	.set _ZN2at6native12_GLOBAL__N_126CatArrayBatchedCopy_contigINS1_10OpaqueTypeILj8EEEjLi3ELi64ELi64EEEvPT_NS1_25CatArrInputTensorMetadataIS5_T0_XT2_EXT3_EEENS1_16TensorSizeStrideIS8_Lj4EEEiS8_.has_indirect_call, 0
	.section	.AMDGPU.csdata,"",@progbits
; Kernel info:
; codeLenInByte = 572
; TotalNumSgprs: 24
; NumVgprs: 12
; ScratchSize: 0
; MemoryBound: 0
; FloatMode: 240
; IeeeMode: 1
; LDSByteSize: 0 bytes/workgroup (compile time only)
; SGPRBlocks: 0
; VGPRBlocks: 1
; NumSGPRsForWavesPerEU: 24
; NumVGPRsForWavesPerEU: 12
; Occupancy: 16
; WaveLimiterHint : 1
; COMPUTE_PGM_RSRC2:SCRATCH_EN: 0
; COMPUTE_PGM_RSRC2:USER_SGPR: 6
; COMPUTE_PGM_RSRC2:TRAP_HANDLER: 0
; COMPUTE_PGM_RSRC2:TGID_X_EN: 1
; COMPUTE_PGM_RSRC2:TGID_Y_EN: 1
; COMPUTE_PGM_RSRC2:TGID_Z_EN: 0
; COMPUTE_PGM_RSRC2:TIDIG_COMP_CNT: 0
	.section	.text._ZN2at6native12_GLOBAL__N_119CatArrayBatchedCopyINS1_10OpaqueTypeILj8EEEjLi3ELi64ELi64EEEvPT_NS1_25CatArrInputTensorMetadataIS5_T0_XT2_EXT3_EEENS1_16TensorSizeStrideIS8_Lj4EEEiS8_,"axG",@progbits,_ZN2at6native12_GLOBAL__N_119CatArrayBatchedCopyINS1_10OpaqueTypeILj8EEEjLi3ELi64ELi64EEEvPT_NS1_25CatArrInputTensorMetadataIS5_T0_XT2_EXT3_EEENS1_16TensorSizeStrideIS8_Lj4EEEiS8_,comdat
	.globl	_ZN2at6native12_GLOBAL__N_119CatArrayBatchedCopyINS1_10OpaqueTypeILj8EEEjLi3ELi64ELi64EEEvPT_NS1_25CatArrInputTensorMetadataIS5_T0_XT2_EXT3_EEENS1_16TensorSizeStrideIS8_Lj4EEEiS8_ ; -- Begin function _ZN2at6native12_GLOBAL__N_119CatArrayBatchedCopyINS1_10OpaqueTypeILj8EEEjLi3ELi64ELi64EEEvPT_NS1_25CatArrInputTensorMetadataIS5_T0_XT2_EXT3_EEENS1_16TensorSizeStrideIS8_Lj4EEEiS8_
	.p2align	8
	.type	_ZN2at6native12_GLOBAL__N_119CatArrayBatchedCopyINS1_10OpaqueTypeILj8EEEjLi3ELi64ELi64EEEvPT_NS1_25CatArrInputTensorMetadataIS5_T0_XT2_EXT3_EEENS1_16TensorSizeStrideIS8_Lj4EEEiS8_,@function
_ZN2at6native12_GLOBAL__N_119CatArrayBatchedCopyINS1_10OpaqueTypeILj8EEEjLi3ELi64ELi64EEEvPT_NS1_25CatArrInputTensorMetadataIS5_T0_XT2_EXT3_EEENS1_16TensorSizeStrideIS8_Lj4EEEiS8_: ; @_ZN2at6native12_GLOBAL__N_119CatArrayBatchedCopyINS1_10OpaqueTypeILj8EEEjLi3ELi64ELi64EEEvPT_NS1_25CatArrInputTensorMetadataIS5_T0_XT2_EXT3_EEENS1_16TensorSizeStrideIS8_Lj4EEEiS8_
; %bb.0:
	s_mov_b32 s0, s7
	s_load_dword s7, s[4:5], 0xd7c
	s_or_b32 s12, s4, 8
	s_mov_b32 s1, 0
	s_add_u32 s2, s4, 0xd70
	s_addc_u32 s3, s5, 0
	s_lshl_b64 s[8:9], s[0:1], 2
	s_mov_b32 s13, exec_lo
	s_waitcnt lgkmcnt(0)
	s_and_b32 s21, s7, 0xffff
	s_add_u32 s10, s12, s8
	s_addc_u32 s11, s5, s9
	v_mad_u64_u32 v[0:1], null, s6, s21, v[0:1]
	s_load_dword s7, s[10:11], 0x400
	s_waitcnt lgkmcnt(0)
	v_cmpx_gt_u32_e64 s7, v0
	s_cbranch_execz .LBB174_5
; %bb.1:
	s_mul_i32 s13, s0, 28
	s_mul_hi_u32 s15, s0, 28
	s_add_u32 s14, s10, s13
	v_mov_b32_e32 v1, 0
	s_addc_u32 s15, s11, s15
	s_add_u32 s10, s12, s0
	s_addc_u32 s11, s5, 0
	s_load_dwordx2 s[22:23], s[4:5], 0xd68
	global_load_ubyte v2, v1, s[10:11] offset:1280
	s_mul_hi_u32 s12, s0, 7
	s_mul_i32 s0, s0, 7
	s_waitcnt vmcnt(0)
	v_and_b32_e32 v2, 1, v2
	v_cmp_eq_u32_e32 vcc_lo, 1, v2
	s_xor_b32 s6, vcc_lo, -1
	s_add_u32 s24, s10, s0
	s_addc_u32 s25, s11, s12
	s_sub_u32 s0, 0, s8
	s_subb_u32 s8, 0, s9
	s_add_u32 s18, s24, s0
	s_addc_u32 s19, s25, s8
	s_clause 0x3
	s_load_dwordx2 s[16:17], s[4:5], 0xd4c
	s_load_dword s0, s[18:19], 0x300
	s_load_dwordx2 s[26:27], s[14:15], 0x544
	s_load_dwordx4 s[8:11], s[4:5], 0xd58
	s_waitcnt lgkmcnt(0)
	s_cmp_eq_u32 s22, 2
	s_load_dwordx4 s[12:15], s[14:15], 0x550
	s_cselect_b32 s11, s0, s17
	s_waitcnt lgkmcnt(0)
	s_cselect_b32 s15, s0, s27
	s_cmp_eq_u32 s22, 1
	v_cvt_f32_u32_e32 v2, s11
	s_cselect_b32 s16, s0, s16
	s_cselect_b32 s17, s0, s26
	v_cvt_f32_u32_e32 v3, s15
	v_cvt_f32_u32_e32 v4, s16
	;; [unrolled: 1-line block ×3, first 2 shown]
	v_rcp_iflag_f32_e32 v2, v2
	s_load_dword s20, s[18:19], 0x200
	s_load_dword s0, s[2:3], 0x0
	v_rcp_iflag_f32_e32 v3, v3
	v_rcp_iflag_f32_e32 v4, v4
	;; [unrolled: 1-line block ×3, first 2 shown]
	s_sub_i32 s18, 0, s11
	s_sub_i32 s19, 0, s15
	;; [unrolled: 1-line block ×4, first 2 shown]
	v_mul_f32_e32 v2, 0x4f7ffffe, v2
	v_mul_f32_e32 v3, 0x4f7ffffe, v3
	;; [unrolled: 1-line block ×4, first 2 shown]
	v_cvt_u32_f32_e32 v2, v2
	v_cvt_u32_f32_e32 v3, v3
	;; [unrolled: 1-line block ×4, first 2 shown]
	v_mul_lo_u32 v4, s18, v2
	s_waitcnt lgkmcnt(0)
	s_mul_i32 s20, s20, s23
	v_mul_lo_u32 v5, s19, v3
	v_mul_lo_u32 v8, s2, v6
	;; [unrolled: 1-line block ×3, first 2 shown]
	s_clause 0x1
	s_load_dwordx2 s[2:3], s[4:5], 0x0
	s_load_dwordx2 s[4:5], s[24:25], 0x0
	s_mul_i32 s21, s0, s21
	v_mul_hi_u32 v4, v2, v4
	v_mul_hi_u32 v5, v3, v5
	;; [unrolled: 1-line block ×4, first 2 shown]
	v_add_nc_u32_e32 v4, v2, v4
	v_add_nc_u32_e32 v5, v3, v5
	;; [unrolled: 1-line block ×4, first 2 shown]
	s_branch .LBB174_3
.LBB174_2:                              ;   in Loop: Header=BB174_3 Depth=1
	v_lshlrev_b64 v[2:3], 3, v[2:3]
	v_mul_hi_u32 v11, v4, v0
	s_waitcnt lgkmcnt(0)
	v_add_co_u32 v2, vcc_lo, s4, v2
	v_add_co_ci_u32_e64 v3, null, s5, v3, vcc_lo
	v_not_b32_e32 v10, v11
	v_mad_u64_u32 v[8:9], null, s18, v11, v[0:1]
	global_load_dwordx2 v[2:3], v[2:3], off
	v_add_nc_u32_e32 v12, 1, v11
	v_mad_u64_u32 v[9:10], null, s11, v10, v[0:1]
	v_cmp_le_u32_e32 vcc_lo, s11, v8
	v_cndmask_b32_e32 v10, v11, v12, vcc_lo
	v_cndmask_b32_e32 v8, v8, v9, vcc_lo
	v_add_nc_u32_e32 v9, 1, v10
	v_cmp_le_u32_e32 vcc_lo, s11, v8
	v_cndmask_b32_e32 v10, v10, v9, vcc_lo
	v_mul_hi_u32 v8, v10, v6
	v_mul_lo_u32 v9, v8, s16
	v_add_nc_u32_e32 v11, 1, v8
	v_sub_nc_u32_e32 v9, v10, v9
	v_subrev_nc_u32_e32 v12, s16, v9
	v_cmp_le_u32_e32 vcc_lo, s16, v9
	v_cndmask_b32_e32 v8, v8, v11, vcc_lo
	v_cndmask_b32_e32 v9, v9, v12, vcc_lo
	v_add_nc_u32_e32 v11, 1, v8
	v_cmp_le_u32_e32 vcc_lo, s16, v9
	v_cndmask_b32_e32 v11, v8, v11, vcc_lo
	v_mad_u64_u32 v[8:9], null, s18, v10, v[0:1]
	v_add_nc_u32_e32 v0, s21, v0
	v_mul_lo_u32 v12, v11, s16
	v_mul_lo_u32 v9, v11, s8
	v_cmp_le_u32_e32 vcc_lo, s7, v0
	v_sub_nc_u32_e32 v10, v10, v12
	s_or_b32 s1, vcc_lo, s1
	v_mul_lo_u32 v10, v10, s9
	v_mad_u64_u32 v[8:9], null, v8, s10, v[9:10]
	v_mov_b32_e32 v9, v1
	v_add3_u32 v8, v8, v10, s20
	v_lshlrev_b64 v[8:9], 3, v[8:9]
	v_add_co_u32 v8, s0, s2, v8
	v_add_co_ci_u32_e64 v9, null, s3, v9, s0
	s_waitcnt vmcnt(0)
	global_store_dwordx2 v[8:9], v[2:3], off
	s_andn2_b32 exec_lo, exec_lo, s1
	s_cbranch_execz .LBB174_5
.LBB174_3:                              ; =>This Inner Loop Header: Depth=1
	v_mov_b32_e32 v3, v1
	v_mov_b32_e32 v2, v0
	s_andn2_b32 vcc_lo, exec_lo, s6
	s_cbranch_vccnz .LBB174_2
; %bb.4:                                ;   in Loop: Header=BB174_3 Depth=1
	v_mul_hi_u32 v10, v5, v0
	v_not_b32_e32 v8, v10
	v_mad_u64_u32 v[2:3], null, s19, v10, v[0:1]
	v_add_nc_u32_e32 v3, 1, v10
	v_mad_u64_u32 v[8:9], null, s15, v8, v[0:1]
	v_cmp_le_u32_e32 vcc_lo, s15, v2
	v_cndmask_b32_e32 v3, v10, v3, vcc_lo
	v_cndmask_b32_e32 v2, v2, v8, vcc_lo
	v_add_nc_u32_e32 v8, 1, v3
	v_cmp_le_u32_e32 vcc_lo, s15, v2
	v_cndmask_b32_e32 v8, v3, v8, vcc_lo
	v_mul_hi_u32 v2, v8, v7
	v_mul_lo_u32 v3, v2, s17
	v_add_nc_u32_e32 v9, 1, v2
	v_sub_nc_u32_e32 v3, v8, v3
	v_subrev_nc_u32_e32 v10, s17, v3
	v_cmp_le_u32_e32 vcc_lo, s17, v3
	v_cndmask_b32_e32 v2, v2, v9, vcc_lo
	v_cndmask_b32_e32 v3, v3, v10, vcc_lo
	v_add_nc_u32_e32 v9, 1, v2
	v_cmp_le_u32_e32 vcc_lo, s17, v3
	v_cndmask_b32_e32 v9, v2, v9, vcc_lo
	v_mad_u64_u32 v[2:3], null, s19, v8, v[0:1]
	v_mul_lo_u32 v10, v9, s17
	v_mul_lo_u32 v2, v2, s14
	v_sub_nc_u32_e32 v3, v8, v10
	v_mul_lo_u32 v8, v9, s12
	v_mul_lo_u32 v3, v3, s13
	v_add3_u32 v2, v2, v8, v3
	v_mov_b32_e32 v3, v1
	s_branch .LBB174_2
.LBB174_5:
	s_endpgm
	.section	.rodata,"a",@progbits
	.p2align	6, 0x0
	.amdhsa_kernel _ZN2at6native12_GLOBAL__N_119CatArrayBatchedCopyINS1_10OpaqueTypeILj8EEEjLi3ELi64ELi64EEEvPT_NS1_25CatArrInputTensorMetadataIS5_T0_XT2_EXT3_EEENS1_16TensorSizeStrideIS8_Lj4EEEiS8_
		.amdhsa_group_segment_fixed_size 0
		.amdhsa_private_segment_fixed_size 0
		.amdhsa_kernarg_size 3696
		.amdhsa_user_sgpr_count 6
		.amdhsa_user_sgpr_private_segment_buffer 1
		.amdhsa_user_sgpr_dispatch_ptr 0
		.amdhsa_user_sgpr_queue_ptr 0
		.amdhsa_user_sgpr_kernarg_segment_ptr 1
		.amdhsa_user_sgpr_dispatch_id 0
		.amdhsa_user_sgpr_flat_scratch_init 0
		.amdhsa_user_sgpr_private_segment_size 0
		.amdhsa_wavefront_size32 1
		.amdhsa_uses_dynamic_stack 0
		.amdhsa_system_sgpr_private_segment_wavefront_offset 0
		.amdhsa_system_sgpr_workgroup_id_x 1
		.amdhsa_system_sgpr_workgroup_id_y 1
		.amdhsa_system_sgpr_workgroup_id_z 0
		.amdhsa_system_sgpr_workgroup_info 0
		.amdhsa_system_vgpr_workitem_id 0
		.amdhsa_next_free_vgpr 13
		.amdhsa_next_free_sgpr 28
		.amdhsa_reserve_vcc 1
		.amdhsa_reserve_flat_scratch 0
		.amdhsa_float_round_mode_32 0
		.amdhsa_float_round_mode_16_64 0
		.amdhsa_float_denorm_mode_32 3
		.amdhsa_float_denorm_mode_16_64 3
		.amdhsa_dx10_clamp 1
		.amdhsa_ieee_mode 1
		.amdhsa_fp16_overflow 0
		.amdhsa_workgroup_processor_mode 1
		.amdhsa_memory_ordered 1
		.amdhsa_forward_progress 1
		.amdhsa_shared_vgpr_count 0
		.amdhsa_exception_fp_ieee_invalid_op 0
		.amdhsa_exception_fp_denorm_src 0
		.amdhsa_exception_fp_ieee_div_zero 0
		.amdhsa_exception_fp_ieee_overflow 0
		.amdhsa_exception_fp_ieee_underflow 0
		.amdhsa_exception_fp_ieee_inexact 0
		.amdhsa_exception_int_div_zero 0
	.end_amdhsa_kernel
	.section	.text._ZN2at6native12_GLOBAL__N_119CatArrayBatchedCopyINS1_10OpaqueTypeILj8EEEjLi3ELi64ELi64EEEvPT_NS1_25CatArrInputTensorMetadataIS5_T0_XT2_EXT3_EEENS1_16TensorSizeStrideIS8_Lj4EEEiS8_,"axG",@progbits,_ZN2at6native12_GLOBAL__N_119CatArrayBatchedCopyINS1_10OpaqueTypeILj8EEEjLi3ELi64ELi64EEEvPT_NS1_25CatArrInputTensorMetadataIS5_T0_XT2_EXT3_EEENS1_16TensorSizeStrideIS8_Lj4EEEiS8_,comdat
.Lfunc_end174:
	.size	_ZN2at6native12_GLOBAL__N_119CatArrayBatchedCopyINS1_10OpaqueTypeILj8EEEjLi3ELi64ELi64EEEvPT_NS1_25CatArrInputTensorMetadataIS5_T0_XT2_EXT3_EEENS1_16TensorSizeStrideIS8_Lj4EEEiS8_, .Lfunc_end174-_ZN2at6native12_GLOBAL__N_119CatArrayBatchedCopyINS1_10OpaqueTypeILj8EEEjLi3ELi64ELi64EEEvPT_NS1_25CatArrInputTensorMetadataIS5_T0_XT2_EXT3_EEENS1_16TensorSizeStrideIS8_Lj4EEEiS8_
                                        ; -- End function
	.set _ZN2at6native12_GLOBAL__N_119CatArrayBatchedCopyINS1_10OpaqueTypeILj8EEEjLi3ELi64ELi64EEEvPT_NS1_25CatArrInputTensorMetadataIS5_T0_XT2_EXT3_EEENS1_16TensorSizeStrideIS8_Lj4EEEiS8_.num_vgpr, 13
	.set _ZN2at6native12_GLOBAL__N_119CatArrayBatchedCopyINS1_10OpaqueTypeILj8EEEjLi3ELi64ELi64EEEvPT_NS1_25CatArrInputTensorMetadataIS5_T0_XT2_EXT3_EEENS1_16TensorSizeStrideIS8_Lj4EEEiS8_.num_agpr, 0
	.set _ZN2at6native12_GLOBAL__N_119CatArrayBatchedCopyINS1_10OpaqueTypeILj8EEEjLi3ELi64ELi64EEEvPT_NS1_25CatArrInputTensorMetadataIS5_T0_XT2_EXT3_EEENS1_16TensorSizeStrideIS8_Lj4EEEiS8_.numbered_sgpr, 28
	.set _ZN2at6native12_GLOBAL__N_119CatArrayBatchedCopyINS1_10OpaqueTypeILj8EEEjLi3ELi64ELi64EEEvPT_NS1_25CatArrInputTensorMetadataIS5_T0_XT2_EXT3_EEENS1_16TensorSizeStrideIS8_Lj4EEEiS8_.num_named_barrier, 0
	.set _ZN2at6native12_GLOBAL__N_119CatArrayBatchedCopyINS1_10OpaqueTypeILj8EEEjLi3ELi64ELi64EEEvPT_NS1_25CatArrInputTensorMetadataIS5_T0_XT2_EXT3_EEENS1_16TensorSizeStrideIS8_Lj4EEEiS8_.private_seg_size, 0
	.set _ZN2at6native12_GLOBAL__N_119CatArrayBatchedCopyINS1_10OpaqueTypeILj8EEEjLi3ELi64ELi64EEEvPT_NS1_25CatArrInputTensorMetadataIS5_T0_XT2_EXT3_EEENS1_16TensorSizeStrideIS8_Lj4EEEiS8_.uses_vcc, 1
	.set _ZN2at6native12_GLOBAL__N_119CatArrayBatchedCopyINS1_10OpaqueTypeILj8EEEjLi3ELi64ELi64EEEvPT_NS1_25CatArrInputTensorMetadataIS5_T0_XT2_EXT3_EEENS1_16TensorSizeStrideIS8_Lj4EEEiS8_.uses_flat_scratch, 0
	.set _ZN2at6native12_GLOBAL__N_119CatArrayBatchedCopyINS1_10OpaqueTypeILj8EEEjLi3ELi64ELi64EEEvPT_NS1_25CatArrInputTensorMetadataIS5_T0_XT2_EXT3_EEENS1_16TensorSizeStrideIS8_Lj4EEEiS8_.has_dyn_sized_stack, 0
	.set _ZN2at6native12_GLOBAL__N_119CatArrayBatchedCopyINS1_10OpaqueTypeILj8EEEjLi3ELi64ELi64EEEvPT_NS1_25CatArrInputTensorMetadataIS5_T0_XT2_EXT3_EEENS1_16TensorSizeStrideIS8_Lj4EEEiS8_.has_recursion, 0
	.set _ZN2at6native12_GLOBAL__N_119CatArrayBatchedCopyINS1_10OpaqueTypeILj8EEEjLi3ELi64ELi64EEEvPT_NS1_25CatArrInputTensorMetadataIS5_T0_XT2_EXT3_EEENS1_16TensorSizeStrideIS8_Lj4EEEiS8_.has_indirect_call, 0
	.section	.AMDGPU.csdata,"",@progbits
; Kernel info:
; codeLenInByte = 932
; TotalNumSgprs: 30
; NumVgprs: 13
; ScratchSize: 0
; MemoryBound: 0
; FloatMode: 240
; IeeeMode: 1
; LDSByteSize: 0 bytes/workgroup (compile time only)
; SGPRBlocks: 0
; VGPRBlocks: 1
; NumSGPRsForWavesPerEU: 30
; NumVGPRsForWavesPerEU: 13
; Occupancy: 16
; WaveLimiterHint : 1
; COMPUTE_PGM_RSRC2:SCRATCH_EN: 0
; COMPUTE_PGM_RSRC2:USER_SGPR: 6
; COMPUTE_PGM_RSRC2:TRAP_HANDLER: 0
; COMPUTE_PGM_RSRC2:TGID_X_EN: 1
; COMPUTE_PGM_RSRC2:TGID_Y_EN: 1
; COMPUTE_PGM_RSRC2:TGID_Z_EN: 0
; COMPUTE_PGM_RSRC2:TIDIG_COMP_CNT: 0
	.section	.text._ZN2at6native12_GLOBAL__N_130CatArrayBatchedCopy_vectorizedINS1_10OpaqueTypeILj8EEEjLi4ELi64ELi64ELi16ELi2EEEvPcNS1_25CatArrInputTensorMetadataIT_T0_XT2_EXT3_EEENS1_16TensorSizeStrideIS8_Lj4EEEiS8_,"axG",@progbits,_ZN2at6native12_GLOBAL__N_130CatArrayBatchedCopy_vectorizedINS1_10OpaqueTypeILj8EEEjLi4ELi64ELi64ELi16ELi2EEEvPcNS1_25CatArrInputTensorMetadataIT_T0_XT2_EXT3_EEENS1_16TensorSizeStrideIS8_Lj4EEEiS8_,comdat
	.globl	_ZN2at6native12_GLOBAL__N_130CatArrayBatchedCopy_vectorizedINS1_10OpaqueTypeILj8EEEjLi4ELi64ELi64ELi16ELi2EEEvPcNS1_25CatArrInputTensorMetadataIT_T0_XT2_EXT3_EEENS1_16TensorSizeStrideIS8_Lj4EEEiS8_ ; -- Begin function _ZN2at6native12_GLOBAL__N_130CatArrayBatchedCopy_vectorizedINS1_10OpaqueTypeILj8EEEjLi4ELi64ELi64ELi16ELi2EEEvPcNS1_25CatArrInputTensorMetadataIT_T0_XT2_EXT3_EEENS1_16TensorSizeStrideIS8_Lj4EEEiS8_
	.p2align	8
	.type	_ZN2at6native12_GLOBAL__N_130CatArrayBatchedCopy_vectorizedINS1_10OpaqueTypeILj8EEEjLi4ELi64ELi64ELi16ELi2EEEvPcNS1_25CatArrInputTensorMetadataIT_T0_XT2_EXT3_EEENS1_16TensorSizeStrideIS8_Lj4EEEiS8_,@function
_ZN2at6native12_GLOBAL__N_130CatArrayBatchedCopy_vectorizedINS1_10OpaqueTypeILj8EEEjLi4ELi64ELi64ELi16ELi2EEEvPcNS1_25CatArrInputTensorMetadataIT_T0_XT2_EXT3_EEENS1_16TensorSizeStrideIS8_Lj4EEEiS8_: ; @_ZN2at6native12_GLOBAL__N_130CatArrayBatchedCopy_vectorizedINS1_10OpaqueTypeILj8EEEjLi4ELi64ELi64ELi16ELi2EEEvPcNS1_25CatArrInputTensorMetadataIT_T0_XT2_EXT3_EEENS1_16TensorSizeStrideIS8_Lj4EEEiS8_
; %bb.0:
	s_mov_b32 s0, s7
	s_load_dword s7, s[4:5], 0xd7c
	s_mov_b32 s1, 0
	s_add_u32 s2, s4, 0xd70
	s_addc_u32 s3, s5, 0
	s_lshl_b64 s[8:9], s[0:1], 2
	s_waitcnt lgkmcnt(0)
	s_and_b32 s15, s7, 0xffff
	s_add_u32 s10, s4, s8
	s_addc_u32 s11, s5, s9
	v_mad_u64_u32 v[0:1], null, s6, s15, v[0:1]
	s_load_dword s7, s[10:11], 0x408
	s_add_u32 s0, s10, 8
	s_addc_u32 s6, s11, 0
	s_waitcnt lgkmcnt(0)
	s_lshr_b32 s10, s7, 1
	s_mov_b32 s7, exec_lo
	v_cmpx_gt_u32_e64 s10, v0
	s_cbranch_execz .LBB175_3
; %bb.1:
	s_add_u32 s20, s0, s8
	s_addc_u32 s21, s6, s9
	s_sub_u32 s0, 0, s8
	s_subb_u32 s7, 0, s9
	s_add_u32 s6, s20, s0
	s_addc_u32 s7, s21, s7
	s_clause 0x3
	s_load_dwordx2 s[12:13], s[4:5], 0xd68
	s_load_dword s0, s[6:7], 0x200
	s_load_dword s6, s[6:7], 0x300
	s_load_dwordx4 s[16:19], s[4:5], 0xd4c
	s_waitcnt lgkmcnt(0)
	s_mul_i32 s0, s0, s13
	s_mul_i32 s6, s6, s13
	s_lshr_b32 s0, s0, 1
	s_lshr_b32 s6, s6, 1
	s_lshl_b64 s[22:23], s[0:1], 4
	s_cmp_eq_u32 s12, 3
	s_load_dword s0, s[2:3], 0x0
	s_cselect_b32 s8, s6, s18
	s_cmp_eq_u32 s12, 2
	v_cvt_f32_u32_e32 v1, s8
	s_cselect_b32 s9, s6, s17
	s_cmp_eq_u32 s12, 1
	v_cvt_f32_u32_e32 v2, s9
	s_cselect_b32 s11, s6, s16
	s_load_dwordx2 s[18:19], s[4:5], 0x0
	v_cvt_f32_u32_e32 v3, s11
	v_rcp_iflag_f32_e32 v1, v1
	v_rcp_iflag_f32_e32 v2, v2
	s_load_dwordx4 s[4:7], s[4:5], 0xd58
	v_rcp_iflag_f32_e32 v3, v3
	v_mul_f32_e32 v1, 0x4f7ffffe, v1
	v_mul_f32_e32 v2, 0x4f7ffffe, v2
	s_waitcnt lgkmcnt(0)
	s_mul_i32 s15, s0, s15
	v_mul_f32_e32 v3, 0x4f7ffffe, v3
	v_cvt_u32_f32_e32 v1, v1
	v_cvt_u32_f32_e32 v4, v2
	s_add_u32 s12, s18, s22
	v_cvt_u32_f32_e32 v5, v3
	s_addc_u32 s13, s19, s23
	s_sub_i32 s14, 0, s8
	s_sub_i32 s2, 0, s9
	;; [unrolled: 1-line block ×3, first 2 shown]
	v_mul_lo_u32 v2, s14, v1
	v_mul_lo_u32 v3, s2, v4
	;; [unrolled: 1-line block ×3, first 2 shown]
	s_load_dwordx2 s[2:3], s[20:21], 0x0
	v_mul_hi_u32 v2, v1, v2
	v_mul_hi_u32 v3, v4, v3
	;; [unrolled: 1-line block ×3, first 2 shown]
	v_add_nc_u32_e32 v2, v1, v2
	v_mov_b32_e32 v1, 0
	v_add_nc_u32_e32 v3, v4, v3
	v_add_nc_u32_e32 v4, v5, v6
.LBB175_2:                              ; =>This Inner Loop Header: Depth=1
	v_lshlrev_b64 v[5:6], 4, v[0:1]
	v_mul_hi_u32 v11, v2, v0
	s_waitcnt lgkmcnt(0)
	v_add_co_u32 v5, vcc_lo, s2, v5
	v_add_co_ci_u32_e64 v6, null, s3, v6, vcc_lo
	v_mul_lo_u32 v12, s8, v11
	v_not_b32_e32 v9, v11
	v_add_nc_u32_e32 v13, 1, v11
	global_load_dwordx4 v[5:8], v[5:6], off
	v_mad_u64_u32 v[9:10], null, s8, v9, v[0:1]
	v_sub_nc_u32_e32 v10, v0, v12
	v_cmp_le_u32_e32 vcc_lo, s8, v10
	v_cndmask_b32_e32 v11, v11, v13, vcc_lo
	v_cndmask_b32_e32 v9, v10, v9, vcc_lo
	v_add_nc_u32_e32 v10, 1, v11
	v_cmp_le_u32_e32 vcc_lo, s8, v9
	v_cndmask_b32_e32 v11, v11, v10, vcc_lo
	v_mul_hi_u32 v12, v11, v3
	v_mad_u64_u32 v[9:10], null, s14, v11, v[0:1]
	v_add_nc_u32_e32 v0, s15, v0
	v_mul_lo_u32 v10, v12, s9
	v_add_nc_u32_e32 v13, 1, v12
	v_mul_lo_u32 v9, v9, s7
	v_sub_nc_u32_e32 v10, v11, v10
	v_subrev_nc_u32_e32 v14, s9, v10
	v_cmp_le_u32_e32 vcc_lo, s9, v10
	v_cndmask_b32_e32 v12, v12, v13, vcc_lo
	v_cndmask_b32_e32 v10, v10, v14, vcc_lo
	v_add_nc_u32_e32 v13, 1, v12
	v_cmp_le_u32_e32 vcc_lo, s9, v10
	v_cndmask_b32_e32 v10, v12, v13, vcc_lo
	v_mul_hi_u32 v12, v10, v4
	v_mul_lo_u32 v13, v12, s11
	v_add_nc_u32_e32 v14, 1, v12
	v_sub_nc_u32_e32 v13, v10, v13
	v_subrev_nc_u32_e32 v15, s11, v13
	v_cmp_le_u32_e32 vcc_lo, s11, v13
	v_cndmask_b32_e32 v12, v12, v14, vcc_lo
	v_cndmask_b32_e32 v13, v13, v15, vcc_lo
	v_add_nc_u32_e32 v14, 1, v12
	v_cmp_le_u32_e32 vcc_lo, s11, v13
	v_mul_lo_u32 v13, v10, s9
	v_cndmask_b32_e32 v12, v12, v14, vcc_lo
	v_cmp_le_u32_e32 vcc_lo, s10, v0
	v_sub_nc_u32_e32 v11, v11, v13
	v_mul_lo_u32 v14, v12, s11
	s_or_b32 s1, vcc_lo, s1
	v_mul_lo_u32 v11, v11, s6
	v_sub_nc_u32_e32 v13, v10, v14
	v_mad_u64_u32 v[9:10], null, v12, s4, v[9:10]
	v_mov_b32_e32 v10, v1
	v_mul_lo_u32 v12, v13, s5
	v_add3_u32 v9, v9, v11, v12
	v_lshlrev_b64 v[9:10], 4, v[9:10]
	v_add_co_u32 v9, s0, s12, v9
	v_add_co_ci_u32_e64 v10, null, s13, v10, s0
	s_waitcnt vmcnt(0)
	global_store_dwordx4 v[9:10], v[5:8], off
	s_andn2_b32 exec_lo, exec_lo, s1
	s_cbranch_execnz .LBB175_2
.LBB175_3:
	s_endpgm
	.section	.rodata,"a",@progbits
	.p2align	6, 0x0
	.amdhsa_kernel _ZN2at6native12_GLOBAL__N_130CatArrayBatchedCopy_vectorizedINS1_10OpaqueTypeILj8EEEjLi4ELi64ELi64ELi16ELi2EEEvPcNS1_25CatArrInputTensorMetadataIT_T0_XT2_EXT3_EEENS1_16TensorSizeStrideIS8_Lj4EEEiS8_
		.amdhsa_group_segment_fixed_size 0
		.amdhsa_private_segment_fixed_size 0
		.amdhsa_kernarg_size 3696
		.amdhsa_user_sgpr_count 6
		.amdhsa_user_sgpr_private_segment_buffer 1
		.amdhsa_user_sgpr_dispatch_ptr 0
		.amdhsa_user_sgpr_queue_ptr 0
		.amdhsa_user_sgpr_kernarg_segment_ptr 1
		.amdhsa_user_sgpr_dispatch_id 0
		.amdhsa_user_sgpr_flat_scratch_init 0
		.amdhsa_user_sgpr_private_segment_size 0
		.amdhsa_wavefront_size32 1
		.amdhsa_uses_dynamic_stack 0
		.amdhsa_system_sgpr_private_segment_wavefront_offset 0
		.amdhsa_system_sgpr_workgroup_id_x 1
		.amdhsa_system_sgpr_workgroup_id_y 1
		.amdhsa_system_sgpr_workgroup_id_z 0
		.amdhsa_system_sgpr_workgroup_info 0
		.amdhsa_system_vgpr_workitem_id 0
		.amdhsa_next_free_vgpr 16
		.amdhsa_next_free_sgpr 24
		.amdhsa_reserve_vcc 1
		.amdhsa_reserve_flat_scratch 0
		.amdhsa_float_round_mode_32 0
		.amdhsa_float_round_mode_16_64 0
		.amdhsa_float_denorm_mode_32 3
		.amdhsa_float_denorm_mode_16_64 3
		.amdhsa_dx10_clamp 1
		.amdhsa_ieee_mode 1
		.amdhsa_fp16_overflow 0
		.amdhsa_workgroup_processor_mode 1
		.amdhsa_memory_ordered 1
		.amdhsa_forward_progress 1
		.amdhsa_shared_vgpr_count 0
		.amdhsa_exception_fp_ieee_invalid_op 0
		.amdhsa_exception_fp_denorm_src 0
		.amdhsa_exception_fp_ieee_div_zero 0
		.amdhsa_exception_fp_ieee_overflow 0
		.amdhsa_exception_fp_ieee_underflow 0
		.amdhsa_exception_fp_ieee_inexact 0
		.amdhsa_exception_int_div_zero 0
	.end_amdhsa_kernel
	.section	.text._ZN2at6native12_GLOBAL__N_130CatArrayBatchedCopy_vectorizedINS1_10OpaqueTypeILj8EEEjLi4ELi64ELi64ELi16ELi2EEEvPcNS1_25CatArrInputTensorMetadataIT_T0_XT2_EXT3_EEENS1_16TensorSizeStrideIS8_Lj4EEEiS8_,"axG",@progbits,_ZN2at6native12_GLOBAL__N_130CatArrayBatchedCopy_vectorizedINS1_10OpaqueTypeILj8EEEjLi4ELi64ELi64ELi16ELi2EEEvPcNS1_25CatArrInputTensorMetadataIT_T0_XT2_EXT3_EEENS1_16TensorSizeStrideIS8_Lj4EEEiS8_,comdat
.Lfunc_end175:
	.size	_ZN2at6native12_GLOBAL__N_130CatArrayBatchedCopy_vectorizedINS1_10OpaqueTypeILj8EEEjLi4ELi64ELi64ELi16ELi2EEEvPcNS1_25CatArrInputTensorMetadataIT_T0_XT2_EXT3_EEENS1_16TensorSizeStrideIS8_Lj4EEEiS8_, .Lfunc_end175-_ZN2at6native12_GLOBAL__N_130CatArrayBatchedCopy_vectorizedINS1_10OpaqueTypeILj8EEEjLi4ELi64ELi64ELi16ELi2EEEvPcNS1_25CatArrInputTensorMetadataIT_T0_XT2_EXT3_EEENS1_16TensorSizeStrideIS8_Lj4EEEiS8_
                                        ; -- End function
	.set _ZN2at6native12_GLOBAL__N_130CatArrayBatchedCopy_vectorizedINS1_10OpaqueTypeILj8EEEjLi4ELi64ELi64ELi16ELi2EEEvPcNS1_25CatArrInputTensorMetadataIT_T0_XT2_EXT3_EEENS1_16TensorSizeStrideIS8_Lj4EEEiS8_.num_vgpr, 16
	.set _ZN2at6native12_GLOBAL__N_130CatArrayBatchedCopy_vectorizedINS1_10OpaqueTypeILj8EEEjLi4ELi64ELi64ELi16ELi2EEEvPcNS1_25CatArrInputTensorMetadataIT_T0_XT2_EXT3_EEENS1_16TensorSizeStrideIS8_Lj4EEEiS8_.num_agpr, 0
	.set _ZN2at6native12_GLOBAL__N_130CatArrayBatchedCopy_vectorizedINS1_10OpaqueTypeILj8EEEjLi4ELi64ELi64ELi16ELi2EEEvPcNS1_25CatArrInputTensorMetadataIT_T0_XT2_EXT3_EEENS1_16TensorSizeStrideIS8_Lj4EEEiS8_.numbered_sgpr, 24
	.set _ZN2at6native12_GLOBAL__N_130CatArrayBatchedCopy_vectorizedINS1_10OpaqueTypeILj8EEEjLi4ELi64ELi64ELi16ELi2EEEvPcNS1_25CatArrInputTensorMetadataIT_T0_XT2_EXT3_EEENS1_16TensorSizeStrideIS8_Lj4EEEiS8_.num_named_barrier, 0
	.set _ZN2at6native12_GLOBAL__N_130CatArrayBatchedCopy_vectorizedINS1_10OpaqueTypeILj8EEEjLi4ELi64ELi64ELi16ELi2EEEvPcNS1_25CatArrInputTensorMetadataIT_T0_XT2_EXT3_EEENS1_16TensorSizeStrideIS8_Lj4EEEiS8_.private_seg_size, 0
	.set _ZN2at6native12_GLOBAL__N_130CatArrayBatchedCopy_vectorizedINS1_10OpaqueTypeILj8EEEjLi4ELi64ELi64ELi16ELi2EEEvPcNS1_25CatArrInputTensorMetadataIT_T0_XT2_EXT3_EEENS1_16TensorSizeStrideIS8_Lj4EEEiS8_.uses_vcc, 1
	.set _ZN2at6native12_GLOBAL__N_130CatArrayBatchedCopy_vectorizedINS1_10OpaqueTypeILj8EEEjLi4ELi64ELi64ELi16ELi2EEEvPcNS1_25CatArrInputTensorMetadataIT_T0_XT2_EXT3_EEENS1_16TensorSizeStrideIS8_Lj4EEEiS8_.uses_flat_scratch, 0
	.set _ZN2at6native12_GLOBAL__N_130CatArrayBatchedCopy_vectorizedINS1_10OpaqueTypeILj8EEEjLi4ELi64ELi64ELi16ELi2EEEvPcNS1_25CatArrInputTensorMetadataIT_T0_XT2_EXT3_EEENS1_16TensorSizeStrideIS8_Lj4EEEiS8_.has_dyn_sized_stack, 0
	.set _ZN2at6native12_GLOBAL__N_130CatArrayBatchedCopy_vectorizedINS1_10OpaqueTypeILj8EEEjLi4ELi64ELi64ELi16ELi2EEEvPcNS1_25CatArrInputTensorMetadataIT_T0_XT2_EXT3_EEENS1_16TensorSizeStrideIS8_Lj4EEEiS8_.has_recursion, 0
	.set _ZN2at6native12_GLOBAL__N_130CatArrayBatchedCopy_vectorizedINS1_10OpaqueTypeILj8EEEjLi4ELi64ELi64ELi16ELi2EEEvPcNS1_25CatArrInputTensorMetadataIT_T0_XT2_EXT3_EEENS1_16TensorSizeStrideIS8_Lj4EEEiS8_.has_indirect_call, 0
	.section	.AMDGPU.csdata,"",@progbits
; Kernel info:
; codeLenInByte = 728
; TotalNumSgprs: 26
; NumVgprs: 16
; ScratchSize: 0
; MemoryBound: 0
; FloatMode: 240
; IeeeMode: 1
; LDSByteSize: 0 bytes/workgroup (compile time only)
; SGPRBlocks: 0
; VGPRBlocks: 1
; NumSGPRsForWavesPerEU: 26
; NumVGPRsForWavesPerEU: 16
; Occupancy: 16
; WaveLimiterHint : 1
; COMPUTE_PGM_RSRC2:SCRATCH_EN: 0
; COMPUTE_PGM_RSRC2:USER_SGPR: 6
; COMPUTE_PGM_RSRC2:TRAP_HANDLER: 0
; COMPUTE_PGM_RSRC2:TGID_X_EN: 1
; COMPUTE_PGM_RSRC2:TGID_Y_EN: 1
; COMPUTE_PGM_RSRC2:TGID_Z_EN: 0
; COMPUTE_PGM_RSRC2:TIDIG_COMP_CNT: 0
	.section	.text._ZN2at6native12_GLOBAL__N_135CatArrayBatchedCopy_alignedK_contigINS1_10OpaqueTypeILj8EEEjLi4ELi64ELi64ELi16EEEvPT_NS1_25CatArrInputTensorMetadataIS5_T0_XT2_EXT3_EEENS1_16TensorSizeStrideIS8_Lj4EEEiS8_,"axG",@progbits,_ZN2at6native12_GLOBAL__N_135CatArrayBatchedCopy_alignedK_contigINS1_10OpaqueTypeILj8EEEjLi4ELi64ELi64ELi16EEEvPT_NS1_25CatArrInputTensorMetadataIS5_T0_XT2_EXT3_EEENS1_16TensorSizeStrideIS8_Lj4EEEiS8_,comdat
	.globl	_ZN2at6native12_GLOBAL__N_135CatArrayBatchedCopy_alignedK_contigINS1_10OpaqueTypeILj8EEEjLi4ELi64ELi64ELi16EEEvPT_NS1_25CatArrInputTensorMetadataIS5_T0_XT2_EXT3_EEENS1_16TensorSizeStrideIS8_Lj4EEEiS8_ ; -- Begin function _ZN2at6native12_GLOBAL__N_135CatArrayBatchedCopy_alignedK_contigINS1_10OpaqueTypeILj8EEEjLi4ELi64ELi64ELi16EEEvPT_NS1_25CatArrInputTensorMetadataIS5_T0_XT2_EXT3_EEENS1_16TensorSizeStrideIS8_Lj4EEEiS8_
	.p2align	8
	.type	_ZN2at6native12_GLOBAL__N_135CatArrayBatchedCopy_alignedK_contigINS1_10OpaqueTypeILj8EEEjLi4ELi64ELi64ELi16EEEvPT_NS1_25CatArrInputTensorMetadataIS5_T0_XT2_EXT3_EEENS1_16TensorSizeStrideIS8_Lj4EEEiS8_,@function
_ZN2at6native12_GLOBAL__N_135CatArrayBatchedCopy_alignedK_contigINS1_10OpaqueTypeILj8EEEjLi4ELi64ELi64ELi16EEEvPT_NS1_25CatArrInputTensorMetadataIS5_T0_XT2_EXT3_EEENS1_16TensorSizeStrideIS8_Lj4EEEiS8_: ; @_ZN2at6native12_GLOBAL__N_135CatArrayBatchedCopy_alignedK_contigINS1_10OpaqueTypeILj8EEEjLi4ELi64ELi64ELi16EEEvPT_NS1_25CatArrInputTensorMetadataIS5_T0_XT2_EXT3_EEENS1_16TensorSizeStrideIS8_Lj4EEEiS8_
; %bb.0:
	s_mov_b32 s2, s7
	s_load_dword s7, s[4:5], 0xd7c
	s_mov_b32 s3, 0
	s_add_u32 s0, s4, 0xd70
	s_addc_u32 s1, s5, 0
	s_lshl_b64 s[16:17], s[2:3], 2
	s_waitcnt lgkmcnt(0)
	s_and_b32 s18, s7, 0xffff
	s_add_u32 s2, s4, s16
	s_addc_u32 s3, s5, s17
	s_mul_i32 s6, s6, s18
	s_load_dword s7, s[2:3], 0x408
	v_add_lshl_u32 v0, s6, v0, 1
	s_add_u32 s6, s2, 8
	s_addc_u32 s19, s3, 0
	s_mov_b32 s2, exec_lo
	s_waitcnt lgkmcnt(0)
	v_cmpx_gt_u32_e64 s7, v0
	s_cbranch_execz .LBB176_8
; %bb.1:
	s_add_u32 s20, s6, s16
	s_addc_u32 s21, s19, s17
	s_sub_u32 s6, 0, s16
	s_subb_u32 s17, 0, s17
	s_add_u32 s16, s20, s6
	s_addc_u32 s17, s21, s17
	s_clause 0x5
	s_load_dwordx2 s[2:3], s[4:5], 0x0
	s_load_dwordx8 s[8:15], s[4:5], 0xd4c
	s_load_dword s6, s[4:5], 0xd6c
	s_load_dword s19, s[16:17], 0x200
	s_load_dwordx2 s[4:5], s[20:21], 0x0
	s_load_dword s16, s[16:17], 0x300
	v_add_nc_u32_e32 v1, 2, v0
	s_mov_b32 s17, exec_lo
	s_waitcnt lgkmcnt(0)
	s_mul_i32 s6, s19, s6
	v_cmpx_ge_u32_e64 s7, v1
	s_cbranch_execz .LBB176_5
; %bb.2:
	s_load_dword s0, s[0:1], 0x0
	s_mov_b32 s23, 0
	s_waitcnt lgkmcnt(0)
	s_mul_i32 s0, s0, s18
	s_lshl_b32 s18, s0, 1
	s_cmp_eq_u32 s15, 3
	s_cselect_b32 s19, s16, s10
	s_cmp_eq_u32 s15, 2
	v_cvt_f32_u32_e32 v1, s19
	s_cselect_b32 s20, s16, s9
	s_cmp_eq_u32 s15, 1
	v_cvt_f32_u32_e32 v2, s20
	s_cselect_b32 s21, s16, s8
	v_rcp_iflag_f32_e32 v1, v1
	v_cvt_f32_u32_e32 v3, s21
	s_sub_i32 s22, 0, s19
	v_rcp_iflag_f32_e32 v2, v2
	s_sub_i32 s0, 0, s20
	s_sub_i32 s1, 0, s21
	v_rcp_iflag_f32_e32 v3, v3
	v_mul_f32_e32 v1, 0x4f7ffffe, v1
	v_mul_f32_e32 v2, 0x4f7ffffe, v2
	v_cvt_u32_f32_e32 v4, v1
	v_mul_f32_e32 v3, 0x4f7ffffe, v3
	v_cvt_u32_f32_e32 v5, v2
	v_mul_lo_u32 v1, s22, v4
	v_cvt_u32_f32_e32 v6, v3
	v_mul_lo_u32 v2, s0, v5
	v_mul_lo_u32 v3, s1, v6
	v_mul_hi_u32 v7, v4, v1
	v_mov_b32_e32 v1, 0
	v_mul_hi_u32 v8, v5, v2
	v_mul_hi_u32 v9, v6, v3
	v_add_nc_u32_e32 v2, v4, v7
	v_add_nc_u32_e32 v3, v5, v8
	;; [unrolled: 1-line block ×4, first 2 shown]
.LBB176_3:                              ; =>This Inner Loop Header: Depth=1
	v_lshlrev_b64 v[6:7], 3, v[0:1]
	v_mul_hi_u32 v12, v2, v0
	v_mul_hi_u32 v16, v2, v5
	v_add_nc_u32_e32 v10, 1, v0
	v_mov_b32_e32 v11, v1
	v_mov_b32_e32 v13, v1
	v_add_co_u32 v6, vcc_lo, s4, v6
	v_add_co_ci_u32_e64 v7, null, s5, v7, vcc_lo
	v_not_b32_e32 v17, v12
	v_mad_u64_u32 v[14:15], null, s22, v12, v[0:1]
	global_load_dwordx4 v[6:9], v[6:7], off
	v_not_b32_e32 v18, v16
	v_mad_u64_u32 v[15:16], null, s22, v16, v[10:11]
	v_mul_hi_u32 v19, v10, v2
	v_mad_u64_u32 v[16:17], null, s19, v17, v[0:1]
	v_add_nc_u32_e32 v20, 1, v12
	v_cmp_le_u32_e32 vcc_lo, s19, v14
	v_mad_u64_u32 v[17:18], null, s19, v18, v[10:11]
	v_cmp_le_u32_e64 s0, s19, v15
	v_add_nc_u32_e32 v21, 1, v19
	v_cndmask_b32_e32 v10, v12, v20, vcc_lo
	v_cndmask_b32_e32 v14, v14, v16, vcc_lo
	v_add_nc_u32_e32 v5, s18, v5
	v_cndmask_b32_e64 v12, v19, v21, s0
	v_add_nc_u32_e32 v16, 1, v10
	v_cndmask_b32_e64 v15, v15, v17, s0
	v_cmp_le_u32_e32 vcc_lo, s19, v14
	v_add_nc_u32_e32 v17, 1, v12
	v_cndmask_b32_e32 v10, v10, v16, vcc_lo
	v_cmp_le_u32_e32 vcc_lo, s19, v15
	v_mad_u64_u32 v[14:15], null, s22, v10, v[0:1]
	v_cndmask_b32_e32 v12, v12, v17, vcc_lo
	v_mul_hi_u32 v17, v10, v3
	v_mad_u64_u32 v[15:16], null, s22, v12, v[0:1]
	v_mul_hi_u32 v16, v12, v3
	v_add_nc_u32_e32 v0, s18, v0
	v_mul_lo_u32 v19, v17, s20
	v_mul_lo_u32 v21, v14, s14
	v_add_nc_u32_e32 v20, 1, v17
	v_mad_u64_u32 v[14:15], null, s14, v15, s[14:15]
	v_mul_lo_u32 v22, v16, s20
	v_add_nc_u32_e32 v18, 2, v0
	v_sub_nc_u32_e32 v15, v10, v19
	v_add_nc_u32_e32 v23, 1, v16
	v_cmp_lt_u32_e32 vcc_lo, s7, v18
	v_subrev_nc_u32_e32 v19, s20, v15
	v_sub_nc_u32_e32 v18, v12, v22
	v_cmp_le_u32_e64 s0, s20, v15
	s_or_b32 s23, vcc_lo, s23
	v_cmp_le_u32_e64 s1, s20, v18
	v_cndmask_b32_e64 v17, v17, v20, s0
	v_subrev_nc_u32_e32 v20, s20, v18
	v_cndmask_b32_e64 v15, v15, v19, s0
	v_cndmask_b32_e64 v16, v16, v23, s1
	v_add_nc_u32_e32 v19, 1, v17
	v_cndmask_b32_e64 v18, v18, v20, s1
	v_cmp_le_u32_e64 s0, s20, v15
	v_add_nc_u32_e32 v20, 1, v16
	v_cndmask_b32_e64 v15, v17, v19, s0
	v_cmp_le_u32_e64 s0, s20, v18
	v_mul_lo_u32 v17, v15, s20
	v_cndmask_b32_e64 v16, v16, v20, s0
	v_mul_hi_u32 v18, v15, v4
	v_mul_lo_u32 v19, v16, s20
	v_mul_hi_u32 v20, v16, v4
	v_sub_nc_u32_e32 v10, v10, v17
	v_mul_lo_u32 v17, v18, s21
	v_add_nc_u32_e32 v22, 1, v18
	v_mul_lo_u32 v10, v10, s13
	v_sub_nc_u32_e32 v12, v12, v19
	v_mul_lo_u32 v19, v20, s21
	v_add_nc_u32_e32 v23, 1, v20
	v_sub_nc_u32_e32 v17, v15, v17
	v_mul_lo_u32 v12, v12, s13
	v_sub_nc_u32_e32 v19, v16, v19
	v_subrev_nc_u32_e32 v24, s21, v17
	v_cmp_le_u32_e64 s0, s21, v17
	v_cmp_le_u32_e64 s1, s21, v19
	v_cndmask_b32_e64 v18, v18, v22, s0
	v_subrev_nc_u32_e32 v22, s21, v19
	v_cndmask_b32_e64 v17, v17, v24, s0
	v_cndmask_b32_e64 v20, v20, v23, s1
	v_add_nc_u32_e32 v23, 1, v18
	v_cndmask_b32_e64 v19, v19, v22, s1
	v_cmp_le_u32_e64 s0, s21, v17
	v_add_nc_u32_e32 v22, 1, v20
	v_cndmask_b32_e64 v17, v18, v23, s0
	v_cmp_le_u32_e64 s0, s21, v19
	v_mul_lo_u32 v19, v17, s21
	v_cndmask_b32_e64 v18, v20, v22, s0
	v_mul_lo_u32 v17, v17, s11
	v_mul_lo_u32 v20, v18, s21
	;; [unrolled: 1-line block ×3, first 2 shown]
	v_sub_nc_u32_e32 v15, v15, v19
	v_add3_u32 v10, v17, v21, v10
	v_mul_lo_u32 v15, v15, s12
	v_sub_nc_u32_e32 v16, v16, v20
	v_add3_u32 v12, v18, v14, v12
	v_mul_lo_u32 v16, v16, s12
	v_add3_u32 v10, v10, v15, s6
	v_lshlrev_b64 v[10:11], 3, v[10:11]
	v_add3_u32 v12, v12, v16, s6
	v_lshlrev_b64 v[12:13], 3, v[12:13]
	v_add_co_u32 v10, s0, s2, v10
	v_add_co_ci_u32_e64 v11, null, s3, v11, s0
	v_add_co_u32 v12, s0, s2, v12
	v_add_co_ci_u32_e64 v13, null, s3, v13, s0
	s_waitcnt vmcnt(0)
	global_store_dwordx2 v[10:11], v[6:7], off
	global_store_dwordx2 v[12:13], v[8:9], off
	s_andn2_b32 exec_lo, exec_lo, s23
	s_cbranch_execnz .LBB176_3
; %bb.4:
	s_or_b32 exec_lo, exec_lo, s23
.LBB176_5:
	s_or_b32 exec_lo, exec_lo, s17
	v_cmp_gt_u32_e32 vcc_lo, s7, v0
	s_and_b32 exec_lo, exec_lo, vcc_lo
	s_cbranch_execz .LBB176_8
; %bb.6:
	s_cmp_eq_u32 s15, 3
	s_cselect_b32 s10, s16, s10
	s_cmp_eq_u32 s15, 2
	v_cvt_f32_u32_e32 v1, s10
	s_cselect_b32 s9, s16, s9
	s_cmp_eq_u32 s15, 1
	v_cvt_f32_u32_e32 v2, s9
	s_cselect_b32 s8, s16, s8
	v_rcp_iflag_f32_e32 v1, v1
	v_cvt_f32_u32_e32 v3, s8
	s_sub_i32 s15, 0, s10
	v_rcp_iflag_f32_e32 v2, v2
	s_sub_i32 s0, 0, s9
	s_sub_i32 s1, 0, s8
	v_rcp_iflag_f32_e32 v3, v3
	v_mul_f32_e32 v1, 0x4f7ffffe, v1
	v_mul_f32_e32 v2, 0x4f7ffffe, v2
	v_cvt_u32_f32_e32 v4, v1
	v_mul_f32_e32 v3, 0x4f7ffffe, v3
	v_cvt_u32_f32_e32 v8, v2
	v_mov_b32_e32 v2, 0
	v_mul_lo_u32 v1, s15, v4
	v_cvt_u32_f32_e32 v3, v3
	v_mul_lo_u32 v5, s0, v8
	v_mul_lo_u32 v6, s1, v3
	v_mul_hi_u32 v7, v4, v1
	v_mov_b32_e32 v1, v2
	v_mul_hi_u32 v9, v8, v5
	v_mul_hi_u32 v10, v3, v6
	v_lshlrev_b64 v[5:6], 3, v[0:1]
	v_add_nc_u32_e32 v7, v4, v7
	v_add_nc_u32_e32 v8, v8, v9
	v_add_co_u32 v5, vcc_lo, s4, v5
	v_add_nc_u32_e32 v9, v3, v10
	v_mad_u64_u32 v[3:4], null, v0, v7, 0
	v_add_co_ci_u32_e64 v6, null, s5, v6, vcc_lo
	s_mov_b32 s4, 0
.LBB176_7:                              ; =>This Inner Loop Header: Depth=1
	global_load_dwordx2 v[10:11], v[5:6], off
	v_mul_lo_u32 v1, s10, v4
	v_not_b32_e32 v12, v4
	v_add_nc_u32_e32 v14, 1, v4
	v_add_co_u32 v3, vcc_lo, v3, v7
	v_mad_u64_u32 v[12:13], null, s10, v12, v[0:1]
	v_sub_nc_u32_e32 v1, v0, v1
	v_cmp_le_u32_e64 s0, s10, v1
	v_cndmask_b32_e64 v13, v4, v14, s0
	v_cndmask_b32_e64 v1, v1, v12, s0
	v_add_co_ci_u32_e64 v4, null, 0, v4, vcc_lo
	v_add_nc_u32_e32 v12, 1, v13
	v_cmp_le_u32_e64 s0, s10, v1
	v_cndmask_b32_e64 v1, v13, v12, s0
	v_mul_hi_u32 v12, v1, v8
	v_mul_lo_u32 v13, v12, s9
	v_add_nc_u32_e32 v14, 1, v12
	v_sub_nc_u32_e32 v13, v1, v13
	v_subrev_nc_u32_e32 v15, s9, v13
	v_cmp_le_u32_e64 s0, s9, v13
	v_cndmask_b32_e64 v12, v12, v14, s0
	v_cndmask_b32_e64 v13, v13, v15, s0
	v_add_nc_u32_e32 v14, 1, v12
	v_cmp_le_u32_e64 s0, s9, v13
	v_cndmask_b32_e64 v14, v12, v14, s0
	v_mad_u64_u32 v[12:13], null, s15, v1, v[0:1]
	v_add_nc_u32_e32 v0, 1, v0
	v_mul_hi_u32 v15, v14, v9
	v_mul_lo_u32 v16, v14, s9
	v_mul_lo_u32 v12, v12, s14
	;; [unrolled: 1-line block ×3, first 2 shown]
	v_add_nc_u32_e32 v17, 1, v15
	v_sub_nc_u32_e32 v1, v1, v16
	v_mul_lo_u32 v1, v1, s13
	v_sub_nc_u32_e32 v13, v14, v13
	v_subrev_nc_u32_e32 v18, s8, v13
	v_cmp_le_u32_e64 s0, s8, v13
	v_cndmask_b32_e64 v15, v15, v17, s0
	v_cndmask_b32_e64 v13, v13, v18, s0
	v_add_nc_u32_e32 v17, 1, v15
	v_cmp_le_u32_e64 s0, s8, v13
	v_cndmask_b32_e64 v13, v15, v17, s0
	v_add_co_u32 v5, s0, v5, 8
	v_add_co_ci_u32_e64 v6, null, 0, v6, s0
	v_mul_lo_u32 v15, v13, s8
	v_mul_lo_u32 v13, v13, s11
	v_cmp_le_u32_e64 s0, s7, v0
	s_or_b32 s4, s0, s4
	v_sub_nc_u32_e32 v14, v14, v15
	v_add3_u32 v1, v13, v12, v1
	v_mul_lo_u32 v14, v14, s12
	v_add3_u32 v1, v1, v14, s6
	v_lshlrev_b64 v[12:13], 3, v[1:2]
	v_add_co_u32 v12, s1, s2, v12
	v_add_co_ci_u32_e64 v13, null, s3, v13, s1
	s_waitcnt vmcnt(0)
	global_store_dwordx2 v[12:13], v[10:11], off
	s_andn2_b32 exec_lo, exec_lo, s4
	s_cbranch_execnz .LBB176_7
.LBB176_8:
	s_endpgm
	.section	.rodata,"a",@progbits
	.p2align	6, 0x0
	.amdhsa_kernel _ZN2at6native12_GLOBAL__N_135CatArrayBatchedCopy_alignedK_contigINS1_10OpaqueTypeILj8EEEjLi4ELi64ELi64ELi16EEEvPT_NS1_25CatArrInputTensorMetadataIS5_T0_XT2_EXT3_EEENS1_16TensorSizeStrideIS8_Lj4EEEiS8_
		.amdhsa_group_segment_fixed_size 0
		.amdhsa_private_segment_fixed_size 0
		.amdhsa_kernarg_size 3696
		.amdhsa_user_sgpr_count 6
		.amdhsa_user_sgpr_private_segment_buffer 1
		.amdhsa_user_sgpr_dispatch_ptr 0
		.amdhsa_user_sgpr_queue_ptr 0
		.amdhsa_user_sgpr_kernarg_segment_ptr 1
		.amdhsa_user_sgpr_dispatch_id 0
		.amdhsa_user_sgpr_flat_scratch_init 0
		.amdhsa_user_sgpr_private_segment_size 0
		.amdhsa_wavefront_size32 1
		.amdhsa_uses_dynamic_stack 0
		.amdhsa_system_sgpr_private_segment_wavefront_offset 0
		.amdhsa_system_sgpr_workgroup_id_x 1
		.amdhsa_system_sgpr_workgroup_id_y 1
		.amdhsa_system_sgpr_workgroup_id_z 0
		.amdhsa_system_sgpr_workgroup_info 0
		.amdhsa_system_vgpr_workitem_id 0
		.amdhsa_next_free_vgpr 25
		.amdhsa_next_free_sgpr 24
		.amdhsa_reserve_vcc 1
		.amdhsa_reserve_flat_scratch 0
		.amdhsa_float_round_mode_32 0
		.amdhsa_float_round_mode_16_64 0
		.amdhsa_float_denorm_mode_32 3
		.amdhsa_float_denorm_mode_16_64 3
		.amdhsa_dx10_clamp 1
		.amdhsa_ieee_mode 1
		.amdhsa_fp16_overflow 0
		.amdhsa_workgroup_processor_mode 1
		.amdhsa_memory_ordered 1
		.amdhsa_forward_progress 1
		.amdhsa_shared_vgpr_count 0
		.amdhsa_exception_fp_ieee_invalid_op 0
		.amdhsa_exception_fp_denorm_src 0
		.amdhsa_exception_fp_ieee_div_zero 0
		.amdhsa_exception_fp_ieee_overflow 0
		.amdhsa_exception_fp_ieee_underflow 0
		.amdhsa_exception_fp_ieee_inexact 0
		.amdhsa_exception_int_div_zero 0
	.end_amdhsa_kernel
	.section	.text._ZN2at6native12_GLOBAL__N_135CatArrayBatchedCopy_alignedK_contigINS1_10OpaqueTypeILj8EEEjLi4ELi64ELi64ELi16EEEvPT_NS1_25CatArrInputTensorMetadataIS5_T0_XT2_EXT3_EEENS1_16TensorSizeStrideIS8_Lj4EEEiS8_,"axG",@progbits,_ZN2at6native12_GLOBAL__N_135CatArrayBatchedCopy_alignedK_contigINS1_10OpaqueTypeILj8EEEjLi4ELi64ELi64ELi16EEEvPT_NS1_25CatArrInputTensorMetadataIS5_T0_XT2_EXT3_EEENS1_16TensorSizeStrideIS8_Lj4EEEiS8_,comdat
.Lfunc_end176:
	.size	_ZN2at6native12_GLOBAL__N_135CatArrayBatchedCopy_alignedK_contigINS1_10OpaqueTypeILj8EEEjLi4ELi64ELi64ELi16EEEvPT_NS1_25CatArrInputTensorMetadataIS5_T0_XT2_EXT3_EEENS1_16TensorSizeStrideIS8_Lj4EEEiS8_, .Lfunc_end176-_ZN2at6native12_GLOBAL__N_135CatArrayBatchedCopy_alignedK_contigINS1_10OpaqueTypeILj8EEEjLi4ELi64ELi64ELi16EEEvPT_NS1_25CatArrInputTensorMetadataIS5_T0_XT2_EXT3_EEENS1_16TensorSizeStrideIS8_Lj4EEEiS8_
                                        ; -- End function
	.set _ZN2at6native12_GLOBAL__N_135CatArrayBatchedCopy_alignedK_contigINS1_10OpaqueTypeILj8EEEjLi4ELi64ELi64ELi16EEEvPT_NS1_25CatArrInputTensorMetadataIS5_T0_XT2_EXT3_EEENS1_16TensorSizeStrideIS8_Lj4EEEiS8_.num_vgpr, 25
	.set _ZN2at6native12_GLOBAL__N_135CatArrayBatchedCopy_alignedK_contigINS1_10OpaqueTypeILj8EEEjLi4ELi64ELi64ELi16EEEvPT_NS1_25CatArrInputTensorMetadataIS5_T0_XT2_EXT3_EEENS1_16TensorSizeStrideIS8_Lj4EEEiS8_.num_agpr, 0
	.set _ZN2at6native12_GLOBAL__N_135CatArrayBatchedCopy_alignedK_contigINS1_10OpaqueTypeILj8EEEjLi4ELi64ELi64ELi16EEEvPT_NS1_25CatArrInputTensorMetadataIS5_T0_XT2_EXT3_EEENS1_16TensorSizeStrideIS8_Lj4EEEiS8_.numbered_sgpr, 24
	.set _ZN2at6native12_GLOBAL__N_135CatArrayBatchedCopy_alignedK_contigINS1_10OpaqueTypeILj8EEEjLi4ELi64ELi64ELi16EEEvPT_NS1_25CatArrInputTensorMetadataIS5_T0_XT2_EXT3_EEENS1_16TensorSizeStrideIS8_Lj4EEEiS8_.num_named_barrier, 0
	.set _ZN2at6native12_GLOBAL__N_135CatArrayBatchedCopy_alignedK_contigINS1_10OpaqueTypeILj8EEEjLi4ELi64ELi64ELi16EEEvPT_NS1_25CatArrInputTensorMetadataIS5_T0_XT2_EXT3_EEENS1_16TensorSizeStrideIS8_Lj4EEEiS8_.private_seg_size, 0
	.set _ZN2at6native12_GLOBAL__N_135CatArrayBatchedCopy_alignedK_contigINS1_10OpaqueTypeILj8EEEjLi4ELi64ELi64ELi16EEEvPT_NS1_25CatArrInputTensorMetadataIS5_T0_XT2_EXT3_EEENS1_16TensorSizeStrideIS8_Lj4EEEiS8_.uses_vcc, 1
	.set _ZN2at6native12_GLOBAL__N_135CatArrayBatchedCopy_alignedK_contigINS1_10OpaqueTypeILj8EEEjLi4ELi64ELi64ELi16EEEvPT_NS1_25CatArrInputTensorMetadataIS5_T0_XT2_EXT3_EEENS1_16TensorSizeStrideIS8_Lj4EEEiS8_.uses_flat_scratch, 0
	.set _ZN2at6native12_GLOBAL__N_135CatArrayBatchedCopy_alignedK_contigINS1_10OpaqueTypeILj8EEEjLi4ELi64ELi64ELi16EEEvPT_NS1_25CatArrInputTensorMetadataIS5_T0_XT2_EXT3_EEENS1_16TensorSizeStrideIS8_Lj4EEEiS8_.has_dyn_sized_stack, 0
	.set _ZN2at6native12_GLOBAL__N_135CatArrayBatchedCopy_alignedK_contigINS1_10OpaqueTypeILj8EEEjLi4ELi64ELi64ELi16EEEvPT_NS1_25CatArrInputTensorMetadataIS5_T0_XT2_EXT3_EEENS1_16TensorSizeStrideIS8_Lj4EEEiS8_.has_recursion, 0
	.set _ZN2at6native12_GLOBAL__N_135CatArrayBatchedCopy_alignedK_contigINS1_10OpaqueTypeILj8EEEjLi4ELi64ELi64ELi16EEEvPT_NS1_25CatArrInputTensorMetadataIS5_T0_XT2_EXT3_EEENS1_16TensorSizeStrideIS8_Lj4EEEiS8_.has_indirect_call, 0
	.section	.AMDGPU.csdata,"",@progbits
; Kernel info:
; codeLenInByte = 1732
; TotalNumSgprs: 26
; NumVgprs: 25
; ScratchSize: 0
; MemoryBound: 0
; FloatMode: 240
; IeeeMode: 1
; LDSByteSize: 0 bytes/workgroup (compile time only)
; SGPRBlocks: 0
; VGPRBlocks: 3
; NumSGPRsForWavesPerEU: 26
; NumVGPRsForWavesPerEU: 25
; Occupancy: 16
; WaveLimiterHint : 1
; COMPUTE_PGM_RSRC2:SCRATCH_EN: 0
; COMPUTE_PGM_RSRC2:USER_SGPR: 6
; COMPUTE_PGM_RSRC2:TRAP_HANDLER: 0
; COMPUTE_PGM_RSRC2:TGID_X_EN: 1
; COMPUTE_PGM_RSRC2:TGID_Y_EN: 1
; COMPUTE_PGM_RSRC2:TGID_Z_EN: 0
; COMPUTE_PGM_RSRC2:TIDIG_COMP_CNT: 0
	.section	.text._ZN2at6native12_GLOBAL__N_135CatArrayBatchedCopy_alignedK_contigINS1_10OpaqueTypeILj8EEEjLi4ELi64ELi64ELi8EEEvPT_NS1_25CatArrInputTensorMetadataIS5_T0_XT2_EXT3_EEENS1_16TensorSizeStrideIS8_Lj4EEEiS8_,"axG",@progbits,_ZN2at6native12_GLOBAL__N_135CatArrayBatchedCopy_alignedK_contigINS1_10OpaqueTypeILj8EEEjLi4ELi64ELi64ELi8EEEvPT_NS1_25CatArrInputTensorMetadataIS5_T0_XT2_EXT3_EEENS1_16TensorSizeStrideIS8_Lj4EEEiS8_,comdat
	.globl	_ZN2at6native12_GLOBAL__N_135CatArrayBatchedCopy_alignedK_contigINS1_10OpaqueTypeILj8EEEjLi4ELi64ELi64ELi8EEEvPT_NS1_25CatArrInputTensorMetadataIS5_T0_XT2_EXT3_EEENS1_16TensorSizeStrideIS8_Lj4EEEiS8_ ; -- Begin function _ZN2at6native12_GLOBAL__N_135CatArrayBatchedCopy_alignedK_contigINS1_10OpaqueTypeILj8EEEjLi4ELi64ELi64ELi8EEEvPT_NS1_25CatArrInputTensorMetadataIS5_T0_XT2_EXT3_EEENS1_16TensorSizeStrideIS8_Lj4EEEiS8_
	.p2align	8
	.type	_ZN2at6native12_GLOBAL__N_135CatArrayBatchedCopy_alignedK_contigINS1_10OpaqueTypeILj8EEEjLi4ELi64ELi64ELi8EEEvPT_NS1_25CatArrInputTensorMetadataIS5_T0_XT2_EXT3_EEENS1_16TensorSizeStrideIS8_Lj4EEEiS8_,@function
_ZN2at6native12_GLOBAL__N_135CatArrayBatchedCopy_alignedK_contigINS1_10OpaqueTypeILj8EEEjLi4ELi64ELi64ELi8EEEvPT_NS1_25CatArrInputTensorMetadataIS5_T0_XT2_EXT3_EEENS1_16TensorSizeStrideIS8_Lj4EEEiS8_: ; @_ZN2at6native12_GLOBAL__N_135CatArrayBatchedCopy_alignedK_contigINS1_10OpaqueTypeILj8EEEjLi4ELi64ELi64ELi8EEEvPT_NS1_25CatArrInputTensorMetadataIS5_T0_XT2_EXT3_EEENS1_16TensorSizeStrideIS8_Lj4EEEiS8_
; %bb.0:
	s_mov_b32 s0, s7
	s_load_dword s7, s[4:5], 0xd7c
	s_mov_b32 s1, 0
	s_add_u32 s2, s4, 0xd70
	s_addc_u32 s3, s5, 0
	s_lshl_b64 s[16:17], s[0:1], 2
	s_waitcnt lgkmcnt(0)
	s_and_b32 s0, s7, 0xffff
	s_add_u32 s8, s4, s16
	s_addc_u32 s9, s5, s17
	v_mad_u64_u32 v[0:1], null, s6, s0, v[0:1]
	s_load_dword s18, s[8:9], 0x408
	s_add_u32 s6, s8, 8
	s_addc_u32 s7, s9, 0
	s_mov_b32 s8, exec_lo
	s_waitcnt lgkmcnt(0)
	v_cmpx_gt_u32_e64 s18, v0
	s_cbranch_execz .LBB177_6
; %bb.1:
	s_add_u32 s6, s6, s16
	s_addc_u32 s7, s7, s17
	s_sub_u32 s16, 0, s16
	s_subb_u32 s17, 0, s17
	s_add_u32 s16, s6, s16
	s_load_dwordx8 s[8:15], s[4:5], 0xd4c
	s_addc_u32 s17, s7, s17
	s_load_dword s19, s[16:17], 0x300
	s_waitcnt lgkmcnt(0)
	s_cmp_eq_u32 s15, 3
	s_cselect_b32 s10, s19, s10
	s_cmp_eq_u32 s15, 2
	v_cvt_f32_u32_e32 v1, s10
	s_cselect_b32 s9, s19, s9
	s_cmp_eq_u32 s15, 1
	v_cvt_f32_u32_e32 v2, s9
	s_cselect_b32 s8, s19, s8
	v_rcp_iflag_f32_e32 v1, v1
	v_cvt_f32_u32_e32 v3, s8
	s_load_dword s19, s[2:3], 0x0
	v_rcp_iflag_f32_e32 v2, v2
	s_sub_i32 s15, 0, s10
	s_sub_i32 s2, 0, s9
	v_rcp_iflag_f32_e32 v3, v3
	s_sub_i32 s3, 0, s8
	v_mul_f32_e32 v1, 0x4f7ffffe, v1
	v_mul_f32_e32 v2, 0x4f7ffffe, v2
	v_cvt_u32_f32_e32 v1, v1
	v_mul_f32_e32 v3, 0x4f7ffffe, v3
	v_cvt_u32_f32_e32 v4, v2
	v_mul_lo_u32 v2, s15, v1
	v_cvt_u32_f32_e32 v3, v3
	v_mul_lo_u32 v5, s2, v4
	v_mul_lo_u32 v6, s3, v3
	s_clause 0x3
	s_load_dword s16, s[16:17], 0x200
	s_load_dword s17, s[4:5], 0xd6c
	s_load_dwordx2 s[6:7], s[6:7], 0x0
	s_load_dwordx2 s[2:3], s[4:5], 0x0
	v_mul_hi_u32 v7, v1, v2
	v_mov_b32_e32 v2, 0
	s_waitcnt lgkmcnt(0)
	s_mul_i32 s5, s19, s0
	v_mul_hi_u32 v5, v4, v5
	v_mul_hi_u32 v6, v3, v6
	v_add_nc_u32_e32 v7, v1, v7
	v_add_nc_u32_e32 v8, v4, v5
	;; [unrolled: 1-line block ×4, first 2 shown]
	s_mul_i32 s4, s16, s17
.LBB177_2:                              ; =>This Inner Loop Header: Depth=1
	v_add_nc_u32_e32 v1, -1, v3
	v_mul_hi_u32 v6, v7, v0
	v_add_nc_u32_e32 v3, s5, v3
	v_lshlrev_b64 v[4:5], 3, v[1:2]
	v_mul_hi_u32 v12, v1, v7
	v_mul_lo_u32 v13, s10, v6
	v_not_b32_e32 v6, v6
	v_add_co_u32 v4, vcc_lo, s6, v4
	v_add_co_ci_u32_e64 v5, null, s7, v5, vcc_lo
	v_mad_u64_u32 v[10:11], null, s10, v6, v[0:1]
	v_sub_nc_u32_e32 v11, v0, v13
	global_load_dwordx2 v[4:5], v[4:5], off
	v_add_nc_u32_e32 v6, 1, v12
	v_add_nc_u32_e32 v0, s5, v0
	v_cmp_le_u32_e32 vcc_lo, s10, v11
	v_cndmask_b32_e32 v6, v12, v6, vcc_lo
	v_cndmask_b32_e32 v10, v11, v10, vcc_lo
	v_add_nc_u32_e32 v11, 1, v6
	v_cmp_le_u32_e32 vcc_lo, s10, v10
	v_cndmask_b32_e32 v6, v6, v11, vcc_lo
	v_mul_hi_u32 v10, v6, v8
	v_mul_lo_u32 v11, v10, s9
	v_add_nc_u32_e32 v12, 1, v10
	v_sub_nc_u32_e32 v11, v6, v11
	v_subrev_nc_u32_e32 v13, s9, v11
	v_cmp_le_u32_e32 vcc_lo, s9, v11
	v_cndmask_b32_e32 v10, v10, v12, vcc_lo
	v_cndmask_b32_e32 v11, v11, v13, vcc_lo
	v_add_nc_u32_e32 v12, 1, v10
	v_cmp_le_u32_e32 vcc_lo, s9, v11
	v_cndmask_b32_e32 v12, v10, v12, vcc_lo
	v_mul_hi_u32 v10, v12, v9
	v_mul_lo_u32 v13, v12, s9
	v_mul_lo_u32 v11, v10, s8
	v_add_nc_u32_e32 v14, 1, v10
	v_sub_nc_u32_e32 v11, v12, v11
	v_subrev_nc_u32_e32 v15, s8, v11
	v_cmp_le_u32_e32 vcc_lo, s8, v11
	v_cndmask_b32_e32 v10, v10, v14, vcc_lo
	v_cndmask_b32_e32 v11, v11, v15, vcc_lo
	v_add_nc_u32_e32 v14, 1, v10
	v_cmp_le_u32_e32 vcc_lo, s8, v11
	v_cndmask_b32_e32 v14, v10, v14, vcc_lo
	v_mad_u64_u32 v[10:11], null, s15, v6, v[1:2]
	v_sub_nc_u32_e32 v6, v6, v13
	v_cmp_lt_u32_e32 vcc_lo, s18, v3
	v_mul_lo_u32 v11, v14, s11
	v_mul_lo_u32 v6, v6, s13
	;; [unrolled: 1-line block ×4, first 2 shown]
	s_or_b32 s1, vcc_lo, s1
	v_add3_u32 v1, v11, v1, v6
	v_sub_nc_u32_e32 v10, v12, v10
	v_mul_lo_u32 v10, v10, s12
	v_add3_u32 v1, v1, v10, s4
	v_lshlrev_b64 v[10:11], 3, v[1:2]
	v_add_co_u32 v10, s0, s2, v10
	v_add_co_ci_u32_e64 v11, null, s3, v11, s0
	s_waitcnt vmcnt(0)
	global_store_dwordx2 v[10:11], v[4:5], off
	s_andn2_b32 exec_lo, exec_lo, s1
	s_cbranch_execnz .LBB177_2
; %bb.3:
	s_or_b32 exec_lo, exec_lo, s1
	v_add_nc_u32_e32 v0, -1, v3
	v_cmp_gt_u32_e32 vcc_lo, s18, v0
	s_and_b32 exec_lo, exec_lo, vcc_lo
	s_cbranch_execz .LBB177_6
; %bb.4:
	v_mov_b32_e32 v2, 0
	v_mad_u64_u32 v[3:4], null, v7, v0, 0
	s_mov_b32 s5, 0
	v_mov_b32_e32 v1, v2
	v_lshlrev_b64 v[5:6], 3, v[0:1]
	v_add_co_u32 v5, vcc_lo, s6, v5
	v_add_co_ci_u32_e64 v6, null, s7, v6, vcc_lo
.LBB177_5:                              ; =>This Inner Loop Header: Depth=1
	global_load_dwordx2 v[10:11], v[5:6], off
	v_mul_lo_u32 v1, s10, v4
	v_not_b32_e32 v12, v4
	v_add_nc_u32_e32 v14, 1, v4
	v_mad_u64_u32 v[12:13], null, s10, v12, v[0:1]
	v_sub_nc_u32_e32 v1, v0, v1
	v_cmp_le_u32_e32 vcc_lo, s10, v1
	v_cndmask_b32_e32 v13, v4, v14, vcc_lo
	v_cndmask_b32_e32 v1, v1, v12, vcc_lo
	v_add_nc_u32_e32 v12, 1, v13
	v_cmp_le_u32_e32 vcc_lo, s10, v1
	v_cndmask_b32_e32 v1, v13, v12, vcc_lo
	v_mul_hi_u32 v12, v1, v8
	v_mul_lo_u32 v13, v12, s9
	v_add_nc_u32_e32 v14, 1, v12
	v_sub_nc_u32_e32 v13, v1, v13
	v_subrev_nc_u32_e32 v15, s9, v13
	v_cmp_le_u32_e32 vcc_lo, s9, v13
	v_cndmask_b32_e32 v12, v12, v14, vcc_lo
	v_cndmask_b32_e32 v13, v13, v15, vcc_lo
	v_add_nc_u32_e32 v14, 1, v12
	v_cmp_le_u32_e32 vcc_lo, s9, v13
	v_cndmask_b32_e32 v14, v12, v14, vcc_lo
	v_mad_u64_u32 v[12:13], null, s15, v1, v[0:1]
	v_add_nc_u32_e32 v0, 1, v0
	v_add_co_u32 v3, vcc_lo, v3, v7
	v_mul_hi_u32 v15, v14, v9
	v_add_co_ci_u32_e64 v4, null, 0, v4, vcc_lo
	v_mul_lo_u32 v12, v12, s14
	v_mul_lo_u32 v16, v15, s8
	v_add_nc_u32_e32 v13, 1, v15
	v_sub_nc_u32_e32 v16, v14, v16
	v_subrev_nc_u32_e32 v17, s8, v16
	v_cmp_le_u32_e64 s0, s8, v16
	v_cndmask_b32_e64 v13, v15, v13, s0
	v_cndmask_b32_e64 v15, v16, v17, s0
	v_add_nc_u32_e32 v16, 1, v13
	v_cmp_le_u32_e64 s0, s8, v15
	v_mul_lo_u32 v15, v14, s9
	v_cndmask_b32_e64 v13, v13, v16, s0
	v_add_co_u32 v5, s0, v5, 8
	v_add_co_ci_u32_e64 v6, null, 0, v6, s0
	v_mul_lo_u32 v16, v13, s8
	v_sub_nc_u32_e32 v1, v1, v15
	v_mul_lo_u32 v13, v13, s11
	v_cmp_le_u32_e64 s0, s18, v0
	v_mul_lo_u32 v1, v1, s13
	v_sub_nc_u32_e32 v14, v14, v16
	s_or_b32 s5, s0, s5
	v_add3_u32 v12, v12, s4, v13
	v_mul_lo_u32 v14, v14, s12
	v_add3_u32 v1, v12, v1, v14
	v_lshlrev_b64 v[12:13], 3, v[1:2]
	v_add_co_u32 v12, s1, s2, v12
	v_add_co_ci_u32_e64 v13, null, s3, v13, s1
	s_waitcnt vmcnt(0)
	global_store_dwordx2 v[12:13], v[10:11], off
	s_andn2_b32 exec_lo, exec_lo, s5
	s_cbranch_execnz .LBB177_5
.LBB177_6:
	s_endpgm
	.section	.rodata,"a",@progbits
	.p2align	6, 0x0
	.amdhsa_kernel _ZN2at6native12_GLOBAL__N_135CatArrayBatchedCopy_alignedK_contigINS1_10OpaqueTypeILj8EEEjLi4ELi64ELi64ELi8EEEvPT_NS1_25CatArrInputTensorMetadataIS5_T0_XT2_EXT3_EEENS1_16TensorSizeStrideIS8_Lj4EEEiS8_
		.amdhsa_group_segment_fixed_size 0
		.amdhsa_private_segment_fixed_size 0
		.amdhsa_kernarg_size 3696
		.amdhsa_user_sgpr_count 6
		.amdhsa_user_sgpr_private_segment_buffer 1
		.amdhsa_user_sgpr_dispatch_ptr 0
		.amdhsa_user_sgpr_queue_ptr 0
		.amdhsa_user_sgpr_kernarg_segment_ptr 1
		.amdhsa_user_sgpr_dispatch_id 0
		.amdhsa_user_sgpr_flat_scratch_init 0
		.amdhsa_user_sgpr_private_segment_size 0
		.amdhsa_wavefront_size32 1
		.amdhsa_uses_dynamic_stack 0
		.amdhsa_system_sgpr_private_segment_wavefront_offset 0
		.amdhsa_system_sgpr_workgroup_id_x 1
		.amdhsa_system_sgpr_workgroup_id_y 1
		.amdhsa_system_sgpr_workgroup_id_z 0
		.amdhsa_system_sgpr_workgroup_info 0
		.amdhsa_system_vgpr_workitem_id 0
		.amdhsa_next_free_vgpr 18
		.amdhsa_next_free_sgpr 20
		.amdhsa_reserve_vcc 1
		.amdhsa_reserve_flat_scratch 0
		.amdhsa_float_round_mode_32 0
		.amdhsa_float_round_mode_16_64 0
		.amdhsa_float_denorm_mode_32 3
		.amdhsa_float_denorm_mode_16_64 3
		.amdhsa_dx10_clamp 1
		.amdhsa_ieee_mode 1
		.amdhsa_fp16_overflow 0
		.amdhsa_workgroup_processor_mode 1
		.amdhsa_memory_ordered 1
		.amdhsa_forward_progress 1
		.amdhsa_shared_vgpr_count 0
		.amdhsa_exception_fp_ieee_invalid_op 0
		.amdhsa_exception_fp_denorm_src 0
		.amdhsa_exception_fp_ieee_div_zero 0
		.amdhsa_exception_fp_ieee_overflow 0
		.amdhsa_exception_fp_ieee_underflow 0
		.amdhsa_exception_fp_ieee_inexact 0
		.amdhsa_exception_int_div_zero 0
	.end_amdhsa_kernel
	.section	.text._ZN2at6native12_GLOBAL__N_135CatArrayBatchedCopy_alignedK_contigINS1_10OpaqueTypeILj8EEEjLi4ELi64ELi64ELi8EEEvPT_NS1_25CatArrInputTensorMetadataIS5_T0_XT2_EXT3_EEENS1_16TensorSizeStrideIS8_Lj4EEEiS8_,"axG",@progbits,_ZN2at6native12_GLOBAL__N_135CatArrayBatchedCopy_alignedK_contigINS1_10OpaqueTypeILj8EEEjLi4ELi64ELi64ELi8EEEvPT_NS1_25CatArrInputTensorMetadataIS5_T0_XT2_EXT3_EEENS1_16TensorSizeStrideIS8_Lj4EEEiS8_,comdat
.Lfunc_end177:
	.size	_ZN2at6native12_GLOBAL__N_135CatArrayBatchedCopy_alignedK_contigINS1_10OpaqueTypeILj8EEEjLi4ELi64ELi64ELi8EEEvPT_NS1_25CatArrInputTensorMetadataIS5_T0_XT2_EXT3_EEENS1_16TensorSizeStrideIS8_Lj4EEEiS8_, .Lfunc_end177-_ZN2at6native12_GLOBAL__N_135CatArrayBatchedCopy_alignedK_contigINS1_10OpaqueTypeILj8EEEjLi4ELi64ELi64ELi8EEEvPT_NS1_25CatArrInputTensorMetadataIS5_T0_XT2_EXT3_EEENS1_16TensorSizeStrideIS8_Lj4EEEiS8_
                                        ; -- End function
	.set _ZN2at6native12_GLOBAL__N_135CatArrayBatchedCopy_alignedK_contigINS1_10OpaqueTypeILj8EEEjLi4ELi64ELi64ELi8EEEvPT_NS1_25CatArrInputTensorMetadataIS5_T0_XT2_EXT3_EEENS1_16TensorSizeStrideIS8_Lj4EEEiS8_.num_vgpr, 18
	.set _ZN2at6native12_GLOBAL__N_135CatArrayBatchedCopy_alignedK_contigINS1_10OpaqueTypeILj8EEEjLi4ELi64ELi64ELi8EEEvPT_NS1_25CatArrInputTensorMetadataIS5_T0_XT2_EXT3_EEENS1_16TensorSizeStrideIS8_Lj4EEEiS8_.num_agpr, 0
	.set _ZN2at6native12_GLOBAL__N_135CatArrayBatchedCopy_alignedK_contigINS1_10OpaqueTypeILj8EEEjLi4ELi64ELi64ELi8EEEvPT_NS1_25CatArrInputTensorMetadataIS5_T0_XT2_EXT3_EEENS1_16TensorSizeStrideIS8_Lj4EEEiS8_.numbered_sgpr, 20
	.set _ZN2at6native12_GLOBAL__N_135CatArrayBatchedCopy_alignedK_contigINS1_10OpaqueTypeILj8EEEjLi4ELi64ELi64ELi8EEEvPT_NS1_25CatArrInputTensorMetadataIS5_T0_XT2_EXT3_EEENS1_16TensorSizeStrideIS8_Lj4EEEiS8_.num_named_barrier, 0
	.set _ZN2at6native12_GLOBAL__N_135CatArrayBatchedCopy_alignedK_contigINS1_10OpaqueTypeILj8EEEjLi4ELi64ELi64ELi8EEEvPT_NS1_25CatArrInputTensorMetadataIS5_T0_XT2_EXT3_EEENS1_16TensorSizeStrideIS8_Lj4EEEiS8_.private_seg_size, 0
	.set _ZN2at6native12_GLOBAL__N_135CatArrayBatchedCopy_alignedK_contigINS1_10OpaqueTypeILj8EEEjLi4ELi64ELi64ELi8EEEvPT_NS1_25CatArrInputTensorMetadataIS5_T0_XT2_EXT3_EEENS1_16TensorSizeStrideIS8_Lj4EEEiS8_.uses_vcc, 1
	.set _ZN2at6native12_GLOBAL__N_135CatArrayBatchedCopy_alignedK_contigINS1_10OpaqueTypeILj8EEEjLi4ELi64ELi64ELi8EEEvPT_NS1_25CatArrInputTensorMetadataIS5_T0_XT2_EXT3_EEENS1_16TensorSizeStrideIS8_Lj4EEEiS8_.uses_flat_scratch, 0
	.set _ZN2at6native12_GLOBAL__N_135CatArrayBatchedCopy_alignedK_contigINS1_10OpaqueTypeILj8EEEjLi4ELi64ELi64ELi8EEEvPT_NS1_25CatArrInputTensorMetadataIS5_T0_XT2_EXT3_EEENS1_16TensorSizeStrideIS8_Lj4EEEiS8_.has_dyn_sized_stack, 0
	.set _ZN2at6native12_GLOBAL__N_135CatArrayBatchedCopy_alignedK_contigINS1_10OpaqueTypeILj8EEEjLi4ELi64ELi64ELi8EEEvPT_NS1_25CatArrInputTensorMetadataIS5_T0_XT2_EXT3_EEENS1_16TensorSizeStrideIS8_Lj4EEEiS8_.has_recursion, 0
	.set _ZN2at6native12_GLOBAL__N_135CatArrayBatchedCopy_alignedK_contigINS1_10OpaqueTypeILj8EEEjLi4ELi64ELi64ELi8EEEvPT_NS1_25CatArrInputTensorMetadataIS5_T0_XT2_EXT3_EEENS1_16TensorSizeStrideIS8_Lj4EEEiS8_.has_indirect_call, 0
	.section	.AMDGPU.csdata,"",@progbits
; Kernel info:
; codeLenInByte = 1132
; TotalNumSgprs: 22
; NumVgprs: 18
; ScratchSize: 0
; MemoryBound: 0
; FloatMode: 240
; IeeeMode: 1
; LDSByteSize: 0 bytes/workgroup (compile time only)
; SGPRBlocks: 0
; VGPRBlocks: 2
; NumSGPRsForWavesPerEU: 22
; NumVGPRsForWavesPerEU: 18
; Occupancy: 16
; WaveLimiterHint : 1
; COMPUTE_PGM_RSRC2:SCRATCH_EN: 0
; COMPUTE_PGM_RSRC2:USER_SGPR: 6
; COMPUTE_PGM_RSRC2:TRAP_HANDLER: 0
; COMPUTE_PGM_RSRC2:TGID_X_EN: 1
; COMPUTE_PGM_RSRC2:TGID_Y_EN: 1
; COMPUTE_PGM_RSRC2:TGID_Z_EN: 0
; COMPUTE_PGM_RSRC2:TIDIG_COMP_CNT: 0
	.section	.text._ZN2at6native12_GLOBAL__N_126CatArrayBatchedCopy_contigINS1_10OpaqueTypeILj8EEEjLi4ELi64ELi64EEEvPT_NS1_25CatArrInputTensorMetadataIS5_T0_XT2_EXT3_EEENS1_16TensorSizeStrideIS8_Lj4EEEiS8_,"axG",@progbits,_ZN2at6native12_GLOBAL__N_126CatArrayBatchedCopy_contigINS1_10OpaqueTypeILj8EEEjLi4ELi64ELi64EEEvPT_NS1_25CatArrInputTensorMetadataIS5_T0_XT2_EXT3_EEENS1_16TensorSizeStrideIS8_Lj4EEEiS8_,comdat
	.globl	_ZN2at6native12_GLOBAL__N_126CatArrayBatchedCopy_contigINS1_10OpaqueTypeILj8EEEjLi4ELi64ELi64EEEvPT_NS1_25CatArrInputTensorMetadataIS5_T0_XT2_EXT3_EEENS1_16TensorSizeStrideIS8_Lj4EEEiS8_ ; -- Begin function _ZN2at6native12_GLOBAL__N_126CatArrayBatchedCopy_contigINS1_10OpaqueTypeILj8EEEjLi4ELi64ELi64EEEvPT_NS1_25CatArrInputTensorMetadataIS5_T0_XT2_EXT3_EEENS1_16TensorSizeStrideIS8_Lj4EEEiS8_
	.p2align	8
	.type	_ZN2at6native12_GLOBAL__N_126CatArrayBatchedCopy_contigINS1_10OpaqueTypeILj8EEEjLi4ELi64ELi64EEEvPT_NS1_25CatArrInputTensorMetadataIS5_T0_XT2_EXT3_EEENS1_16TensorSizeStrideIS8_Lj4EEEiS8_,@function
_ZN2at6native12_GLOBAL__N_126CatArrayBatchedCopy_contigINS1_10OpaqueTypeILj8EEEjLi4ELi64ELi64EEEvPT_NS1_25CatArrInputTensorMetadataIS5_T0_XT2_EXT3_EEENS1_16TensorSizeStrideIS8_Lj4EEEiS8_: ; @_ZN2at6native12_GLOBAL__N_126CatArrayBatchedCopy_contigINS1_10OpaqueTypeILj8EEEjLi4ELi64ELi64EEEvPT_NS1_25CatArrInputTensorMetadataIS5_T0_XT2_EXT3_EEENS1_16TensorSizeStrideIS8_Lj4EEEiS8_
; %bb.0:
	s_mov_b32 s0, s7
	s_load_dword s7, s[4:5], 0xd7c
	s_mov_b32 s1, 0
	s_add_u32 s8, s4, 0xd70
	s_addc_u32 s9, s5, 0
	s_lshl_b64 s[2:3], s[0:1], 2
	s_mov_b32 s11, exec_lo
	s_waitcnt lgkmcnt(0)
	s_and_b32 s0, s7, 0xffff
	s_add_u32 s12, s4, s2
	s_addc_u32 s13, s5, s3
	v_mad_u64_u32 v[0:1], null, s6, s0, v[0:1]
	s_load_dword s10, s[12:13], 0x408
	s_add_u32 s6, s12, 8
	s_addc_u32 s7, s13, 0
	s_waitcnt lgkmcnt(0)
	v_cmpx_gt_u32_e64 s10, v0
	s_cbranch_execz .LBB178_3
; %bb.1:
	s_add_u32 s20, s6, s2
	s_addc_u32 s21, s7, s3
	s_sub_u32 s2, 0, s2
	s_subb_u32 s3, 0, s3
	s_load_dwordx2 s[14:15], s[4:5], 0xd68
	s_add_u32 s22, s20, s2
	s_addc_u32 s23, s21, s3
	s_clause 0x1
	s_load_dwordx4 s[16:19], s[4:5], 0xd4c
	s_load_dword s2, s[22:23], 0x300
	s_waitcnt lgkmcnt(0)
	s_cmp_eq_u32 s14, 3
	s_cselect_b32 s11, s2, s18
	s_cmp_eq_u32 s14, 2
	v_cvt_f32_u32_e32 v1, s11
	s_cselect_b32 s12, s2, s17
	s_cmp_eq_u32 s14, 1
	v_cvt_f32_u32_e32 v2, s12
	s_cselect_b32 s13, s2, s16
	v_rcp_iflag_f32_e32 v1, v1
	v_cvt_f32_u32_e32 v3, s13
	s_load_dwordx2 s[2:3], s[4:5], 0x0
	v_rcp_iflag_f32_e32 v2, v2
	s_clause 0x1
	s_load_dwordx4 s[4:7], s[4:5], 0xd58
	s_load_dword s16, s[22:23], 0x200
	s_load_dword s17, s[8:9], 0x0
	v_rcp_iflag_f32_e32 v3, v3
	s_sub_i32 s14, 0, s11
	s_sub_i32 s8, 0, s12
	;; [unrolled: 1-line block ×3, first 2 shown]
	v_mul_f32_e32 v1, 0x4f7ffffe, v1
	v_mul_f32_e32 v2, 0x4f7ffffe, v2
	v_cvt_u32_f32_e32 v1, v1
	v_mul_f32_e32 v3, 0x4f7ffffe, v3
	v_cvt_u32_f32_e32 v4, v2
	v_mul_lo_u32 v2, s14, v1
	v_cvt_u32_f32_e32 v5, v3
	v_mul_lo_u32 v3, s8, v4
	s_waitcnt lgkmcnt(0)
	s_mul_i32 s15, s16, s15
	s_mul_i32 s16, s17, s0
	v_mul_lo_u32 v6, s9, v5
	s_load_dwordx2 s[8:9], s[20:21], 0x0
	v_mul_hi_u32 v2, v1, v2
	v_mul_hi_u32 v3, v4, v3
	;; [unrolled: 1-line block ×3, first 2 shown]
	v_add_nc_u32_e32 v2, v1, v2
	v_mov_b32_e32 v1, 0
	v_add_nc_u32_e32 v3, v4, v3
	v_add_nc_u32_e32 v4, v5, v6
.LBB178_2:                              ; =>This Inner Loop Header: Depth=1
	v_lshlrev_b64 v[5:6], 3, v[0:1]
	v_mul_hi_u32 v9, v2, v0
	s_waitcnt lgkmcnt(0)
	v_add_co_u32 v5, vcc_lo, s8, v5
	v_add_co_ci_u32_e64 v6, null, s9, v6, vcc_lo
	v_mul_lo_u32 v10, s11, v9
	v_not_b32_e32 v7, v9
	v_add_nc_u32_e32 v11, 1, v9
	global_load_dwordx2 v[5:6], v[5:6], off
	v_mad_u64_u32 v[7:8], null, s11, v7, v[0:1]
	v_sub_nc_u32_e32 v8, v0, v10
	v_cmp_le_u32_e32 vcc_lo, s11, v8
	v_cndmask_b32_e32 v9, v9, v11, vcc_lo
	v_cndmask_b32_e32 v7, v8, v7, vcc_lo
	v_add_nc_u32_e32 v8, 1, v9
	v_cmp_le_u32_e32 vcc_lo, s11, v7
	v_cndmask_b32_e32 v9, v9, v8, vcc_lo
	v_mul_hi_u32 v7, v9, v3
	v_mul_lo_u32 v8, v7, s12
	v_add_nc_u32_e32 v10, 1, v7
	v_sub_nc_u32_e32 v8, v9, v8
	v_subrev_nc_u32_e32 v11, s12, v8
	v_cmp_le_u32_e32 vcc_lo, s12, v8
	v_cndmask_b32_e32 v7, v7, v10, vcc_lo
	v_cndmask_b32_e32 v8, v8, v11, vcc_lo
	v_add_nc_u32_e32 v10, 1, v7
	v_cmp_le_u32_e32 vcc_lo, s12, v8
	v_cndmask_b32_e32 v10, v7, v10, vcc_lo
	v_mul_hi_u32 v7, v10, v4
	v_mul_lo_u32 v8, v7, s13
	v_add_nc_u32_e32 v11, 1, v7
	v_sub_nc_u32_e32 v8, v10, v8
	v_subrev_nc_u32_e32 v12, s13, v8
	v_cmp_le_u32_e32 vcc_lo, s13, v8
	v_cndmask_b32_e32 v11, v7, v11, vcc_lo
	v_cndmask_b32_e32 v12, v8, v12, vcc_lo
	v_mad_u64_u32 v[7:8], null, s14, v9, v[0:1]
	v_add_nc_u32_e32 v0, s16, v0
	v_add_nc_u32_e32 v13, 1, v11
	v_cmp_le_u32_e32 vcc_lo, s13, v12
	v_mul_lo_u32 v7, v7, s7
	v_cndmask_b32_e32 v8, v11, v13, vcc_lo
	v_mul_lo_u32 v11, v10, s12
	v_cmp_le_u32_e32 vcc_lo, s10, v0
	v_mul_lo_u32 v12, v8, s13
	v_mul_lo_u32 v8, v8, s4
	s_or_b32 s1, vcc_lo, s1
	v_sub_nc_u32_e32 v9, v9, v11
	v_sub_nc_u32_e32 v10, v10, v12
	v_mul_lo_u32 v9, v9, s6
	v_add3_u32 v7, v7, s15, v8
	v_mov_b32_e32 v8, v1
	v_mul_lo_u32 v10, v10, s5
	v_add3_u32 v7, v7, v9, v10
	v_lshlrev_b64 v[7:8], 3, v[7:8]
	v_add_co_u32 v7, s0, s2, v7
	v_add_co_ci_u32_e64 v8, null, s3, v8, s0
	s_waitcnt vmcnt(0)
	global_store_dwordx2 v[7:8], v[5:6], off
	s_andn2_b32 exec_lo, exec_lo, s1
	s_cbranch_execnz .LBB178_2
.LBB178_3:
	s_endpgm
	.section	.rodata,"a",@progbits
	.p2align	6, 0x0
	.amdhsa_kernel _ZN2at6native12_GLOBAL__N_126CatArrayBatchedCopy_contigINS1_10OpaqueTypeILj8EEEjLi4ELi64ELi64EEEvPT_NS1_25CatArrInputTensorMetadataIS5_T0_XT2_EXT3_EEENS1_16TensorSizeStrideIS8_Lj4EEEiS8_
		.amdhsa_group_segment_fixed_size 0
		.amdhsa_private_segment_fixed_size 0
		.amdhsa_kernarg_size 3696
		.amdhsa_user_sgpr_count 6
		.amdhsa_user_sgpr_private_segment_buffer 1
		.amdhsa_user_sgpr_dispatch_ptr 0
		.amdhsa_user_sgpr_queue_ptr 0
		.amdhsa_user_sgpr_kernarg_segment_ptr 1
		.amdhsa_user_sgpr_dispatch_id 0
		.amdhsa_user_sgpr_flat_scratch_init 0
		.amdhsa_user_sgpr_private_segment_size 0
		.amdhsa_wavefront_size32 1
		.amdhsa_uses_dynamic_stack 0
		.amdhsa_system_sgpr_private_segment_wavefront_offset 0
		.amdhsa_system_sgpr_workgroup_id_x 1
		.amdhsa_system_sgpr_workgroup_id_y 1
		.amdhsa_system_sgpr_workgroup_id_z 0
		.amdhsa_system_sgpr_workgroup_info 0
		.amdhsa_system_vgpr_workitem_id 0
		.amdhsa_next_free_vgpr 14
		.amdhsa_next_free_sgpr 24
		.amdhsa_reserve_vcc 1
		.amdhsa_reserve_flat_scratch 0
		.amdhsa_float_round_mode_32 0
		.amdhsa_float_round_mode_16_64 0
		.amdhsa_float_denorm_mode_32 3
		.amdhsa_float_denorm_mode_16_64 3
		.amdhsa_dx10_clamp 1
		.amdhsa_ieee_mode 1
		.amdhsa_fp16_overflow 0
		.amdhsa_workgroup_processor_mode 1
		.amdhsa_memory_ordered 1
		.amdhsa_forward_progress 1
		.amdhsa_shared_vgpr_count 0
		.amdhsa_exception_fp_ieee_invalid_op 0
		.amdhsa_exception_fp_denorm_src 0
		.amdhsa_exception_fp_ieee_div_zero 0
		.amdhsa_exception_fp_ieee_overflow 0
		.amdhsa_exception_fp_ieee_underflow 0
		.amdhsa_exception_fp_ieee_inexact 0
		.amdhsa_exception_int_div_zero 0
	.end_amdhsa_kernel
	.section	.text._ZN2at6native12_GLOBAL__N_126CatArrayBatchedCopy_contigINS1_10OpaqueTypeILj8EEEjLi4ELi64ELi64EEEvPT_NS1_25CatArrInputTensorMetadataIS5_T0_XT2_EXT3_EEENS1_16TensorSizeStrideIS8_Lj4EEEiS8_,"axG",@progbits,_ZN2at6native12_GLOBAL__N_126CatArrayBatchedCopy_contigINS1_10OpaqueTypeILj8EEEjLi4ELi64ELi64EEEvPT_NS1_25CatArrInputTensorMetadataIS5_T0_XT2_EXT3_EEENS1_16TensorSizeStrideIS8_Lj4EEEiS8_,comdat
.Lfunc_end178:
	.size	_ZN2at6native12_GLOBAL__N_126CatArrayBatchedCopy_contigINS1_10OpaqueTypeILj8EEEjLi4ELi64ELi64EEEvPT_NS1_25CatArrInputTensorMetadataIS5_T0_XT2_EXT3_EEENS1_16TensorSizeStrideIS8_Lj4EEEiS8_, .Lfunc_end178-_ZN2at6native12_GLOBAL__N_126CatArrayBatchedCopy_contigINS1_10OpaqueTypeILj8EEEjLi4ELi64ELi64EEEvPT_NS1_25CatArrInputTensorMetadataIS5_T0_XT2_EXT3_EEENS1_16TensorSizeStrideIS8_Lj4EEEiS8_
                                        ; -- End function
	.set _ZN2at6native12_GLOBAL__N_126CatArrayBatchedCopy_contigINS1_10OpaqueTypeILj8EEEjLi4ELi64ELi64EEEvPT_NS1_25CatArrInputTensorMetadataIS5_T0_XT2_EXT3_EEENS1_16TensorSizeStrideIS8_Lj4EEEiS8_.num_vgpr, 14
	.set _ZN2at6native12_GLOBAL__N_126CatArrayBatchedCopy_contigINS1_10OpaqueTypeILj8EEEjLi4ELi64ELi64EEEvPT_NS1_25CatArrInputTensorMetadataIS5_T0_XT2_EXT3_EEENS1_16TensorSizeStrideIS8_Lj4EEEiS8_.num_agpr, 0
	.set _ZN2at6native12_GLOBAL__N_126CatArrayBatchedCopy_contigINS1_10OpaqueTypeILj8EEEjLi4ELi64ELi64EEEvPT_NS1_25CatArrInputTensorMetadataIS5_T0_XT2_EXT3_EEENS1_16TensorSizeStrideIS8_Lj4EEEiS8_.numbered_sgpr, 24
	.set _ZN2at6native12_GLOBAL__N_126CatArrayBatchedCopy_contigINS1_10OpaqueTypeILj8EEEjLi4ELi64ELi64EEEvPT_NS1_25CatArrInputTensorMetadataIS5_T0_XT2_EXT3_EEENS1_16TensorSizeStrideIS8_Lj4EEEiS8_.num_named_barrier, 0
	.set _ZN2at6native12_GLOBAL__N_126CatArrayBatchedCopy_contigINS1_10OpaqueTypeILj8EEEjLi4ELi64ELi64EEEvPT_NS1_25CatArrInputTensorMetadataIS5_T0_XT2_EXT3_EEENS1_16TensorSizeStrideIS8_Lj4EEEiS8_.private_seg_size, 0
	.set _ZN2at6native12_GLOBAL__N_126CatArrayBatchedCopy_contigINS1_10OpaqueTypeILj8EEEjLi4ELi64ELi64EEEvPT_NS1_25CatArrInputTensorMetadataIS5_T0_XT2_EXT3_EEENS1_16TensorSizeStrideIS8_Lj4EEEiS8_.uses_vcc, 1
	.set _ZN2at6native12_GLOBAL__N_126CatArrayBatchedCopy_contigINS1_10OpaqueTypeILj8EEEjLi4ELi64ELi64EEEvPT_NS1_25CatArrInputTensorMetadataIS5_T0_XT2_EXT3_EEENS1_16TensorSizeStrideIS8_Lj4EEEiS8_.uses_flat_scratch, 0
	.set _ZN2at6native12_GLOBAL__N_126CatArrayBatchedCopy_contigINS1_10OpaqueTypeILj8EEEjLi4ELi64ELi64EEEvPT_NS1_25CatArrInputTensorMetadataIS5_T0_XT2_EXT3_EEENS1_16TensorSizeStrideIS8_Lj4EEEiS8_.has_dyn_sized_stack, 0
	.set _ZN2at6native12_GLOBAL__N_126CatArrayBatchedCopy_contigINS1_10OpaqueTypeILj8EEEjLi4ELi64ELi64EEEvPT_NS1_25CatArrInputTensorMetadataIS5_T0_XT2_EXT3_EEENS1_16TensorSizeStrideIS8_Lj4EEEiS8_.has_recursion, 0
	.set _ZN2at6native12_GLOBAL__N_126CatArrayBatchedCopy_contigINS1_10OpaqueTypeILj8EEEjLi4ELi64ELi64EEEvPT_NS1_25CatArrInputTensorMetadataIS5_T0_XT2_EXT3_EEENS1_16TensorSizeStrideIS8_Lj4EEEiS8_.has_indirect_call, 0
	.section	.AMDGPU.csdata,"",@progbits
; Kernel info:
; codeLenInByte = 712
; TotalNumSgprs: 26
; NumVgprs: 14
; ScratchSize: 0
; MemoryBound: 0
; FloatMode: 240
; IeeeMode: 1
; LDSByteSize: 0 bytes/workgroup (compile time only)
; SGPRBlocks: 0
; VGPRBlocks: 1
; NumSGPRsForWavesPerEU: 26
; NumVGPRsForWavesPerEU: 14
; Occupancy: 16
; WaveLimiterHint : 1
; COMPUTE_PGM_RSRC2:SCRATCH_EN: 0
; COMPUTE_PGM_RSRC2:USER_SGPR: 6
; COMPUTE_PGM_RSRC2:TRAP_HANDLER: 0
; COMPUTE_PGM_RSRC2:TGID_X_EN: 1
; COMPUTE_PGM_RSRC2:TGID_Y_EN: 1
; COMPUTE_PGM_RSRC2:TGID_Z_EN: 0
; COMPUTE_PGM_RSRC2:TIDIG_COMP_CNT: 0
	.section	.text._ZN2at6native12_GLOBAL__N_119CatArrayBatchedCopyINS1_10OpaqueTypeILj8EEEjLi4ELi64ELi64EEEvPT_NS1_25CatArrInputTensorMetadataIS5_T0_XT2_EXT3_EEENS1_16TensorSizeStrideIS8_Lj4EEEiS8_,"axG",@progbits,_ZN2at6native12_GLOBAL__N_119CatArrayBatchedCopyINS1_10OpaqueTypeILj8EEEjLi4ELi64ELi64EEEvPT_NS1_25CatArrInputTensorMetadataIS5_T0_XT2_EXT3_EEENS1_16TensorSizeStrideIS8_Lj4EEEiS8_,comdat
	.globl	_ZN2at6native12_GLOBAL__N_119CatArrayBatchedCopyINS1_10OpaqueTypeILj8EEEjLi4ELi64ELi64EEEvPT_NS1_25CatArrInputTensorMetadataIS5_T0_XT2_EXT3_EEENS1_16TensorSizeStrideIS8_Lj4EEEiS8_ ; -- Begin function _ZN2at6native12_GLOBAL__N_119CatArrayBatchedCopyINS1_10OpaqueTypeILj8EEEjLi4ELi64ELi64EEEvPT_NS1_25CatArrInputTensorMetadataIS5_T0_XT2_EXT3_EEENS1_16TensorSizeStrideIS8_Lj4EEEiS8_
	.p2align	8
	.type	_ZN2at6native12_GLOBAL__N_119CatArrayBatchedCopyINS1_10OpaqueTypeILj8EEEjLi4ELi64ELi64EEEvPT_NS1_25CatArrInputTensorMetadataIS5_T0_XT2_EXT3_EEENS1_16TensorSizeStrideIS8_Lj4EEEiS8_,@function
_ZN2at6native12_GLOBAL__N_119CatArrayBatchedCopyINS1_10OpaqueTypeILj8EEEjLi4ELi64ELi64EEEvPT_NS1_25CatArrInputTensorMetadataIS5_T0_XT2_EXT3_EEENS1_16TensorSizeStrideIS8_Lj4EEEiS8_: ; @_ZN2at6native12_GLOBAL__N_119CatArrayBatchedCopyINS1_10OpaqueTypeILj8EEEjLi4ELi64ELi64EEEvPT_NS1_25CatArrInputTensorMetadataIS5_T0_XT2_EXT3_EEENS1_16TensorSizeStrideIS8_Lj4EEEiS8_
; %bb.0:
	s_mov_b32 s0, s7
	s_load_dword s7, s[4:5], 0xd7c
	s_or_b32 s10, s4, 8
	s_mov_b32 s1, 0
	s_add_u32 s16, s4, 0xd70
	s_addc_u32 s17, s5, 0
	s_lshl_b64 s[2:3], s[0:1], 2
	s_waitcnt lgkmcnt(0)
	s_and_b32 s25, s7, 0xffff
	s_add_u32 s8, s10, s2
	s_addc_u32 s9, s5, s3
	v_mad_u64_u32 v[0:1], null, s6, s25, v[0:1]
	s_load_dword s18, s[8:9], 0x400
	s_mov_b32 s6, exec_lo
	s_waitcnt lgkmcnt(0)
	v_cmpx_gt_u32_e64 s18, v0
	s_cbranch_execz .LBB179_5
; %bb.1:
	s_mul_i32 s6, s0, 28
	s_mul_hi_u32 s7, s0, 28
	s_add_u32 s6, s8, s6
	v_mov_b32_e32 v1, 0
	s_addc_u32 s7, s9, s7
	s_add_u32 s8, s10, s0
	s_addc_u32 s9, s5, 0
	s_load_dwordx2 s[14:15], s[4:5], 0xd68
	global_load_ubyte v2, v1, s[8:9] offset:1280
	s_mul_hi_u32 s10, s0, 7
	s_mul_i32 s0, s0, 7
	s_waitcnt vmcnt(0)
	v_and_b32_e32 v2, 1, v2
	v_cmp_eq_u32_e32 vcc_lo, 1, v2
	s_xor_b32 s19, vcc_lo, -1
	s_add_u32 s12, s8, s0
	s_addc_u32 s13, s9, s10
	s_sub_u32 s0, 0, s2
	s_subb_u32 s2, 0, s3
	s_add_u32 s20, s12, s0
	s_addc_u32 s21, s13, s2
	s_clause 0x5
	s_load_dwordx4 s[28:31], s[4:5], 0xd4c
	s_load_dword s0, s[20:21], 0x300
	s_load_dword s24, s[6:7], 0x54c
	s_load_dwordx2 s[22:23], s[6:7], 0x544
	s_load_dwordx4 s[8:11], s[4:5], 0xd58
	s_load_dwordx2 s[2:3], s[4:5], 0x0
	s_waitcnt lgkmcnt(0)
	s_cmp_eq_u32 s14, 3
	s_load_dword s26, s[20:21], 0x200
	s_load_dword s27, s[16:17], 0x0
	s_cselect_b32 s20, s0, s30
	s_cselect_b32 s21, s0, s24
	s_cmp_eq_u32 s14, 2
	v_cvt_f32_u32_e32 v2, s20
	s_cselect_b32 s16, s0, s29
	s_cselect_b32 s17, s0, s23
	s_cmp_eq_u32 s14, 1
	v_cvt_f32_u32_e32 v3, s21
	s_cselect_b32 s14, s0, s28
	s_cselect_b32 s22, s0, s22
	v_cvt_f32_u32_e32 v4, s16
	v_cvt_f32_u32_e32 v5, s17
	;; [unrolled: 1-line block ×4, first 2 shown]
	v_rcp_iflag_f32_e32 v2, v2
	v_rcp_iflag_f32_e32 v3, v3
	;; [unrolled: 1-line block ×6, first 2 shown]
	s_sub_i32 s23, 0, s20
	s_sub_i32 s0, 0, s16
	;; [unrolled: 1-line block ×4, first 2 shown]
	v_mul_f32_e32 v2, 0x4f7ffffe, v2
	v_mul_f32_e32 v3, 0x4f7ffffe, v3
	;; [unrolled: 1-line block ×6, first 2 shown]
	v_cvt_u32_f32_e32 v2, v2
	v_cvt_u32_f32_e32 v3, v3
	;; [unrolled: 1-line block ×6, first 2 shown]
	s_sub_i32 s5, 0, s14
	s_sub_i32 s28, 0, s22
	v_mul_lo_u32 v4, s23, v2
	v_mul_lo_u32 v5, s24, v3
	;; [unrolled: 1-line block ×6, first 2 shown]
	s_clause 0x1
	s_load_dwordx4 s[4:7], s[6:7], 0x550
	s_load_dwordx2 s[12:13], s[12:13], 0x0
	s_waitcnt lgkmcnt(0)
	s_mul_i32 s15, s26, s15
	v_mul_hi_u32 v4, v2, v4
	v_mul_hi_u32 v5, v3, v5
	;; [unrolled: 1-line block ×6, first 2 shown]
	s_mul_i32 s25, s27, s25
	v_add_nc_u32_e32 v4, v2, v4
	v_add_nc_u32_e32 v5, v3, v5
	;; [unrolled: 1-line block ×6, first 2 shown]
	s_branch .LBB179_3
.LBB179_2:                              ;   in Loop: Header=BB179_3 Depth=1
	v_lshlrev_b64 v[2:3], 3, v[2:3]
	v_mul_hi_u32 v13, v4, v0
	v_add_co_u32 v2, vcc_lo, s12, v2
	v_add_co_ci_u32_e64 v3, null, s13, v3, vcc_lo
	v_not_b32_e32 v12, v13
	v_mad_u64_u32 v[10:11], null, s23, v13, v[0:1]
	global_load_dwordx2 v[2:3], v[2:3], off
	v_add_nc_u32_e32 v14, 1, v13
	v_mad_u64_u32 v[11:12], null, s20, v12, v[0:1]
	v_cmp_le_u32_e32 vcc_lo, s20, v10
	v_cndmask_b32_e32 v12, v13, v14, vcc_lo
	v_cndmask_b32_e32 v10, v10, v11, vcc_lo
	v_add_nc_u32_e32 v11, 1, v12
	v_cmp_le_u32_e32 vcc_lo, s20, v10
	v_cndmask_b32_e32 v12, v12, v11, vcc_lo
	v_mul_hi_u32 v10, v12, v6
	v_mul_lo_u32 v11, v10, s16
	v_add_nc_u32_e32 v13, 1, v10
	v_sub_nc_u32_e32 v11, v12, v11
	v_subrev_nc_u32_e32 v14, s16, v11
	v_cmp_le_u32_e32 vcc_lo, s16, v11
	v_cndmask_b32_e32 v10, v10, v13, vcc_lo
	v_cndmask_b32_e32 v11, v11, v14, vcc_lo
	v_add_nc_u32_e32 v13, 1, v10
	v_cmp_le_u32_e32 vcc_lo, s16, v11
	v_cndmask_b32_e32 v13, v10, v13, vcc_lo
	v_mul_hi_u32 v10, v13, v8
	v_mul_lo_u32 v11, v10, s14
	v_add_nc_u32_e32 v14, 1, v10
	v_sub_nc_u32_e32 v11, v13, v11
	v_subrev_nc_u32_e32 v15, s14, v11
	v_cmp_le_u32_e32 vcc_lo, s14, v11
	v_cndmask_b32_e32 v10, v10, v14, vcc_lo
	v_cndmask_b32_e32 v11, v11, v15, vcc_lo
	v_mul_lo_u32 v15, v13, s16
	v_add_nc_u32_e32 v14, 1, v10
	v_cmp_le_u32_e32 vcc_lo, s14, v11
	v_cndmask_b32_e32 v14, v10, v14, vcc_lo
	v_mad_u64_u32 v[10:11], null, s23, v12, v[0:1]
	v_sub_nc_u32_e32 v12, v12, v15
	v_add_nc_u32_e32 v0, s25, v0
	v_mul_lo_u32 v11, v14, s14
	v_mul_lo_u32 v12, v12, s10
	;; [unrolled: 1-line block ×3, first 2 shown]
	v_cmp_le_u32_e32 vcc_lo, s18, v0
	v_sub_nc_u32_e32 v11, v13, v11
	v_mul_lo_u32 v13, v14, s8
	s_or_b32 s1, vcc_lo, s1
	v_mul_lo_u32 v11, v11, s9
	v_add3_u32 v10, v13, v10, v12
	v_add3_u32 v10, v10, v11, s15
	v_mov_b32_e32 v11, v1
	v_lshlrev_b64 v[10:11], 3, v[10:11]
	v_add_co_u32 v10, s0, s2, v10
	v_add_co_ci_u32_e64 v11, null, s3, v11, s0
	s_waitcnt vmcnt(0)
	global_store_dwordx2 v[10:11], v[2:3], off
	s_andn2_b32 exec_lo, exec_lo, s1
	s_cbranch_execz .LBB179_5
.LBB179_3:                              ; =>This Inner Loop Header: Depth=1
	v_mov_b32_e32 v3, v1
	v_mov_b32_e32 v2, v0
	s_andn2_b32 vcc_lo, exec_lo, s19
	s_cbranch_vccnz .LBB179_2
; %bb.4:                                ;   in Loop: Header=BB179_3 Depth=1
	v_mul_hi_u32 v12, v5, v0
	v_not_b32_e32 v10, v12
	v_mad_u64_u32 v[2:3], null, s24, v12, v[0:1]
	v_add_nc_u32_e32 v3, 1, v12
	v_mad_u64_u32 v[10:11], null, s21, v10, v[0:1]
	v_cmp_le_u32_e32 vcc_lo, s21, v2
	v_cndmask_b32_e32 v3, v12, v3, vcc_lo
	v_cndmask_b32_e32 v2, v2, v10, vcc_lo
	v_add_nc_u32_e32 v10, 1, v3
	v_cmp_le_u32_e32 vcc_lo, s21, v2
	v_cndmask_b32_e32 v10, v3, v10, vcc_lo
	v_mul_hi_u32 v2, v10, v7
	v_mul_lo_u32 v3, v2, s17
	v_add_nc_u32_e32 v11, 1, v2
	v_sub_nc_u32_e32 v3, v10, v3
	v_subrev_nc_u32_e32 v12, s17, v3
	v_cmp_le_u32_e32 vcc_lo, s17, v3
	v_cndmask_b32_e32 v2, v2, v11, vcc_lo
	v_cndmask_b32_e32 v3, v3, v12, vcc_lo
	v_add_nc_u32_e32 v11, 1, v2
	v_cmp_le_u32_e32 vcc_lo, s17, v3
	v_cndmask_b32_e32 v11, v2, v11, vcc_lo
	v_mul_hi_u32 v2, v11, v9
	v_mul_lo_u32 v3, v2, s22
	v_add_nc_u32_e32 v12, 1, v2
	v_sub_nc_u32_e32 v3, v11, v3
	v_subrev_nc_u32_e32 v13, s22, v3
	v_cmp_le_u32_e32 vcc_lo, s22, v3
	v_cndmask_b32_e32 v2, v2, v12, vcc_lo
	v_cndmask_b32_e32 v3, v3, v13, vcc_lo
	v_add_nc_u32_e32 v12, 1, v2
	v_cmp_le_u32_e32 vcc_lo, s22, v3
	v_cndmask_b32_e32 v12, v2, v12, vcc_lo
	v_mad_u64_u32 v[2:3], null, s24, v10, v[0:1]
	v_mul_lo_u32 v3, v11, s17
	v_mul_lo_u32 v13, v12, s22
	;; [unrolled: 1-line block ×3, first 2 shown]
	v_sub_nc_u32_e32 v3, v10, v3
	v_sub_nc_u32_e32 v10, v11, v13
	v_mul_lo_u32 v11, v3, s6
	v_mad_u64_u32 v[2:3], null, v12, s4, v[2:3]
	v_mul_lo_u32 v3, v10, s5
	v_add3_u32 v2, v2, v11, v3
	v_mov_b32_e32 v3, v1
	s_branch .LBB179_2
.LBB179_5:
	s_endpgm
	.section	.rodata,"a",@progbits
	.p2align	6, 0x0
	.amdhsa_kernel _ZN2at6native12_GLOBAL__N_119CatArrayBatchedCopyINS1_10OpaqueTypeILj8EEEjLi4ELi64ELi64EEEvPT_NS1_25CatArrInputTensorMetadataIS5_T0_XT2_EXT3_EEENS1_16TensorSizeStrideIS8_Lj4EEEiS8_
		.amdhsa_group_segment_fixed_size 0
		.amdhsa_private_segment_fixed_size 0
		.amdhsa_kernarg_size 3696
		.amdhsa_user_sgpr_count 6
		.amdhsa_user_sgpr_private_segment_buffer 1
		.amdhsa_user_sgpr_dispatch_ptr 0
		.amdhsa_user_sgpr_queue_ptr 0
		.amdhsa_user_sgpr_kernarg_segment_ptr 1
		.amdhsa_user_sgpr_dispatch_id 0
		.amdhsa_user_sgpr_flat_scratch_init 0
		.amdhsa_user_sgpr_private_segment_size 0
		.amdhsa_wavefront_size32 1
		.amdhsa_uses_dynamic_stack 0
		.amdhsa_system_sgpr_private_segment_wavefront_offset 0
		.amdhsa_system_sgpr_workgroup_id_x 1
		.amdhsa_system_sgpr_workgroup_id_y 1
		.amdhsa_system_sgpr_workgroup_id_z 0
		.amdhsa_system_sgpr_workgroup_info 0
		.amdhsa_system_vgpr_workitem_id 0
		.amdhsa_next_free_vgpr 16
		.amdhsa_next_free_sgpr 32
		.amdhsa_reserve_vcc 1
		.amdhsa_reserve_flat_scratch 0
		.amdhsa_float_round_mode_32 0
		.amdhsa_float_round_mode_16_64 0
		.amdhsa_float_denorm_mode_32 3
		.amdhsa_float_denorm_mode_16_64 3
		.amdhsa_dx10_clamp 1
		.amdhsa_ieee_mode 1
		.amdhsa_fp16_overflow 0
		.amdhsa_workgroup_processor_mode 1
		.amdhsa_memory_ordered 1
		.amdhsa_forward_progress 1
		.amdhsa_shared_vgpr_count 0
		.amdhsa_exception_fp_ieee_invalid_op 0
		.amdhsa_exception_fp_denorm_src 0
		.amdhsa_exception_fp_ieee_div_zero 0
		.amdhsa_exception_fp_ieee_overflow 0
		.amdhsa_exception_fp_ieee_underflow 0
		.amdhsa_exception_fp_ieee_inexact 0
		.amdhsa_exception_int_div_zero 0
	.end_amdhsa_kernel
	.section	.text._ZN2at6native12_GLOBAL__N_119CatArrayBatchedCopyINS1_10OpaqueTypeILj8EEEjLi4ELi64ELi64EEEvPT_NS1_25CatArrInputTensorMetadataIS5_T0_XT2_EXT3_EEENS1_16TensorSizeStrideIS8_Lj4EEEiS8_,"axG",@progbits,_ZN2at6native12_GLOBAL__N_119CatArrayBatchedCopyINS1_10OpaqueTypeILj8EEEjLi4ELi64ELi64EEEvPT_NS1_25CatArrInputTensorMetadataIS5_T0_XT2_EXT3_EEENS1_16TensorSizeStrideIS8_Lj4EEEiS8_,comdat
.Lfunc_end179:
	.size	_ZN2at6native12_GLOBAL__N_119CatArrayBatchedCopyINS1_10OpaqueTypeILj8EEEjLi4ELi64ELi64EEEvPT_NS1_25CatArrInputTensorMetadataIS5_T0_XT2_EXT3_EEENS1_16TensorSizeStrideIS8_Lj4EEEiS8_, .Lfunc_end179-_ZN2at6native12_GLOBAL__N_119CatArrayBatchedCopyINS1_10OpaqueTypeILj8EEEjLi4ELi64ELi64EEEvPT_NS1_25CatArrInputTensorMetadataIS5_T0_XT2_EXT3_EEENS1_16TensorSizeStrideIS8_Lj4EEEiS8_
                                        ; -- End function
	.set _ZN2at6native12_GLOBAL__N_119CatArrayBatchedCopyINS1_10OpaqueTypeILj8EEEjLi4ELi64ELi64EEEvPT_NS1_25CatArrInputTensorMetadataIS5_T0_XT2_EXT3_EEENS1_16TensorSizeStrideIS8_Lj4EEEiS8_.num_vgpr, 16
	.set _ZN2at6native12_GLOBAL__N_119CatArrayBatchedCopyINS1_10OpaqueTypeILj8EEEjLi4ELi64ELi64EEEvPT_NS1_25CatArrInputTensorMetadataIS5_T0_XT2_EXT3_EEENS1_16TensorSizeStrideIS8_Lj4EEEiS8_.num_agpr, 0
	.set _ZN2at6native12_GLOBAL__N_119CatArrayBatchedCopyINS1_10OpaqueTypeILj8EEEjLi4ELi64ELi64EEEvPT_NS1_25CatArrInputTensorMetadataIS5_T0_XT2_EXT3_EEENS1_16TensorSizeStrideIS8_Lj4EEEiS8_.numbered_sgpr, 32
	.set _ZN2at6native12_GLOBAL__N_119CatArrayBatchedCopyINS1_10OpaqueTypeILj8EEEjLi4ELi64ELi64EEEvPT_NS1_25CatArrInputTensorMetadataIS5_T0_XT2_EXT3_EEENS1_16TensorSizeStrideIS8_Lj4EEEiS8_.num_named_barrier, 0
	.set _ZN2at6native12_GLOBAL__N_119CatArrayBatchedCopyINS1_10OpaqueTypeILj8EEEjLi4ELi64ELi64EEEvPT_NS1_25CatArrInputTensorMetadataIS5_T0_XT2_EXT3_EEENS1_16TensorSizeStrideIS8_Lj4EEEiS8_.private_seg_size, 0
	.set _ZN2at6native12_GLOBAL__N_119CatArrayBatchedCopyINS1_10OpaqueTypeILj8EEEjLi4ELi64ELi64EEEvPT_NS1_25CatArrInputTensorMetadataIS5_T0_XT2_EXT3_EEENS1_16TensorSizeStrideIS8_Lj4EEEiS8_.uses_vcc, 1
	.set _ZN2at6native12_GLOBAL__N_119CatArrayBatchedCopyINS1_10OpaqueTypeILj8EEEjLi4ELi64ELi64EEEvPT_NS1_25CatArrInputTensorMetadataIS5_T0_XT2_EXT3_EEENS1_16TensorSizeStrideIS8_Lj4EEEiS8_.uses_flat_scratch, 0
	.set _ZN2at6native12_GLOBAL__N_119CatArrayBatchedCopyINS1_10OpaqueTypeILj8EEEjLi4ELi64ELi64EEEvPT_NS1_25CatArrInputTensorMetadataIS5_T0_XT2_EXT3_EEENS1_16TensorSizeStrideIS8_Lj4EEEiS8_.has_dyn_sized_stack, 0
	.set _ZN2at6native12_GLOBAL__N_119CatArrayBatchedCopyINS1_10OpaqueTypeILj8EEEjLi4ELi64ELi64EEEvPT_NS1_25CatArrInputTensorMetadataIS5_T0_XT2_EXT3_EEENS1_16TensorSizeStrideIS8_Lj4EEEiS8_.has_recursion, 0
	.set _ZN2at6native12_GLOBAL__N_119CatArrayBatchedCopyINS1_10OpaqueTypeILj8EEEjLi4ELi64ELi64EEEvPT_NS1_25CatArrInputTensorMetadataIS5_T0_XT2_EXT3_EEENS1_16TensorSizeStrideIS8_Lj4EEEiS8_.has_indirect_call, 0
	.section	.AMDGPU.csdata,"",@progbits
; Kernel info:
; codeLenInByte = 1184
; TotalNumSgprs: 34
; NumVgprs: 16
; ScratchSize: 0
; MemoryBound: 0
; FloatMode: 240
; IeeeMode: 1
; LDSByteSize: 0 bytes/workgroup (compile time only)
; SGPRBlocks: 0
; VGPRBlocks: 1
; NumSGPRsForWavesPerEU: 34
; NumVGPRsForWavesPerEU: 16
; Occupancy: 16
; WaveLimiterHint : 1
; COMPUTE_PGM_RSRC2:SCRATCH_EN: 0
; COMPUTE_PGM_RSRC2:USER_SGPR: 6
; COMPUTE_PGM_RSRC2:TRAP_HANDLER: 0
; COMPUTE_PGM_RSRC2:TGID_X_EN: 1
; COMPUTE_PGM_RSRC2:TGID_Y_EN: 1
; COMPUTE_PGM_RSRC2:TGID_Z_EN: 0
; COMPUTE_PGM_RSRC2:TIDIG_COMP_CNT: 0
	.section	.text._ZN2at6native12_GLOBAL__N_130CatArrayBatchedCopy_vectorizedINS1_10OpaqueTypeILj16EEEjLi1ELi64ELi64ELi16ELi1EEEvPcNS1_25CatArrInputTensorMetadataIT_T0_XT2_EXT3_EEENS1_16TensorSizeStrideIS8_Lj4EEEiS8_,"axG",@progbits,_ZN2at6native12_GLOBAL__N_130CatArrayBatchedCopy_vectorizedINS1_10OpaqueTypeILj16EEEjLi1ELi64ELi64ELi16ELi1EEEvPcNS1_25CatArrInputTensorMetadataIT_T0_XT2_EXT3_EEENS1_16TensorSizeStrideIS8_Lj4EEEiS8_,comdat
	.globl	_ZN2at6native12_GLOBAL__N_130CatArrayBatchedCopy_vectorizedINS1_10OpaqueTypeILj16EEEjLi1ELi64ELi64ELi16ELi1EEEvPcNS1_25CatArrInputTensorMetadataIT_T0_XT2_EXT3_EEENS1_16TensorSizeStrideIS8_Lj4EEEiS8_ ; -- Begin function _ZN2at6native12_GLOBAL__N_130CatArrayBatchedCopy_vectorizedINS1_10OpaqueTypeILj16EEEjLi1ELi64ELi64ELi16ELi1EEEvPcNS1_25CatArrInputTensorMetadataIT_T0_XT2_EXT3_EEENS1_16TensorSizeStrideIS8_Lj4EEEiS8_
	.p2align	8
	.type	_ZN2at6native12_GLOBAL__N_130CatArrayBatchedCopy_vectorizedINS1_10OpaqueTypeILj16EEEjLi1ELi64ELi64ELi16ELi1EEEvPcNS1_25CatArrInputTensorMetadataIT_T0_XT2_EXT3_EEENS1_16TensorSizeStrideIS8_Lj4EEEiS8_,@function
_ZN2at6native12_GLOBAL__N_130CatArrayBatchedCopy_vectorizedINS1_10OpaqueTypeILj16EEEjLi1ELi64ELi64ELi16ELi1EEEvPcNS1_25CatArrInputTensorMetadataIT_T0_XT2_EXT3_EEENS1_16TensorSizeStrideIS8_Lj4EEEiS8_: ; @_ZN2at6native12_GLOBAL__N_130CatArrayBatchedCopy_vectorizedINS1_10OpaqueTypeILj16EEEjLi1ELi64ELi64ELi16ELi1EEEvPcNS1_25CatArrInputTensorMetadataIT_T0_XT2_EXT3_EEENS1_16TensorSizeStrideIS8_Lj4EEEiS8_
; %bb.0:
	s_mov_b32 s0, s7
	s_load_dword s7, s[4:5], 0xd7c
	s_mov_b32 s1, 0
	s_add_u32 s8, s4, 0xd70
	s_addc_u32 s9, s5, 0
	s_lshl_b64 s[2:3], s[0:1], 2
	s_mov_b32 s11, exec_lo
	s_waitcnt lgkmcnt(0)
	s_and_b32 s10, s7, 0xffff
	s_add_u32 s12, s4, s2
	s_addc_u32 s13, s5, s3
	v_mad_u64_u32 v[0:1], null, s6, s10, v[0:1]
	s_load_dword s7, s[12:13], 0x408
	s_add_u32 s0, s12, 8
	s_addc_u32 s6, s13, 0
	s_waitcnt lgkmcnt(0)
	v_cmpx_gt_u32_e64 s7, v0
	s_cbranch_execz .LBB180_3
; %bb.1:
	s_add_u32 s12, s0, s2
	s_addc_u32 s13, s6, s3
	s_sub_u32 s0, 0, s2
	s_subb_u32 s2, 0, s3
	s_add_u32 s14, s12, s0
	s_addc_u32 s15, s13, s2
	s_clause 0x3
	s_load_dword s0, s[4:5], 0xd6c
	s_load_dwordx2 s[2:3], s[12:13], 0x0
	s_load_dword s11, s[4:5], 0xd58
	s_load_dword s6, s[14:15], 0x200
	;; [unrolled: 1-line block ×3, first 2 shown]
	s_load_dwordx2 s[8:9], s[4:5], 0x0
	v_mov_b32_e32 v3, 0
	s_waitcnt lgkmcnt(0)
	v_mul_lo_u32 v2, s11, v0
	s_mul_i32 s0, s6, s0
	s_mul_i32 s4, s14, s10
	s_lshl_b64 s[12:13], s[0:1], 4
	s_add_u32 s5, s8, s12
	s_addc_u32 s6, s9, s13
	s_mul_i32 s8, s4, s11
	.p2align	6
.LBB180_2:                              ; =>This Inner Loop Header: Depth=1
	v_mov_b32_e32 v1, v3
	v_lshlrev_b64 v[8:9], 4, v[2:3]
	v_add_nc_u32_e32 v2, s8, v2
	v_lshlrev_b64 v[4:5], 4, v[0:1]
	v_add_nc_u32_e32 v0, s4, v0
	v_cmp_le_u32_e64 s0, s7, v0
	v_add_co_u32 v4, vcc_lo, s2, v4
	v_add_co_ci_u32_e64 v5, null, s3, v5, vcc_lo
	v_add_co_u32 v8, vcc_lo, s5, v8
	v_add_co_ci_u32_e64 v9, null, s6, v9, vcc_lo
	global_load_dwordx4 v[4:7], v[4:5], off
	s_or_b32 s1, s0, s1
	s_waitcnt vmcnt(0)
	global_store_dwordx4 v[8:9], v[4:7], off
	s_andn2_b32 exec_lo, exec_lo, s1
	s_cbranch_execnz .LBB180_2
.LBB180_3:
	s_endpgm
	.section	.rodata,"a",@progbits
	.p2align	6, 0x0
	.amdhsa_kernel _ZN2at6native12_GLOBAL__N_130CatArrayBatchedCopy_vectorizedINS1_10OpaqueTypeILj16EEEjLi1ELi64ELi64ELi16ELi1EEEvPcNS1_25CatArrInputTensorMetadataIT_T0_XT2_EXT3_EEENS1_16TensorSizeStrideIS8_Lj4EEEiS8_
		.amdhsa_group_segment_fixed_size 0
		.amdhsa_private_segment_fixed_size 0
		.amdhsa_kernarg_size 3696
		.amdhsa_user_sgpr_count 6
		.amdhsa_user_sgpr_private_segment_buffer 1
		.amdhsa_user_sgpr_dispatch_ptr 0
		.amdhsa_user_sgpr_queue_ptr 0
		.amdhsa_user_sgpr_kernarg_segment_ptr 1
		.amdhsa_user_sgpr_dispatch_id 0
		.amdhsa_user_sgpr_flat_scratch_init 0
		.amdhsa_user_sgpr_private_segment_size 0
		.amdhsa_wavefront_size32 1
		.amdhsa_uses_dynamic_stack 0
		.amdhsa_system_sgpr_private_segment_wavefront_offset 0
		.amdhsa_system_sgpr_workgroup_id_x 1
		.amdhsa_system_sgpr_workgroup_id_y 1
		.amdhsa_system_sgpr_workgroup_id_z 0
		.amdhsa_system_sgpr_workgroup_info 0
		.amdhsa_system_vgpr_workitem_id 0
		.amdhsa_next_free_vgpr 10
		.amdhsa_next_free_sgpr 16
		.amdhsa_reserve_vcc 1
		.amdhsa_reserve_flat_scratch 0
		.amdhsa_float_round_mode_32 0
		.amdhsa_float_round_mode_16_64 0
		.amdhsa_float_denorm_mode_32 3
		.amdhsa_float_denorm_mode_16_64 3
		.amdhsa_dx10_clamp 1
		.amdhsa_ieee_mode 1
		.amdhsa_fp16_overflow 0
		.amdhsa_workgroup_processor_mode 1
		.amdhsa_memory_ordered 1
		.amdhsa_forward_progress 1
		.amdhsa_shared_vgpr_count 0
		.amdhsa_exception_fp_ieee_invalid_op 0
		.amdhsa_exception_fp_denorm_src 0
		.amdhsa_exception_fp_ieee_div_zero 0
		.amdhsa_exception_fp_ieee_overflow 0
		.amdhsa_exception_fp_ieee_underflow 0
		.amdhsa_exception_fp_ieee_inexact 0
		.amdhsa_exception_int_div_zero 0
	.end_amdhsa_kernel
	.section	.text._ZN2at6native12_GLOBAL__N_130CatArrayBatchedCopy_vectorizedINS1_10OpaqueTypeILj16EEEjLi1ELi64ELi64ELi16ELi1EEEvPcNS1_25CatArrInputTensorMetadataIT_T0_XT2_EXT3_EEENS1_16TensorSizeStrideIS8_Lj4EEEiS8_,"axG",@progbits,_ZN2at6native12_GLOBAL__N_130CatArrayBatchedCopy_vectorizedINS1_10OpaqueTypeILj16EEEjLi1ELi64ELi64ELi16ELi1EEEvPcNS1_25CatArrInputTensorMetadataIT_T0_XT2_EXT3_EEENS1_16TensorSizeStrideIS8_Lj4EEEiS8_,comdat
.Lfunc_end180:
	.size	_ZN2at6native12_GLOBAL__N_130CatArrayBatchedCopy_vectorizedINS1_10OpaqueTypeILj16EEEjLi1ELi64ELi64ELi16ELi1EEEvPcNS1_25CatArrInputTensorMetadataIT_T0_XT2_EXT3_EEENS1_16TensorSizeStrideIS8_Lj4EEEiS8_, .Lfunc_end180-_ZN2at6native12_GLOBAL__N_130CatArrayBatchedCopy_vectorizedINS1_10OpaqueTypeILj16EEEjLi1ELi64ELi64ELi16ELi1EEEvPcNS1_25CatArrInputTensorMetadataIT_T0_XT2_EXT3_EEENS1_16TensorSizeStrideIS8_Lj4EEEiS8_
                                        ; -- End function
	.set _ZN2at6native12_GLOBAL__N_130CatArrayBatchedCopy_vectorizedINS1_10OpaqueTypeILj16EEEjLi1ELi64ELi64ELi16ELi1EEEvPcNS1_25CatArrInputTensorMetadataIT_T0_XT2_EXT3_EEENS1_16TensorSizeStrideIS8_Lj4EEEiS8_.num_vgpr, 10
	.set _ZN2at6native12_GLOBAL__N_130CatArrayBatchedCopy_vectorizedINS1_10OpaqueTypeILj16EEEjLi1ELi64ELi64ELi16ELi1EEEvPcNS1_25CatArrInputTensorMetadataIT_T0_XT2_EXT3_EEENS1_16TensorSizeStrideIS8_Lj4EEEiS8_.num_agpr, 0
	.set _ZN2at6native12_GLOBAL__N_130CatArrayBatchedCopy_vectorizedINS1_10OpaqueTypeILj16EEEjLi1ELi64ELi64ELi16ELi1EEEvPcNS1_25CatArrInputTensorMetadataIT_T0_XT2_EXT3_EEENS1_16TensorSizeStrideIS8_Lj4EEEiS8_.numbered_sgpr, 16
	.set _ZN2at6native12_GLOBAL__N_130CatArrayBatchedCopy_vectorizedINS1_10OpaqueTypeILj16EEEjLi1ELi64ELi64ELi16ELi1EEEvPcNS1_25CatArrInputTensorMetadataIT_T0_XT2_EXT3_EEENS1_16TensorSizeStrideIS8_Lj4EEEiS8_.num_named_barrier, 0
	.set _ZN2at6native12_GLOBAL__N_130CatArrayBatchedCopy_vectorizedINS1_10OpaqueTypeILj16EEEjLi1ELi64ELi64ELi16ELi1EEEvPcNS1_25CatArrInputTensorMetadataIT_T0_XT2_EXT3_EEENS1_16TensorSizeStrideIS8_Lj4EEEiS8_.private_seg_size, 0
	.set _ZN2at6native12_GLOBAL__N_130CatArrayBatchedCopy_vectorizedINS1_10OpaqueTypeILj16EEEjLi1ELi64ELi64ELi16ELi1EEEvPcNS1_25CatArrInputTensorMetadataIT_T0_XT2_EXT3_EEENS1_16TensorSizeStrideIS8_Lj4EEEiS8_.uses_vcc, 1
	.set _ZN2at6native12_GLOBAL__N_130CatArrayBatchedCopy_vectorizedINS1_10OpaqueTypeILj16EEEjLi1ELi64ELi64ELi16ELi1EEEvPcNS1_25CatArrInputTensorMetadataIT_T0_XT2_EXT3_EEENS1_16TensorSizeStrideIS8_Lj4EEEiS8_.uses_flat_scratch, 0
	.set _ZN2at6native12_GLOBAL__N_130CatArrayBatchedCopy_vectorizedINS1_10OpaqueTypeILj16EEEjLi1ELi64ELi64ELi16ELi1EEEvPcNS1_25CatArrInputTensorMetadataIT_T0_XT2_EXT3_EEENS1_16TensorSizeStrideIS8_Lj4EEEiS8_.has_dyn_sized_stack, 0
	.set _ZN2at6native12_GLOBAL__N_130CatArrayBatchedCopy_vectorizedINS1_10OpaqueTypeILj16EEEjLi1ELi64ELi64ELi16ELi1EEEvPcNS1_25CatArrInputTensorMetadataIT_T0_XT2_EXT3_EEENS1_16TensorSizeStrideIS8_Lj4EEEiS8_.has_recursion, 0
	.set _ZN2at6native12_GLOBAL__N_130CatArrayBatchedCopy_vectorizedINS1_10OpaqueTypeILj16EEEjLi1ELi64ELi64ELi16ELi1EEEvPcNS1_25CatArrInputTensorMetadataIT_T0_XT2_EXT3_EEENS1_16TensorSizeStrideIS8_Lj4EEEiS8_.has_indirect_call, 0
	.section	.AMDGPU.csdata,"",@progbits
; Kernel info:
; codeLenInByte = 360
; TotalNumSgprs: 18
; NumVgprs: 10
; ScratchSize: 0
; MemoryBound: 0
; FloatMode: 240
; IeeeMode: 1
; LDSByteSize: 0 bytes/workgroup (compile time only)
; SGPRBlocks: 0
; VGPRBlocks: 1
; NumSGPRsForWavesPerEU: 18
; NumVGPRsForWavesPerEU: 10
; Occupancy: 16
; WaveLimiterHint : 1
; COMPUTE_PGM_RSRC2:SCRATCH_EN: 0
; COMPUTE_PGM_RSRC2:USER_SGPR: 6
; COMPUTE_PGM_RSRC2:TRAP_HANDLER: 0
; COMPUTE_PGM_RSRC2:TGID_X_EN: 1
; COMPUTE_PGM_RSRC2:TGID_Y_EN: 1
; COMPUTE_PGM_RSRC2:TGID_Z_EN: 0
; COMPUTE_PGM_RSRC2:TIDIG_COMP_CNT: 0
	.section	.text._ZN2at6native12_GLOBAL__N_135CatArrayBatchedCopy_alignedK_contigINS1_10OpaqueTypeILj16EEEjLi1ELi64ELi64ELi16EEEvPT_NS1_25CatArrInputTensorMetadataIS5_T0_XT2_EXT3_EEENS1_16TensorSizeStrideIS8_Lj4EEEiS8_,"axG",@progbits,_ZN2at6native12_GLOBAL__N_135CatArrayBatchedCopy_alignedK_contigINS1_10OpaqueTypeILj16EEEjLi1ELi64ELi64ELi16EEEvPT_NS1_25CatArrInputTensorMetadataIS5_T0_XT2_EXT3_EEENS1_16TensorSizeStrideIS8_Lj4EEEiS8_,comdat
	.globl	_ZN2at6native12_GLOBAL__N_135CatArrayBatchedCopy_alignedK_contigINS1_10OpaqueTypeILj16EEEjLi1ELi64ELi64ELi16EEEvPT_NS1_25CatArrInputTensorMetadataIS5_T0_XT2_EXT3_EEENS1_16TensorSizeStrideIS8_Lj4EEEiS8_ ; -- Begin function _ZN2at6native12_GLOBAL__N_135CatArrayBatchedCopy_alignedK_contigINS1_10OpaqueTypeILj16EEEjLi1ELi64ELi64ELi16EEEvPT_NS1_25CatArrInputTensorMetadataIS5_T0_XT2_EXT3_EEENS1_16TensorSizeStrideIS8_Lj4EEEiS8_
	.p2align	8
	.type	_ZN2at6native12_GLOBAL__N_135CatArrayBatchedCopy_alignedK_contigINS1_10OpaqueTypeILj16EEEjLi1ELi64ELi64ELi16EEEvPT_NS1_25CatArrInputTensorMetadataIS5_T0_XT2_EXT3_EEENS1_16TensorSizeStrideIS8_Lj4EEEiS8_,@function
_ZN2at6native12_GLOBAL__N_135CatArrayBatchedCopy_alignedK_contigINS1_10OpaqueTypeILj16EEEjLi1ELi64ELi64ELi16EEEvPT_NS1_25CatArrInputTensorMetadataIS5_T0_XT2_EXT3_EEENS1_16TensorSizeStrideIS8_Lj4EEEiS8_: ; @_ZN2at6native12_GLOBAL__N_135CatArrayBatchedCopy_alignedK_contigINS1_10OpaqueTypeILj16EEEjLi1ELi64ELi64ELi16EEEvPT_NS1_25CatArrInputTensorMetadataIS5_T0_XT2_EXT3_EEENS1_16TensorSizeStrideIS8_Lj4EEEiS8_
; %bb.0:
	s_mov_b32 s0, s7
	s_load_dword s7, s[4:5], 0xd7c
	s_mov_b32 s1, 0
	s_add_u32 s2, s4, 0xd70
	s_addc_u32 s3, s5, 0
	s_lshl_b64 s[8:9], s[0:1], 2
	s_mov_b32 s11, exec_lo
	s_waitcnt lgkmcnt(0)
	s_and_b32 s0, s7, 0xffff
	s_add_u32 s12, s4, s8
	s_addc_u32 s13, s5, s9
	v_mad_u64_u32 v[0:1], null, s6, s0, v[0:1]
	s_load_dword s10, s[12:13], 0x408
	s_add_u32 s6, s12, 8
	s_addc_u32 s7, s13, 0
	s_waitcnt lgkmcnt(0)
	v_cmpx_gt_u32_e64 s10, v0
	s_cbranch_execz .LBB181_6
; %bb.1:
	s_add_u32 s12, s6, s8
	s_addc_u32 s13, s7, s9
	s_sub_u32 s8, 0, s8
	s_clause 0x1
	s_load_dwordx2 s[6:7], s[12:13], 0x0
	s_load_dword s11, s[4:5], 0xd58
	s_subb_u32 s9, 0, s9
	s_add_u32 s8, s12, s8
	s_addc_u32 s9, s13, s9
	s_clause 0x1
	s_load_dword s12, s[4:5], 0xd6c
	s_load_dword s8, s[8:9], 0x200
	s_load_dword s9, s[2:3], 0x0
	s_load_dwordx2 s[2:3], s[4:5], 0x0
	s_waitcnt lgkmcnt(0)
	v_mul_lo_u32 v1, s11, v0
	s_mul_i32 s4, s9, s0
	s_mul_i32 s5, s4, s11
	v_mad_u64_u32 v[2:3], null, s8, s12, v[1:2]
	v_mov_b32_e32 v1, 0
	.p2align	6
.LBB181_2:                              ; =>This Inner Loop Header: Depth=1
	v_lshlrev_b64 v[3:4], 4, v[0:1]
	v_add_nc_u32_e32 v0, s4, v0
	v_add_nc_u32_e32 v10, 1, v0
	v_add_co_u32 v3, vcc_lo, s6, v3
	v_add_co_ci_u32_e64 v4, null, s7, v4, vcc_lo
	v_cmp_lt_u32_e32 vcc_lo, s10, v10
	global_load_dwordx4 v[4:7], v[3:4], off
	v_mov_b32_e32 v3, v1
	s_or_b32 s1, vcc_lo, s1
	v_lshlrev_b64 v[8:9], 4, v[2:3]
	v_add_nc_u32_e32 v2, s5, v2
	v_add_co_u32 v8, s0, s2, v8
	v_add_co_ci_u32_e64 v9, null, s3, v9, s0
	s_waitcnt vmcnt(0)
	global_store_dwordx4 v[8:9], v[4:7], off
	s_andn2_b32 exec_lo, exec_lo, s1
	s_cbranch_execnz .LBB181_2
; %bb.3:
	s_or_b32 exec_lo, exec_lo, s1
	v_cmp_gt_u32_e32 vcc_lo, s10, v0
	s_and_b32 exec_lo, exec_lo, vcc_lo
	s_cbranch_execz .LBB181_6
; %bb.4:
	v_mov_b32_e32 v3, 0
	s_mov_b32 s1, 0
	v_mov_b32_e32 v1, v3
	v_lshlrev_b64 v[4:5], 4, v[0:1]
	v_add_co_u32 v4, vcc_lo, s6, v4
	v_add_co_ci_u32_e64 v5, null, s7, v5, vcc_lo
	.p2align	6
.LBB181_5:                              ; =>This Inner Loop Header: Depth=1
	global_load_dwordx4 v[6:9], v[4:5], off
	v_lshlrev_b64 v[10:11], 4, v[2:3]
	v_add_nc_u32_e32 v0, 1, v0
	v_add_co_u32 v4, vcc_lo, v4, 16
	v_add_co_ci_u32_e64 v5, null, 0, v5, vcc_lo
	v_cmp_le_u32_e32 vcc_lo, s10, v0
	v_add_co_u32 v10, s0, s2, v10
	v_add_co_ci_u32_e64 v11, null, s3, v11, s0
	v_add_nc_u32_e32 v2, s11, v2
	s_or_b32 s1, vcc_lo, s1
	s_waitcnt vmcnt(0)
	global_store_dwordx4 v[10:11], v[6:9], off
	s_andn2_b32 exec_lo, exec_lo, s1
	s_cbranch_execnz .LBB181_5
.LBB181_6:
	s_endpgm
	.section	.rodata,"a",@progbits
	.p2align	6, 0x0
	.amdhsa_kernel _ZN2at6native12_GLOBAL__N_135CatArrayBatchedCopy_alignedK_contigINS1_10OpaqueTypeILj16EEEjLi1ELi64ELi64ELi16EEEvPT_NS1_25CatArrInputTensorMetadataIS5_T0_XT2_EXT3_EEENS1_16TensorSizeStrideIS8_Lj4EEEiS8_
		.amdhsa_group_segment_fixed_size 0
		.amdhsa_private_segment_fixed_size 0
		.amdhsa_kernarg_size 3696
		.amdhsa_user_sgpr_count 6
		.amdhsa_user_sgpr_private_segment_buffer 1
		.amdhsa_user_sgpr_dispatch_ptr 0
		.amdhsa_user_sgpr_queue_ptr 0
		.amdhsa_user_sgpr_kernarg_segment_ptr 1
		.amdhsa_user_sgpr_dispatch_id 0
		.amdhsa_user_sgpr_flat_scratch_init 0
		.amdhsa_user_sgpr_private_segment_size 0
		.amdhsa_wavefront_size32 1
		.amdhsa_uses_dynamic_stack 0
		.amdhsa_system_sgpr_private_segment_wavefront_offset 0
		.amdhsa_system_sgpr_workgroup_id_x 1
		.amdhsa_system_sgpr_workgroup_id_y 1
		.amdhsa_system_sgpr_workgroup_id_z 0
		.amdhsa_system_sgpr_workgroup_info 0
		.amdhsa_system_vgpr_workitem_id 0
		.amdhsa_next_free_vgpr 12
		.amdhsa_next_free_sgpr 14
		.amdhsa_reserve_vcc 1
		.amdhsa_reserve_flat_scratch 0
		.amdhsa_float_round_mode_32 0
		.amdhsa_float_round_mode_16_64 0
		.amdhsa_float_denorm_mode_32 3
		.amdhsa_float_denorm_mode_16_64 3
		.amdhsa_dx10_clamp 1
		.amdhsa_ieee_mode 1
		.amdhsa_fp16_overflow 0
		.amdhsa_workgroup_processor_mode 1
		.amdhsa_memory_ordered 1
		.amdhsa_forward_progress 1
		.amdhsa_shared_vgpr_count 0
		.amdhsa_exception_fp_ieee_invalid_op 0
		.amdhsa_exception_fp_denorm_src 0
		.amdhsa_exception_fp_ieee_div_zero 0
		.amdhsa_exception_fp_ieee_overflow 0
		.amdhsa_exception_fp_ieee_underflow 0
		.amdhsa_exception_fp_ieee_inexact 0
		.amdhsa_exception_int_div_zero 0
	.end_amdhsa_kernel
	.section	.text._ZN2at6native12_GLOBAL__N_135CatArrayBatchedCopy_alignedK_contigINS1_10OpaqueTypeILj16EEEjLi1ELi64ELi64ELi16EEEvPT_NS1_25CatArrInputTensorMetadataIS5_T0_XT2_EXT3_EEENS1_16TensorSizeStrideIS8_Lj4EEEiS8_,"axG",@progbits,_ZN2at6native12_GLOBAL__N_135CatArrayBatchedCopy_alignedK_contigINS1_10OpaqueTypeILj16EEEjLi1ELi64ELi64ELi16EEEvPT_NS1_25CatArrInputTensorMetadataIS5_T0_XT2_EXT3_EEENS1_16TensorSizeStrideIS8_Lj4EEEiS8_,comdat
.Lfunc_end181:
	.size	_ZN2at6native12_GLOBAL__N_135CatArrayBatchedCopy_alignedK_contigINS1_10OpaqueTypeILj16EEEjLi1ELi64ELi64ELi16EEEvPT_NS1_25CatArrInputTensorMetadataIS5_T0_XT2_EXT3_EEENS1_16TensorSizeStrideIS8_Lj4EEEiS8_, .Lfunc_end181-_ZN2at6native12_GLOBAL__N_135CatArrayBatchedCopy_alignedK_contigINS1_10OpaqueTypeILj16EEEjLi1ELi64ELi64ELi16EEEvPT_NS1_25CatArrInputTensorMetadataIS5_T0_XT2_EXT3_EEENS1_16TensorSizeStrideIS8_Lj4EEEiS8_
                                        ; -- End function
	.set _ZN2at6native12_GLOBAL__N_135CatArrayBatchedCopy_alignedK_contigINS1_10OpaqueTypeILj16EEEjLi1ELi64ELi64ELi16EEEvPT_NS1_25CatArrInputTensorMetadataIS5_T0_XT2_EXT3_EEENS1_16TensorSizeStrideIS8_Lj4EEEiS8_.num_vgpr, 12
	.set _ZN2at6native12_GLOBAL__N_135CatArrayBatchedCopy_alignedK_contigINS1_10OpaqueTypeILj16EEEjLi1ELi64ELi64ELi16EEEvPT_NS1_25CatArrInputTensorMetadataIS5_T0_XT2_EXT3_EEENS1_16TensorSizeStrideIS8_Lj4EEEiS8_.num_agpr, 0
	.set _ZN2at6native12_GLOBAL__N_135CatArrayBatchedCopy_alignedK_contigINS1_10OpaqueTypeILj16EEEjLi1ELi64ELi64ELi16EEEvPT_NS1_25CatArrInputTensorMetadataIS5_T0_XT2_EXT3_EEENS1_16TensorSizeStrideIS8_Lj4EEEiS8_.numbered_sgpr, 14
	.set _ZN2at6native12_GLOBAL__N_135CatArrayBatchedCopy_alignedK_contigINS1_10OpaqueTypeILj16EEEjLi1ELi64ELi64ELi16EEEvPT_NS1_25CatArrInputTensorMetadataIS5_T0_XT2_EXT3_EEENS1_16TensorSizeStrideIS8_Lj4EEEiS8_.num_named_barrier, 0
	.set _ZN2at6native12_GLOBAL__N_135CatArrayBatchedCopy_alignedK_contigINS1_10OpaqueTypeILj16EEEjLi1ELi64ELi64ELi16EEEvPT_NS1_25CatArrInputTensorMetadataIS5_T0_XT2_EXT3_EEENS1_16TensorSizeStrideIS8_Lj4EEEiS8_.private_seg_size, 0
	.set _ZN2at6native12_GLOBAL__N_135CatArrayBatchedCopy_alignedK_contigINS1_10OpaqueTypeILj16EEEjLi1ELi64ELi64ELi16EEEvPT_NS1_25CatArrInputTensorMetadataIS5_T0_XT2_EXT3_EEENS1_16TensorSizeStrideIS8_Lj4EEEiS8_.uses_vcc, 1
	.set _ZN2at6native12_GLOBAL__N_135CatArrayBatchedCopy_alignedK_contigINS1_10OpaqueTypeILj16EEEjLi1ELi64ELi64ELi16EEEvPT_NS1_25CatArrInputTensorMetadataIS5_T0_XT2_EXT3_EEENS1_16TensorSizeStrideIS8_Lj4EEEiS8_.uses_flat_scratch, 0
	.set _ZN2at6native12_GLOBAL__N_135CatArrayBatchedCopy_alignedK_contigINS1_10OpaqueTypeILj16EEEjLi1ELi64ELi64ELi16EEEvPT_NS1_25CatArrInputTensorMetadataIS5_T0_XT2_EXT3_EEENS1_16TensorSizeStrideIS8_Lj4EEEiS8_.has_dyn_sized_stack, 0
	.set _ZN2at6native12_GLOBAL__N_135CatArrayBatchedCopy_alignedK_contigINS1_10OpaqueTypeILj16EEEjLi1ELi64ELi64ELi16EEEvPT_NS1_25CatArrInputTensorMetadataIS5_T0_XT2_EXT3_EEENS1_16TensorSizeStrideIS8_Lj4EEEiS8_.has_recursion, 0
	.set _ZN2at6native12_GLOBAL__N_135CatArrayBatchedCopy_alignedK_contigINS1_10OpaqueTypeILj16EEEjLi1ELi64ELi64ELi16EEEvPT_NS1_25CatArrInputTensorMetadataIS5_T0_XT2_EXT3_EEENS1_16TensorSizeStrideIS8_Lj4EEEiS8_.has_indirect_call, 0
	.section	.AMDGPU.csdata,"",@progbits
; Kernel info:
; codeLenInByte = 536
; TotalNumSgprs: 16
; NumVgprs: 12
; ScratchSize: 0
; MemoryBound: 0
; FloatMode: 240
; IeeeMode: 1
; LDSByteSize: 0 bytes/workgroup (compile time only)
; SGPRBlocks: 0
; VGPRBlocks: 1
; NumSGPRsForWavesPerEU: 16
; NumVGPRsForWavesPerEU: 12
; Occupancy: 16
; WaveLimiterHint : 1
; COMPUTE_PGM_RSRC2:SCRATCH_EN: 0
; COMPUTE_PGM_RSRC2:USER_SGPR: 6
; COMPUTE_PGM_RSRC2:TRAP_HANDLER: 0
; COMPUTE_PGM_RSRC2:TGID_X_EN: 1
; COMPUTE_PGM_RSRC2:TGID_Y_EN: 1
; COMPUTE_PGM_RSRC2:TGID_Z_EN: 0
; COMPUTE_PGM_RSRC2:TIDIG_COMP_CNT: 0
	.section	.text._ZN2at6native12_GLOBAL__N_135CatArrayBatchedCopy_alignedK_contigINS1_10OpaqueTypeILj16EEEjLi1ELi64ELi64ELi8EEEvPT_NS1_25CatArrInputTensorMetadataIS5_T0_XT2_EXT3_EEENS1_16TensorSizeStrideIS8_Lj4EEEiS8_,"axG",@progbits,_ZN2at6native12_GLOBAL__N_135CatArrayBatchedCopy_alignedK_contigINS1_10OpaqueTypeILj16EEEjLi1ELi64ELi64ELi8EEEvPT_NS1_25CatArrInputTensorMetadataIS5_T0_XT2_EXT3_EEENS1_16TensorSizeStrideIS8_Lj4EEEiS8_,comdat
	.globl	_ZN2at6native12_GLOBAL__N_135CatArrayBatchedCopy_alignedK_contigINS1_10OpaqueTypeILj16EEEjLi1ELi64ELi64ELi8EEEvPT_NS1_25CatArrInputTensorMetadataIS5_T0_XT2_EXT3_EEENS1_16TensorSizeStrideIS8_Lj4EEEiS8_ ; -- Begin function _ZN2at6native12_GLOBAL__N_135CatArrayBatchedCopy_alignedK_contigINS1_10OpaqueTypeILj16EEEjLi1ELi64ELi64ELi8EEEvPT_NS1_25CatArrInputTensorMetadataIS5_T0_XT2_EXT3_EEENS1_16TensorSizeStrideIS8_Lj4EEEiS8_
	.p2align	8
	.type	_ZN2at6native12_GLOBAL__N_135CatArrayBatchedCopy_alignedK_contigINS1_10OpaqueTypeILj16EEEjLi1ELi64ELi64ELi8EEEvPT_NS1_25CatArrInputTensorMetadataIS5_T0_XT2_EXT3_EEENS1_16TensorSizeStrideIS8_Lj4EEEiS8_,@function
_ZN2at6native12_GLOBAL__N_135CatArrayBatchedCopy_alignedK_contigINS1_10OpaqueTypeILj16EEEjLi1ELi64ELi64ELi8EEEvPT_NS1_25CatArrInputTensorMetadataIS5_T0_XT2_EXT3_EEENS1_16TensorSizeStrideIS8_Lj4EEEiS8_: ; @_ZN2at6native12_GLOBAL__N_135CatArrayBatchedCopy_alignedK_contigINS1_10OpaqueTypeILj16EEEjLi1ELi64ELi64ELi8EEEvPT_NS1_25CatArrInputTensorMetadataIS5_T0_XT2_EXT3_EEENS1_16TensorSizeStrideIS8_Lj4EEEiS8_
; %bb.0:
	s_mov_b32 s0, s7
	s_load_dword s7, s[4:5], 0xd7c
	s_mov_b32 s1, 0
	s_add_u32 s2, s4, 0xd70
	s_addc_u32 s3, s5, 0
	s_lshl_b64 s[8:9], s[0:1], 2
	s_mov_b32 s11, exec_lo
	s_waitcnt lgkmcnt(0)
	s_and_b32 s0, s7, 0xffff
	s_add_u32 s12, s4, s8
	s_addc_u32 s13, s5, s9
	v_mad_u64_u32 v[0:1], null, s6, s0, v[0:1]
	s_load_dword s10, s[12:13], 0x408
	s_add_u32 s6, s12, 8
	s_addc_u32 s7, s13, 0
	s_waitcnt lgkmcnt(0)
	v_cmpx_gt_u32_e64 s10, v0
	s_cbranch_execz .LBB182_6
; %bb.1:
	s_add_u32 s12, s6, s8
	s_addc_u32 s13, s7, s9
	s_sub_u32 s8, 0, s8
	s_clause 0x1
	s_load_dwordx2 s[6:7], s[12:13], 0x0
	s_load_dword s11, s[4:5], 0xd58
	s_subb_u32 s9, 0, s9
	s_add_u32 s8, s12, s8
	s_addc_u32 s9, s13, s9
	s_clause 0x1
	s_load_dword s12, s[4:5], 0xd6c
	s_load_dword s8, s[8:9], 0x200
	;; [unrolled: 1-line block ×3, first 2 shown]
	s_load_dwordx2 s[2:3], s[4:5], 0x0
	s_waitcnt lgkmcnt(0)
	v_mul_lo_u32 v1, s11, v0
	s_mul_i32 s4, s9, s0
	s_mul_i32 s5, s4, s11
	v_mad_u64_u32 v[2:3], null, s8, s12, v[1:2]
	v_mov_b32_e32 v1, 0
	.p2align	6
.LBB182_2:                              ; =>This Inner Loop Header: Depth=1
	v_lshlrev_b64 v[3:4], 4, v[0:1]
	v_add_nc_u32_e32 v0, s4, v0
	v_add_nc_u32_e32 v10, 1, v0
	v_add_co_u32 v3, vcc_lo, s6, v3
	v_add_co_ci_u32_e64 v4, null, s7, v4, vcc_lo
	v_cmp_lt_u32_e32 vcc_lo, s10, v10
	global_load_dwordx4 v[4:7], v[3:4], off
	v_mov_b32_e32 v3, v1
	s_or_b32 s1, vcc_lo, s1
	v_lshlrev_b64 v[8:9], 4, v[2:3]
	v_add_nc_u32_e32 v2, s5, v2
	v_add_co_u32 v8, s0, s2, v8
	v_add_co_ci_u32_e64 v9, null, s3, v9, s0
	s_waitcnt vmcnt(0)
	global_store_dwordx4 v[8:9], v[4:7], off
	s_andn2_b32 exec_lo, exec_lo, s1
	s_cbranch_execnz .LBB182_2
; %bb.3:
	s_or_b32 exec_lo, exec_lo, s1
	v_cmp_gt_u32_e32 vcc_lo, s10, v0
	s_and_b32 exec_lo, exec_lo, vcc_lo
	s_cbranch_execz .LBB182_6
; %bb.4:
	v_mov_b32_e32 v3, 0
	s_mov_b32 s1, 0
	v_mov_b32_e32 v1, v3
	v_lshlrev_b64 v[4:5], 4, v[0:1]
	v_add_co_u32 v4, vcc_lo, s6, v4
	v_add_co_ci_u32_e64 v5, null, s7, v5, vcc_lo
	.p2align	6
.LBB182_5:                              ; =>This Inner Loop Header: Depth=1
	global_load_dwordx4 v[6:9], v[4:5], off
	v_lshlrev_b64 v[10:11], 4, v[2:3]
	v_add_nc_u32_e32 v0, 1, v0
	v_add_co_u32 v4, vcc_lo, v4, 16
	v_add_co_ci_u32_e64 v5, null, 0, v5, vcc_lo
	v_cmp_le_u32_e32 vcc_lo, s10, v0
	v_add_co_u32 v10, s0, s2, v10
	v_add_co_ci_u32_e64 v11, null, s3, v11, s0
	v_add_nc_u32_e32 v2, s11, v2
	s_or_b32 s1, vcc_lo, s1
	s_waitcnt vmcnt(0)
	global_store_dwordx4 v[10:11], v[6:9], off
	s_andn2_b32 exec_lo, exec_lo, s1
	s_cbranch_execnz .LBB182_5
.LBB182_6:
	s_endpgm
	.section	.rodata,"a",@progbits
	.p2align	6, 0x0
	.amdhsa_kernel _ZN2at6native12_GLOBAL__N_135CatArrayBatchedCopy_alignedK_contigINS1_10OpaqueTypeILj16EEEjLi1ELi64ELi64ELi8EEEvPT_NS1_25CatArrInputTensorMetadataIS5_T0_XT2_EXT3_EEENS1_16TensorSizeStrideIS8_Lj4EEEiS8_
		.amdhsa_group_segment_fixed_size 0
		.amdhsa_private_segment_fixed_size 0
		.amdhsa_kernarg_size 3696
		.amdhsa_user_sgpr_count 6
		.amdhsa_user_sgpr_private_segment_buffer 1
		.amdhsa_user_sgpr_dispatch_ptr 0
		.amdhsa_user_sgpr_queue_ptr 0
		.amdhsa_user_sgpr_kernarg_segment_ptr 1
		.amdhsa_user_sgpr_dispatch_id 0
		.amdhsa_user_sgpr_flat_scratch_init 0
		.amdhsa_user_sgpr_private_segment_size 0
		.amdhsa_wavefront_size32 1
		.amdhsa_uses_dynamic_stack 0
		.amdhsa_system_sgpr_private_segment_wavefront_offset 0
		.amdhsa_system_sgpr_workgroup_id_x 1
		.amdhsa_system_sgpr_workgroup_id_y 1
		.amdhsa_system_sgpr_workgroup_id_z 0
		.amdhsa_system_sgpr_workgroup_info 0
		.amdhsa_system_vgpr_workitem_id 0
		.amdhsa_next_free_vgpr 12
		.amdhsa_next_free_sgpr 14
		.amdhsa_reserve_vcc 1
		.amdhsa_reserve_flat_scratch 0
		.amdhsa_float_round_mode_32 0
		.amdhsa_float_round_mode_16_64 0
		.amdhsa_float_denorm_mode_32 3
		.amdhsa_float_denorm_mode_16_64 3
		.amdhsa_dx10_clamp 1
		.amdhsa_ieee_mode 1
		.amdhsa_fp16_overflow 0
		.amdhsa_workgroup_processor_mode 1
		.amdhsa_memory_ordered 1
		.amdhsa_forward_progress 1
		.amdhsa_shared_vgpr_count 0
		.amdhsa_exception_fp_ieee_invalid_op 0
		.amdhsa_exception_fp_denorm_src 0
		.amdhsa_exception_fp_ieee_div_zero 0
		.amdhsa_exception_fp_ieee_overflow 0
		.amdhsa_exception_fp_ieee_underflow 0
		.amdhsa_exception_fp_ieee_inexact 0
		.amdhsa_exception_int_div_zero 0
	.end_amdhsa_kernel
	.section	.text._ZN2at6native12_GLOBAL__N_135CatArrayBatchedCopy_alignedK_contigINS1_10OpaqueTypeILj16EEEjLi1ELi64ELi64ELi8EEEvPT_NS1_25CatArrInputTensorMetadataIS5_T0_XT2_EXT3_EEENS1_16TensorSizeStrideIS8_Lj4EEEiS8_,"axG",@progbits,_ZN2at6native12_GLOBAL__N_135CatArrayBatchedCopy_alignedK_contigINS1_10OpaqueTypeILj16EEEjLi1ELi64ELi64ELi8EEEvPT_NS1_25CatArrInputTensorMetadataIS5_T0_XT2_EXT3_EEENS1_16TensorSizeStrideIS8_Lj4EEEiS8_,comdat
.Lfunc_end182:
	.size	_ZN2at6native12_GLOBAL__N_135CatArrayBatchedCopy_alignedK_contigINS1_10OpaqueTypeILj16EEEjLi1ELi64ELi64ELi8EEEvPT_NS1_25CatArrInputTensorMetadataIS5_T0_XT2_EXT3_EEENS1_16TensorSizeStrideIS8_Lj4EEEiS8_, .Lfunc_end182-_ZN2at6native12_GLOBAL__N_135CatArrayBatchedCopy_alignedK_contigINS1_10OpaqueTypeILj16EEEjLi1ELi64ELi64ELi8EEEvPT_NS1_25CatArrInputTensorMetadataIS5_T0_XT2_EXT3_EEENS1_16TensorSizeStrideIS8_Lj4EEEiS8_
                                        ; -- End function
	.set _ZN2at6native12_GLOBAL__N_135CatArrayBatchedCopy_alignedK_contigINS1_10OpaqueTypeILj16EEEjLi1ELi64ELi64ELi8EEEvPT_NS1_25CatArrInputTensorMetadataIS5_T0_XT2_EXT3_EEENS1_16TensorSizeStrideIS8_Lj4EEEiS8_.num_vgpr, 12
	.set _ZN2at6native12_GLOBAL__N_135CatArrayBatchedCopy_alignedK_contigINS1_10OpaqueTypeILj16EEEjLi1ELi64ELi64ELi8EEEvPT_NS1_25CatArrInputTensorMetadataIS5_T0_XT2_EXT3_EEENS1_16TensorSizeStrideIS8_Lj4EEEiS8_.num_agpr, 0
	.set _ZN2at6native12_GLOBAL__N_135CatArrayBatchedCopy_alignedK_contigINS1_10OpaqueTypeILj16EEEjLi1ELi64ELi64ELi8EEEvPT_NS1_25CatArrInputTensorMetadataIS5_T0_XT2_EXT3_EEENS1_16TensorSizeStrideIS8_Lj4EEEiS8_.numbered_sgpr, 14
	.set _ZN2at6native12_GLOBAL__N_135CatArrayBatchedCopy_alignedK_contigINS1_10OpaqueTypeILj16EEEjLi1ELi64ELi64ELi8EEEvPT_NS1_25CatArrInputTensorMetadataIS5_T0_XT2_EXT3_EEENS1_16TensorSizeStrideIS8_Lj4EEEiS8_.num_named_barrier, 0
	.set _ZN2at6native12_GLOBAL__N_135CatArrayBatchedCopy_alignedK_contigINS1_10OpaqueTypeILj16EEEjLi1ELi64ELi64ELi8EEEvPT_NS1_25CatArrInputTensorMetadataIS5_T0_XT2_EXT3_EEENS1_16TensorSizeStrideIS8_Lj4EEEiS8_.private_seg_size, 0
	.set _ZN2at6native12_GLOBAL__N_135CatArrayBatchedCopy_alignedK_contigINS1_10OpaqueTypeILj16EEEjLi1ELi64ELi64ELi8EEEvPT_NS1_25CatArrInputTensorMetadataIS5_T0_XT2_EXT3_EEENS1_16TensorSizeStrideIS8_Lj4EEEiS8_.uses_vcc, 1
	.set _ZN2at6native12_GLOBAL__N_135CatArrayBatchedCopy_alignedK_contigINS1_10OpaqueTypeILj16EEEjLi1ELi64ELi64ELi8EEEvPT_NS1_25CatArrInputTensorMetadataIS5_T0_XT2_EXT3_EEENS1_16TensorSizeStrideIS8_Lj4EEEiS8_.uses_flat_scratch, 0
	.set _ZN2at6native12_GLOBAL__N_135CatArrayBatchedCopy_alignedK_contigINS1_10OpaqueTypeILj16EEEjLi1ELi64ELi64ELi8EEEvPT_NS1_25CatArrInputTensorMetadataIS5_T0_XT2_EXT3_EEENS1_16TensorSizeStrideIS8_Lj4EEEiS8_.has_dyn_sized_stack, 0
	.set _ZN2at6native12_GLOBAL__N_135CatArrayBatchedCopy_alignedK_contigINS1_10OpaqueTypeILj16EEEjLi1ELi64ELi64ELi8EEEvPT_NS1_25CatArrInputTensorMetadataIS5_T0_XT2_EXT3_EEENS1_16TensorSizeStrideIS8_Lj4EEEiS8_.has_recursion, 0
	.set _ZN2at6native12_GLOBAL__N_135CatArrayBatchedCopy_alignedK_contigINS1_10OpaqueTypeILj16EEEjLi1ELi64ELi64ELi8EEEvPT_NS1_25CatArrInputTensorMetadataIS5_T0_XT2_EXT3_EEENS1_16TensorSizeStrideIS8_Lj4EEEiS8_.has_indirect_call, 0
	.section	.AMDGPU.csdata,"",@progbits
; Kernel info:
; codeLenInByte = 536
; TotalNumSgprs: 16
; NumVgprs: 12
; ScratchSize: 0
; MemoryBound: 0
; FloatMode: 240
; IeeeMode: 1
; LDSByteSize: 0 bytes/workgroup (compile time only)
; SGPRBlocks: 0
; VGPRBlocks: 1
; NumSGPRsForWavesPerEU: 16
; NumVGPRsForWavesPerEU: 12
; Occupancy: 16
; WaveLimiterHint : 1
; COMPUTE_PGM_RSRC2:SCRATCH_EN: 0
; COMPUTE_PGM_RSRC2:USER_SGPR: 6
; COMPUTE_PGM_RSRC2:TRAP_HANDLER: 0
; COMPUTE_PGM_RSRC2:TGID_X_EN: 1
; COMPUTE_PGM_RSRC2:TGID_Y_EN: 1
; COMPUTE_PGM_RSRC2:TGID_Z_EN: 0
; COMPUTE_PGM_RSRC2:TIDIG_COMP_CNT: 0
	.section	.text._ZN2at6native12_GLOBAL__N_126CatArrayBatchedCopy_contigINS1_10OpaqueTypeILj16EEEjLi1ELi64ELi64EEEvPT_NS1_25CatArrInputTensorMetadataIS5_T0_XT2_EXT3_EEENS1_16TensorSizeStrideIS8_Lj4EEEiS8_,"axG",@progbits,_ZN2at6native12_GLOBAL__N_126CatArrayBatchedCopy_contigINS1_10OpaqueTypeILj16EEEjLi1ELi64ELi64EEEvPT_NS1_25CatArrInputTensorMetadataIS5_T0_XT2_EXT3_EEENS1_16TensorSizeStrideIS8_Lj4EEEiS8_,comdat
	.globl	_ZN2at6native12_GLOBAL__N_126CatArrayBatchedCopy_contigINS1_10OpaqueTypeILj16EEEjLi1ELi64ELi64EEEvPT_NS1_25CatArrInputTensorMetadataIS5_T0_XT2_EXT3_EEENS1_16TensorSizeStrideIS8_Lj4EEEiS8_ ; -- Begin function _ZN2at6native12_GLOBAL__N_126CatArrayBatchedCopy_contigINS1_10OpaqueTypeILj16EEEjLi1ELi64ELi64EEEvPT_NS1_25CatArrInputTensorMetadataIS5_T0_XT2_EXT3_EEENS1_16TensorSizeStrideIS8_Lj4EEEiS8_
	.p2align	8
	.type	_ZN2at6native12_GLOBAL__N_126CatArrayBatchedCopy_contigINS1_10OpaqueTypeILj16EEEjLi1ELi64ELi64EEEvPT_NS1_25CatArrInputTensorMetadataIS5_T0_XT2_EXT3_EEENS1_16TensorSizeStrideIS8_Lj4EEEiS8_,@function
_ZN2at6native12_GLOBAL__N_126CatArrayBatchedCopy_contigINS1_10OpaqueTypeILj16EEEjLi1ELi64ELi64EEEvPT_NS1_25CatArrInputTensorMetadataIS5_T0_XT2_EXT3_EEENS1_16TensorSizeStrideIS8_Lj4EEEiS8_: ; @_ZN2at6native12_GLOBAL__N_126CatArrayBatchedCopy_contigINS1_10OpaqueTypeILj16EEEjLi1ELi64ELi64EEEvPT_NS1_25CatArrInputTensorMetadataIS5_T0_XT2_EXT3_EEENS1_16TensorSizeStrideIS8_Lj4EEEiS8_
; %bb.0:
	s_load_dword s2, s[4:5], 0xd7c
	s_mov_b32 s0, s7
	s_mov_b32 s1, 0
	s_add_u32 s8, s4, 0xd70
	s_addc_u32 s9, s5, 0
	s_lshl_b64 s[10:11], s[0:1], 2
	s_waitcnt lgkmcnt(0)
	s_and_b32 s0, s2, 0xffff
	s_add_u32 s2, s4, s10
	s_addc_u32 s3, s5, s11
	v_mad_u64_u32 v[0:1], null, s6, s0, v[0:1]
	s_load_dword s7, s[2:3], 0x408
	s_add_u32 s2, s2, 8
	s_addc_u32 s3, s3, 0
	s_mov_b32 s6, exec_lo
	s_waitcnt lgkmcnt(0)
	v_cmpx_gt_u32_e64 s7, v0
	s_cbranch_execz .LBB183_3
; %bb.1:
	s_add_u32 s12, s2, s10
	s_addc_u32 s13, s3, s11
	s_sub_u32 s6, 0, s10
	s_clause 0x1
	s_load_dwordx2 s[2:3], s[12:13], 0x0
	s_load_dword s14, s[4:5], 0xd58
	s_subb_u32 s11, 0, s11
	s_add_u32 s10, s12, s6
	s_addc_u32 s11, s13, s11
	s_clause 0x1
	s_load_dword s6, s[4:5], 0xd6c
	s_load_dword s10, s[10:11], 0x200
	s_load_dword s8, s[8:9], 0x0
	s_load_dwordx2 s[4:5], s[4:5], 0x0
	s_waitcnt lgkmcnt(0)
	v_mul_lo_u32 v1, s14, v0
	v_mad_u64_u32 v[2:3], null, s10, s6, v[1:2]
	v_mov_b32_e32 v1, 0
	s_mul_i32 s6, s8, s0
	s_mul_i32 s8, s6, s14
	.p2align	6
.LBB183_2:                              ; =>This Inner Loop Header: Depth=1
	v_lshlrev_b64 v[3:4], 4, v[0:1]
	v_add_nc_u32_e32 v0, s6, v0
	v_add_co_u32 v3, vcc_lo, s2, v3
	v_add_co_ci_u32_e64 v4, null, s3, v4, vcc_lo
	v_cmp_le_u32_e32 vcc_lo, s7, v0
	global_load_dwordx4 v[4:7], v[3:4], off
	v_mov_b32_e32 v3, v1
	s_or_b32 s1, vcc_lo, s1
	v_lshlrev_b64 v[8:9], 4, v[2:3]
	v_add_nc_u32_e32 v2, s8, v2
	v_add_co_u32 v8, s0, s4, v8
	v_add_co_ci_u32_e64 v9, null, s5, v9, s0
	s_waitcnt vmcnt(0)
	global_store_dwordx4 v[8:9], v[4:7], off
	s_andn2_b32 exec_lo, exec_lo, s1
	s_cbranch_execnz .LBB183_2
.LBB183_3:
	s_endpgm
	.section	.rodata,"a",@progbits
	.p2align	6, 0x0
	.amdhsa_kernel _ZN2at6native12_GLOBAL__N_126CatArrayBatchedCopy_contigINS1_10OpaqueTypeILj16EEEjLi1ELi64ELi64EEEvPT_NS1_25CatArrInputTensorMetadataIS5_T0_XT2_EXT3_EEENS1_16TensorSizeStrideIS8_Lj4EEEiS8_
		.amdhsa_group_segment_fixed_size 0
		.amdhsa_private_segment_fixed_size 0
		.amdhsa_kernarg_size 3696
		.amdhsa_user_sgpr_count 6
		.amdhsa_user_sgpr_private_segment_buffer 1
		.amdhsa_user_sgpr_dispatch_ptr 0
		.amdhsa_user_sgpr_queue_ptr 0
		.amdhsa_user_sgpr_kernarg_segment_ptr 1
		.amdhsa_user_sgpr_dispatch_id 0
		.amdhsa_user_sgpr_flat_scratch_init 0
		.amdhsa_user_sgpr_private_segment_size 0
		.amdhsa_wavefront_size32 1
		.amdhsa_uses_dynamic_stack 0
		.amdhsa_system_sgpr_private_segment_wavefront_offset 0
		.amdhsa_system_sgpr_workgroup_id_x 1
		.amdhsa_system_sgpr_workgroup_id_y 1
		.amdhsa_system_sgpr_workgroup_id_z 0
		.amdhsa_system_sgpr_workgroup_info 0
		.amdhsa_system_vgpr_workitem_id 0
		.amdhsa_next_free_vgpr 10
		.amdhsa_next_free_sgpr 15
		.amdhsa_reserve_vcc 1
		.amdhsa_reserve_flat_scratch 0
		.amdhsa_float_round_mode_32 0
		.amdhsa_float_round_mode_16_64 0
		.amdhsa_float_denorm_mode_32 3
		.amdhsa_float_denorm_mode_16_64 3
		.amdhsa_dx10_clamp 1
		.amdhsa_ieee_mode 1
		.amdhsa_fp16_overflow 0
		.amdhsa_workgroup_processor_mode 1
		.amdhsa_memory_ordered 1
		.amdhsa_forward_progress 1
		.amdhsa_shared_vgpr_count 0
		.amdhsa_exception_fp_ieee_invalid_op 0
		.amdhsa_exception_fp_denorm_src 0
		.amdhsa_exception_fp_ieee_div_zero 0
		.amdhsa_exception_fp_ieee_overflow 0
		.amdhsa_exception_fp_ieee_underflow 0
		.amdhsa_exception_fp_ieee_inexact 0
		.amdhsa_exception_int_div_zero 0
	.end_amdhsa_kernel
	.section	.text._ZN2at6native12_GLOBAL__N_126CatArrayBatchedCopy_contigINS1_10OpaqueTypeILj16EEEjLi1ELi64ELi64EEEvPT_NS1_25CatArrInputTensorMetadataIS5_T0_XT2_EXT3_EEENS1_16TensorSizeStrideIS8_Lj4EEEiS8_,"axG",@progbits,_ZN2at6native12_GLOBAL__N_126CatArrayBatchedCopy_contigINS1_10OpaqueTypeILj16EEEjLi1ELi64ELi64EEEvPT_NS1_25CatArrInputTensorMetadataIS5_T0_XT2_EXT3_EEENS1_16TensorSizeStrideIS8_Lj4EEEiS8_,comdat
.Lfunc_end183:
	.size	_ZN2at6native12_GLOBAL__N_126CatArrayBatchedCopy_contigINS1_10OpaqueTypeILj16EEEjLi1ELi64ELi64EEEvPT_NS1_25CatArrInputTensorMetadataIS5_T0_XT2_EXT3_EEENS1_16TensorSizeStrideIS8_Lj4EEEiS8_, .Lfunc_end183-_ZN2at6native12_GLOBAL__N_126CatArrayBatchedCopy_contigINS1_10OpaqueTypeILj16EEEjLi1ELi64ELi64EEEvPT_NS1_25CatArrInputTensorMetadataIS5_T0_XT2_EXT3_EEENS1_16TensorSizeStrideIS8_Lj4EEEiS8_
                                        ; -- End function
	.set _ZN2at6native12_GLOBAL__N_126CatArrayBatchedCopy_contigINS1_10OpaqueTypeILj16EEEjLi1ELi64ELi64EEEvPT_NS1_25CatArrInputTensorMetadataIS5_T0_XT2_EXT3_EEENS1_16TensorSizeStrideIS8_Lj4EEEiS8_.num_vgpr, 10
	.set _ZN2at6native12_GLOBAL__N_126CatArrayBatchedCopy_contigINS1_10OpaqueTypeILj16EEEjLi1ELi64ELi64EEEvPT_NS1_25CatArrInputTensorMetadataIS5_T0_XT2_EXT3_EEENS1_16TensorSizeStrideIS8_Lj4EEEiS8_.num_agpr, 0
	.set _ZN2at6native12_GLOBAL__N_126CatArrayBatchedCopy_contigINS1_10OpaqueTypeILj16EEEjLi1ELi64ELi64EEEvPT_NS1_25CatArrInputTensorMetadataIS5_T0_XT2_EXT3_EEENS1_16TensorSizeStrideIS8_Lj4EEEiS8_.numbered_sgpr, 15
	.set _ZN2at6native12_GLOBAL__N_126CatArrayBatchedCopy_contigINS1_10OpaqueTypeILj16EEEjLi1ELi64ELi64EEEvPT_NS1_25CatArrInputTensorMetadataIS5_T0_XT2_EXT3_EEENS1_16TensorSizeStrideIS8_Lj4EEEiS8_.num_named_barrier, 0
	.set _ZN2at6native12_GLOBAL__N_126CatArrayBatchedCopy_contigINS1_10OpaqueTypeILj16EEEjLi1ELi64ELi64EEEvPT_NS1_25CatArrInputTensorMetadataIS5_T0_XT2_EXT3_EEENS1_16TensorSizeStrideIS8_Lj4EEEiS8_.private_seg_size, 0
	.set _ZN2at6native12_GLOBAL__N_126CatArrayBatchedCopy_contigINS1_10OpaqueTypeILj16EEEjLi1ELi64ELi64EEEvPT_NS1_25CatArrInputTensorMetadataIS5_T0_XT2_EXT3_EEENS1_16TensorSizeStrideIS8_Lj4EEEiS8_.uses_vcc, 1
	.set _ZN2at6native12_GLOBAL__N_126CatArrayBatchedCopy_contigINS1_10OpaqueTypeILj16EEEjLi1ELi64ELi64EEEvPT_NS1_25CatArrInputTensorMetadataIS5_T0_XT2_EXT3_EEENS1_16TensorSizeStrideIS8_Lj4EEEiS8_.uses_flat_scratch, 0
	.set _ZN2at6native12_GLOBAL__N_126CatArrayBatchedCopy_contigINS1_10OpaqueTypeILj16EEEjLi1ELi64ELi64EEEvPT_NS1_25CatArrInputTensorMetadataIS5_T0_XT2_EXT3_EEENS1_16TensorSizeStrideIS8_Lj4EEEiS8_.has_dyn_sized_stack, 0
	.set _ZN2at6native12_GLOBAL__N_126CatArrayBatchedCopy_contigINS1_10OpaqueTypeILj16EEEjLi1ELi64ELi64EEEvPT_NS1_25CatArrInputTensorMetadataIS5_T0_XT2_EXT3_EEENS1_16TensorSizeStrideIS8_Lj4EEEiS8_.has_recursion, 0
	.set _ZN2at6native12_GLOBAL__N_126CatArrayBatchedCopy_contigINS1_10OpaqueTypeILj16EEEjLi1ELi64ELi64EEEvPT_NS1_25CatArrInputTensorMetadataIS5_T0_XT2_EXT3_EEENS1_16TensorSizeStrideIS8_Lj4EEEiS8_.has_indirect_call, 0
	.section	.AMDGPU.csdata,"",@progbits
; Kernel info:
; codeLenInByte = 356
; TotalNumSgprs: 17
; NumVgprs: 10
; ScratchSize: 0
; MemoryBound: 0
; FloatMode: 240
; IeeeMode: 1
; LDSByteSize: 0 bytes/workgroup (compile time only)
; SGPRBlocks: 0
; VGPRBlocks: 1
; NumSGPRsForWavesPerEU: 17
; NumVGPRsForWavesPerEU: 10
; Occupancy: 16
; WaveLimiterHint : 1
; COMPUTE_PGM_RSRC2:SCRATCH_EN: 0
; COMPUTE_PGM_RSRC2:USER_SGPR: 6
; COMPUTE_PGM_RSRC2:TRAP_HANDLER: 0
; COMPUTE_PGM_RSRC2:TGID_X_EN: 1
; COMPUTE_PGM_RSRC2:TGID_Y_EN: 1
; COMPUTE_PGM_RSRC2:TGID_Z_EN: 0
; COMPUTE_PGM_RSRC2:TIDIG_COMP_CNT: 0
	.section	.text._ZN2at6native12_GLOBAL__N_119CatArrayBatchedCopyINS1_10OpaqueTypeILj16EEEjLi1ELi64ELi64EEEvPT_NS1_25CatArrInputTensorMetadataIS5_T0_XT2_EXT3_EEENS1_16TensorSizeStrideIS8_Lj4EEEiS8_,"axG",@progbits,_ZN2at6native12_GLOBAL__N_119CatArrayBatchedCopyINS1_10OpaqueTypeILj16EEEjLi1ELi64ELi64EEEvPT_NS1_25CatArrInputTensorMetadataIS5_T0_XT2_EXT3_EEENS1_16TensorSizeStrideIS8_Lj4EEEiS8_,comdat
	.globl	_ZN2at6native12_GLOBAL__N_119CatArrayBatchedCopyINS1_10OpaqueTypeILj16EEEjLi1ELi64ELi64EEEvPT_NS1_25CatArrInputTensorMetadataIS5_T0_XT2_EXT3_EEENS1_16TensorSizeStrideIS8_Lj4EEEiS8_ ; -- Begin function _ZN2at6native12_GLOBAL__N_119CatArrayBatchedCopyINS1_10OpaqueTypeILj16EEEjLi1ELi64ELi64EEEvPT_NS1_25CatArrInputTensorMetadataIS5_T0_XT2_EXT3_EEENS1_16TensorSizeStrideIS8_Lj4EEEiS8_
	.p2align	8
	.type	_ZN2at6native12_GLOBAL__N_119CatArrayBatchedCopyINS1_10OpaqueTypeILj16EEEjLi1ELi64ELi64EEEvPT_NS1_25CatArrInputTensorMetadataIS5_T0_XT2_EXT3_EEENS1_16TensorSizeStrideIS8_Lj4EEEiS8_,@function
_ZN2at6native12_GLOBAL__N_119CatArrayBatchedCopyINS1_10OpaqueTypeILj16EEEjLi1ELi64ELi64EEEvPT_NS1_25CatArrInputTensorMetadataIS5_T0_XT2_EXT3_EEENS1_16TensorSizeStrideIS8_Lj4EEEiS8_: ; @_ZN2at6native12_GLOBAL__N_119CatArrayBatchedCopyINS1_10OpaqueTypeILj16EEEjLi1ELi64ELi64EEEvPT_NS1_25CatArrInputTensorMetadataIS5_T0_XT2_EXT3_EEENS1_16TensorSizeStrideIS8_Lj4EEEiS8_
; %bb.0:
	s_mov_b32 s0, s7
	s_load_dword s7, s[4:5], 0xd7c
	s_or_b32 s13, s4, 8
	s_mov_b32 s1, 0
	s_add_u32 s2, s4, 0xd70
	s_addc_u32 s3, s5, 0
	s_lshl_b64 s[8:9], s[0:1], 2
	s_mov_b32 s14, exec_lo
	s_waitcnt lgkmcnt(0)
	s_and_b32 s12, s7, 0xffff
	s_add_u32 s10, s13, s8
	s_addc_u32 s11, s5, s9
	v_mad_u64_u32 v[0:1], null, s6, s12, v[0:1]
	s_load_dword s7, s[10:11], 0x400
	s_waitcnt lgkmcnt(0)
	v_cmpx_gt_u32_e64 s7, v0
	s_cbranch_execz .LBB184_3
; %bb.1:
	s_mul_i32 s14, s0, 28
	s_mul_hi_u32 s15, s0, 28
	s_add_u32 s10, s10, s14
	v_mov_b32_e32 v2, 0
	s_addc_u32 s11, s11, s15
	s_add_u32 s14, s13, s0
	s_addc_u32 s15, s5, 0
	s_mul_i32 s13, s0, 7
	global_load_ubyte v1, v2, s[14:15] offset:1280
	s_clause 0x1
	s_load_dword s16, s[10:11], 0x550
	s_load_dword s17, s[4:5], 0xd58
	s_mul_hi_u32 s0, s0, 7
	s_waitcnt lgkmcnt(0)
	v_mul_lo_u32 v3, s17, v0
	s_waitcnt vmcnt(0)
	v_readfirstlane_b32 s6, v1
	s_and_b32 s6, 1, s6
	s_add_u32 s10, s14, s13
	s_addc_u32 s11, s15, s0
	s_sub_u32 s0, 0, s8
	s_subb_u32 s9, 0, s9
	s_add_u32 s8, s10, s0
	s_addc_u32 s9, s11, s9
	s_clause 0x1
	s_load_dword s0, s[4:5], 0xd6c
	s_load_dword s8, s[8:9], 0x200
	;; [unrolled: 1-line block ×3, first 2 shown]
	s_clause 0x1
	s_load_dwordx2 s[2:3], s[4:5], 0x0
	s_load_dwordx2 s[4:5], s[10:11], 0x0
	s_cmp_eq_u32 s6, 1
	s_cselect_b32 s10, 1, s16
	v_mul_lo_u32 v1, s10, v0
	s_waitcnt lgkmcnt(0)
	v_mad_u64_u32 v[3:4], null, s8, s0, v[3:4]
	s_mul_i32 s6, s9, s12
	s_mul_i32 s8, s6, s10
	;; [unrolled: 1-line block ×3, first 2 shown]
	.p2align	6
.LBB184_2:                              ; =>This Inner Loop Header: Depth=1
	v_lshlrev_b64 v[4:5], 4, v[1:2]
	v_add_nc_u32_e32 v0, s6, v0
	v_add_nc_u32_e32 v1, s8, v1
	v_add_co_u32 v4, vcc_lo, s4, v4
	v_add_co_ci_u32_e64 v5, null, s5, v5, vcc_lo
	v_cmp_le_u32_e32 vcc_lo, s7, v0
	global_load_dwordx4 v[5:8], v[4:5], off
	v_mov_b32_e32 v4, v2
	s_or_b32 s1, vcc_lo, s1
	v_lshlrev_b64 v[9:10], 4, v[3:4]
	v_add_nc_u32_e32 v3, s9, v3
	v_add_co_u32 v9, s0, s2, v9
	v_add_co_ci_u32_e64 v10, null, s3, v10, s0
	s_waitcnt vmcnt(0)
	global_store_dwordx4 v[9:10], v[5:8], off
	s_andn2_b32 exec_lo, exec_lo, s1
	s_cbranch_execnz .LBB184_2
.LBB184_3:
	s_endpgm
	.section	.rodata,"a",@progbits
	.p2align	6, 0x0
	.amdhsa_kernel _ZN2at6native12_GLOBAL__N_119CatArrayBatchedCopyINS1_10OpaqueTypeILj16EEEjLi1ELi64ELi64EEEvPT_NS1_25CatArrInputTensorMetadataIS5_T0_XT2_EXT3_EEENS1_16TensorSizeStrideIS8_Lj4EEEiS8_
		.amdhsa_group_segment_fixed_size 0
		.amdhsa_private_segment_fixed_size 0
		.amdhsa_kernarg_size 3696
		.amdhsa_user_sgpr_count 6
		.amdhsa_user_sgpr_private_segment_buffer 1
		.amdhsa_user_sgpr_dispatch_ptr 0
		.amdhsa_user_sgpr_queue_ptr 0
		.amdhsa_user_sgpr_kernarg_segment_ptr 1
		.amdhsa_user_sgpr_dispatch_id 0
		.amdhsa_user_sgpr_flat_scratch_init 0
		.amdhsa_user_sgpr_private_segment_size 0
		.amdhsa_wavefront_size32 1
		.amdhsa_uses_dynamic_stack 0
		.amdhsa_system_sgpr_private_segment_wavefront_offset 0
		.amdhsa_system_sgpr_workgroup_id_x 1
		.amdhsa_system_sgpr_workgroup_id_y 1
		.amdhsa_system_sgpr_workgroup_id_z 0
		.amdhsa_system_sgpr_workgroup_info 0
		.amdhsa_system_vgpr_workitem_id 0
		.amdhsa_next_free_vgpr 11
		.amdhsa_next_free_sgpr 18
		.amdhsa_reserve_vcc 1
		.amdhsa_reserve_flat_scratch 0
		.amdhsa_float_round_mode_32 0
		.amdhsa_float_round_mode_16_64 0
		.amdhsa_float_denorm_mode_32 3
		.amdhsa_float_denorm_mode_16_64 3
		.amdhsa_dx10_clamp 1
		.amdhsa_ieee_mode 1
		.amdhsa_fp16_overflow 0
		.amdhsa_workgroup_processor_mode 1
		.amdhsa_memory_ordered 1
		.amdhsa_forward_progress 1
		.amdhsa_shared_vgpr_count 0
		.amdhsa_exception_fp_ieee_invalid_op 0
		.amdhsa_exception_fp_denorm_src 0
		.amdhsa_exception_fp_ieee_div_zero 0
		.amdhsa_exception_fp_ieee_overflow 0
		.amdhsa_exception_fp_ieee_underflow 0
		.amdhsa_exception_fp_ieee_inexact 0
		.amdhsa_exception_int_div_zero 0
	.end_amdhsa_kernel
	.section	.text._ZN2at6native12_GLOBAL__N_119CatArrayBatchedCopyINS1_10OpaqueTypeILj16EEEjLi1ELi64ELi64EEEvPT_NS1_25CatArrInputTensorMetadataIS5_T0_XT2_EXT3_EEENS1_16TensorSizeStrideIS8_Lj4EEEiS8_,"axG",@progbits,_ZN2at6native12_GLOBAL__N_119CatArrayBatchedCopyINS1_10OpaqueTypeILj16EEEjLi1ELi64ELi64EEEvPT_NS1_25CatArrInputTensorMetadataIS5_T0_XT2_EXT3_EEENS1_16TensorSizeStrideIS8_Lj4EEEiS8_,comdat
.Lfunc_end184:
	.size	_ZN2at6native12_GLOBAL__N_119CatArrayBatchedCopyINS1_10OpaqueTypeILj16EEEjLi1ELi64ELi64EEEvPT_NS1_25CatArrInputTensorMetadataIS5_T0_XT2_EXT3_EEENS1_16TensorSizeStrideIS8_Lj4EEEiS8_, .Lfunc_end184-_ZN2at6native12_GLOBAL__N_119CatArrayBatchedCopyINS1_10OpaqueTypeILj16EEEjLi1ELi64ELi64EEEvPT_NS1_25CatArrInputTensorMetadataIS5_T0_XT2_EXT3_EEENS1_16TensorSizeStrideIS8_Lj4EEEiS8_
                                        ; -- End function
	.set _ZN2at6native12_GLOBAL__N_119CatArrayBatchedCopyINS1_10OpaqueTypeILj16EEEjLi1ELi64ELi64EEEvPT_NS1_25CatArrInputTensorMetadataIS5_T0_XT2_EXT3_EEENS1_16TensorSizeStrideIS8_Lj4EEEiS8_.num_vgpr, 11
	.set _ZN2at6native12_GLOBAL__N_119CatArrayBatchedCopyINS1_10OpaqueTypeILj16EEEjLi1ELi64ELi64EEEvPT_NS1_25CatArrInputTensorMetadataIS5_T0_XT2_EXT3_EEENS1_16TensorSizeStrideIS8_Lj4EEEiS8_.num_agpr, 0
	.set _ZN2at6native12_GLOBAL__N_119CatArrayBatchedCopyINS1_10OpaqueTypeILj16EEEjLi1ELi64ELi64EEEvPT_NS1_25CatArrInputTensorMetadataIS5_T0_XT2_EXT3_EEENS1_16TensorSizeStrideIS8_Lj4EEEiS8_.numbered_sgpr, 18
	.set _ZN2at6native12_GLOBAL__N_119CatArrayBatchedCopyINS1_10OpaqueTypeILj16EEEjLi1ELi64ELi64EEEvPT_NS1_25CatArrInputTensorMetadataIS5_T0_XT2_EXT3_EEENS1_16TensorSizeStrideIS8_Lj4EEEiS8_.num_named_barrier, 0
	.set _ZN2at6native12_GLOBAL__N_119CatArrayBatchedCopyINS1_10OpaqueTypeILj16EEEjLi1ELi64ELi64EEEvPT_NS1_25CatArrInputTensorMetadataIS5_T0_XT2_EXT3_EEENS1_16TensorSizeStrideIS8_Lj4EEEiS8_.private_seg_size, 0
	.set _ZN2at6native12_GLOBAL__N_119CatArrayBatchedCopyINS1_10OpaqueTypeILj16EEEjLi1ELi64ELi64EEEvPT_NS1_25CatArrInputTensorMetadataIS5_T0_XT2_EXT3_EEENS1_16TensorSizeStrideIS8_Lj4EEEiS8_.uses_vcc, 1
	.set _ZN2at6native12_GLOBAL__N_119CatArrayBatchedCopyINS1_10OpaqueTypeILj16EEEjLi1ELi64ELi64EEEvPT_NS1_25CatArrInputTensorMetadataIS5_T0_XT2_EXT3_EEENS1_16TensorSizeStrideIS8_Lj4EEEiS8_.uses_flat_scratch, 0
	.set _ZN2at6native12_GLOBAL__N_119CatArrayBatchedCopyINS1_10OpaqueTypeILj16EEEjLi1ELi64ELi64EEEvPT_NS1_25CatArrInputTensorMetadataIS5_T0_XT2_EXT3_EEENS1_16TensorSizeStrideIS8_Lj4EEEiS8_.has_dyn_sized_stack, 0
	.set _ZN2at6native12_GLOBAL__N_119CatArrayBatchedCopyINS1_10OpaqueTypeILj16EEEjLi1ELi64ELi64EEEvPT_NS1_25CatArrInputTensorMetadataIS5_T0_XT2_EXT3_EEENS1_16TensorSizeStrideIS8_Lj4EEEiS8_.has_recursion, 0
	.set _ZN2at6native12_GLOBAL__N_119CatArrayBatchedCopyINS1_10OpaqueTypeILj16EEEjLi1ELi64ELi64EEEvPT_NS1_25CatArrInputTensorMetadataIS5_T0_XT2_EXT3_EEENS1_16TensorSizeStrideIS8_Lj4EEEiS8_.has_indirect_call, 0
	.section	.AMDGPU.csdata,"",@progbits
; Kernel info:
; codeLenInByte = 424
; TotalNumSgprs: 20
; NumVgprs: 11
; ScratchSize: 0
; MemoryBound: 0
; FloatMode: 240
; IeeeMode: 1
; LDSByteSize: 0 bytes/workgroup (compile time only)
; SGPRBlocks: 0
; VGPRBlocks: 1
; NumSGPRsForWavesPerEU: 20
; NumVGPRsForWavesPerEU: 11
; Occupancy: 16
; WaveLimiterHint : 1
; COMPUTE_PGM_RSRC2:SCRATCH_EN: 0
; COMPUTE_PGM_RSRC2:USER_SGPR: 6
; COMPUTE_PGM_RSRC2:TRAP_HANDLER: 0
; COMPUTE_PGM_RSRC2:TGID_X_EN: 1
; COMPUTE_PGM_RSRC2:TGID_Y_EN: 1
; COMPUTE_PGM_RSRC2:TGID_Z_EN: 0
; COMPUTE_PGM_RSRC2:TIDIG_COMP_CNT: 0
	.section	.text._ZN2at6native12_GLOBAL__N_130CatArrayBatchedCopy_vectorizedINS1_10OpaqueTypeILj16EEEjLi2ELi64ELi64ELi16ELi1EEEvPcNS1_25CatArrInputTensorMetadataIT_T0_XT2_EXT3_EEENS1_16TensorSizeStrideIS8_Lj4EEEiS8_,"axG",@progbits,_ZN2at6native12_GLOBAL__N_130CatArrayBatchedCopy_vectorizedINS1_10OpaqueTypeILj16EEEjLi2ELi64ELi64ELi16ELi1EEEvPcNS1_25CatArrInputTensorMetadataIT_T0_XT2_EXT3_EEENS1_16TensorSizeStrideIS8_Lj4EEEiS8_,comdat
	.globl	_ZN2at6native12_GLOBAL__N_130CatArrayBatchedCopy_vectorizedINS1_10OpaqueTypeILj16EEEjLi2ELi64ELi64ELi16ELi1EEEvPcNS1_25CatArrInputTensorMetadataIT_T0_XT2_EXT3_EEENS1_16TensorSizeStrideIS8_Lj4EEEiS8_ ; -- Begin function _ZN2at6native12_GLOBAL__N_130CatArrayBatchedCopy_vectorizedINS1_10OpaqueTypeILj16EEEjLi2ELi64ELi64ELi16ELi1EEEvPcNS1_25CatArrInputTensorMetadataIT_T0_XT2_EXT3_EEENS1_16TensorSizeStrideIS8_Lj4EEEiS8_
	.p2align	8
	.type	_ZN2at6native12_GLOBAL__N_130CatArrayBatchedCopy_vectorizedINS1_10OpaqueTypeILj16EEEjLi2ELi64ELi64ELi16ELi1EEEvPcNS1_25CatArrInputTensorMetadataIT_T0_XT2_EXT3_EEENS1_16TensorSizeStrideIS8_Lj4EEEiS8_,@function
_ZN2at6native12_GLOBAL__N_130CatArrayBatchedCopy_vectorizedINS1_10OpaqueTypeILj16EEEjLi2ELi64ELi64ELi16ELi1EEEvPcNS1_25CatArrInputTensorMetadataIT_T0_XT2_EXT3_EEENS1_16TensorSizeStrideIS8_Lj4EEEiS8_: ; @_ZN2at6native12_GLOBAL__N_130CatArrayBatchedCopy_vectorizedINS1_10OpaqueTypeILj16EEEjLi2ELi64ELi64ELi16ELi1EEEvPcNS1_25CatArrInputTensorMetadataIT_T0_XT2_EXT3_EEENS1_16TensorSizeStrideIS8_Lj4EEEiS8_
; %bb.0:
	s_mov_b32 s0, s7
	s_load_dword s7, s[4:5], 0xd7c
	s_mov_b32 s1, 0
	s_add_u32 s8, s4, 0xd70
	s_addc_u32 s9, s5, 0
	s_lshl_b64 s[2:3], s[0:1], 2
	s_waitcnt lgkmcnt(0)
	s_and_b32 s13, s7, 0xffff
	s_add_u32 s10, s4, s2
	s_addc_u32 s11, s5, s3
	v_mad_u64_u32 v[0:1], null, s6, s13, v[0:1]
	s_load_dword s7, s[10:11], 0x408
	s_add_u32 s0, s10, 8
	s_addc_u32 s6, s11, 0
	s_mov_b32 s10, exec_lo
	s_waitcnt lgkmcnt(0)
	v_cmpx_gt_u32_e64 s7, v0
	s_cbranch_execz .LBB185_3
; %bb.1:
	s_add_u32 s14, s0, s2
	s_addc_u32 s15, s6, s3
	s_sub_u32 s0, 0, s2
	s_subb_u32 s3, 0, s3
	s_add_u32 s2, s14, s0
	s_addc_u32 s3, s15, s3
	s_clause 0x5
	s_load_dwordx2 s[10:11], s[4:5], 0xd68
	s_load_dword s0, s[2:3], 0x200
	s_load_dword s6, s[2:3], 0x300
	;; [unrolled: 1-line block ×3, first 2 shown]
	s_load_dwordx2 s[2:3], s[4:5], 0xd58
	s_load_dwordx2 s[4:5], s[4:5], 0x0
	s_load_dword s8, s[8:9], 0x0
	s_waitcnt lgkmcnt(0)
	s_mul_i32 s0, s0, s11
	s_mul_i32 s6, s6, s11
	s_lshl_b64 s[16:17], s[0:1], 4
	s_cmp_eq_u32 s10, 1
	s_mul_i32 s8, s8, s13
	s_cselect_b32 s6, s6, s12
	s_add_u32 s10, s4, s16
	v_cvt_f32_u32_e32 v1, s6
	s_addc_u32 s11, s5, s17
	s_sub_i32 s12, 0, s6
	s_load_dwordx2 s[4:5], s[14:15], 0x0
	v_rcp_iflag_f32_e32 v1, v1
	v_mul_f32_e32 v1, 0x4f7ffffe, v1
	v_cvt_u32_f32_e32 v1, v1
	v_mul_lo_u32 v2, s12, v1
	v_mul_hi_u32 v2, v1, v2
	v_add_nc_u32_e32 v2, v1, v2
	v_mov_b32_e32 v1, 0
	s_inst_prefetch 0x1
	.p2align	6
.LBB185_2:                              ; =>This Inner Loop Header: Depth=1
	v_lshlrev_b64 v[3:4], 4, v[0:1]
	v_mul_hi_u32 v9, v2, v0
	s_waitcnt lgkmcnt(0)
	v_add_co_u32 v3, vcc_lo, s4, v3
	v_add_co_ci_u32_e64 v4, null, s5, v4, vcc_lo
	v_mul_lo_u32 v10, s6, v9
	v_not_b32_e32 v7, v9
	v_add_nc_u32_e32 v11, 1, v9
	global_load_dwordx4 v[3:6], v[3:4], off
	v_mad_u64_u32 v[7:8], null, s6, v7, v[0:1]
	v_sub_nc_u32_e32 v8, v0, v10
	v_cmp_le_u32_e32 vcc_lo, s6, v8
	v_cndmask_b32_e32 v9, v9, v11, vcc_lo
	v_cndmask_b32_e32 v7, v8, v7, vcc_lo
	v_add_nc_u32_e32 v8, 1, v9
	v_cmp_le_u32_e32 vcc_lo, s6, v7
	v_cndmask_b32_e32 v9, v9, v8, vcc_lo
	v_mad_u64_u32 v[7:8], null, s12, v9, v[0:1]
	v_mul_lo_u32 v8, v9, s2
	v_add_nc_u32_e32 v0, s8, v0
	v_cmp_le_u32_e32 vcc_lo, s7, v0
	v_mad_u64_u32 v[7:8], null, v7, s3, v[8:9]
	v_mov_b32_e32 v8, v1
	s_or_b32 s1, vcc_lo, s1
	v_lshlrev_b64 v[7:8], 4, v[7:8]
	v_add_co_u32 v7, s0, s10, v7
	v_add_co_ci_u32_e64 v8, null, s11, v8, s0
	s_waitcnt vmcnt(0)
	global_store_dwordx4 v[7:8], v[3:6], off
	s_andn2_b32 exec_lo, exec_lo, s1
	s_cbranch_execnz .LBB185_2
.LBB185_3:
	s_inst_prefetch 0x2
	s_endpgm
	.section	.rodata,"a",@progbits
	.p2align	6, 0x0
	.amdhsa_kernel _ZN2at6native12_GLOBAL__N_130CatArrayBatchedCopy_vectorizedINS1_10OpaqueTypeILj16EEEjLi2ELi64ELi64ELi16ELi1EEEvPcNS1_25CatArrInputTensorMetadataIT_T0_XT2_EXT3_EEENS1_16TensorSizeStrideIS8_Lj4EEEiS8_
		.amdhsa_group_segment_fixed_size 0
		.amdhsa_private_segment_fixed_size 0
		.amdhsa_kernarg_size 3696
		.amdhsa_user_sgpr_count 6
		.amdhsa_user_sgpr_private_segment_buffer 1
		.amdhsa_user_sgpr_dispatch_ptr 0
		.amdhsa_user_sgpr_queue_ptr 0
		.amdhsa_user_sgpr_kernarg_segment_ptr 1
		.amdhsa_user_sgpr_dispatch_id 0
		.amdhsa_user_sgpr_flat_scratch_init 0
		.amdhsa_user_sgpr_private_segment_size 0
		.amdhsa_wavefront_size32 1
		.amdhsa_uses_dynamic_stack 0
		.amdhsa_system_sgpr_private_segment_wavefront_offset 0
		.amdhsa_system_sgpr_workgroup_id_x 1
		.amdhsa_system_sgpr_workgroup_id_y 1
		.amdhsa_system_sgpr_workgroup_id_z 0
		.amdhsa_system_sgpr_workgroup_info 0
		.amdhsa_system_vgpr_workitem_id 0
		.amdhsa_next_free_vgpr 12
		.amdhsa_next_free_sgpr 18
		.amdhsa_reserve_vcc 1
		.amdhsa_reserve_flat_scratch 0
		.amdhsa_float_round_mode_32 0
		.amdhsa_float_round_mode_16_64 0
		.amdhsa_float_denorm_mode_32 3
		.amdhsa_float_denorm_mode_16_64 3
		.amdhsa_dx10_clamp 1
		.amdhsa_ieee_mode 1
		.amdhsa_fp16_overflow 0
		.amdhsa_workgroup_processor_mode 1
		.amdhsa_memory_ordered 1
		.amdhsa_forward_progress 1
		.amdhsa_shared_vgpr_count 0
		.amdhsa_exception_fp_ieee_invalid_op 0
		.amdhsa_exception_fp_denorm_src 0
		.amdhsa_exception_fp_ieee_div_zero 0
		.amdhsa_exception_fp_ieee_overflow 0
		.amdhsa_exception_fp_ieee_underflow 0
		.amdhsa_exception_fp_ieee_inexact 0
		.amdhsa_exception_int_div_zero 0
	.end_amdhsa_kernel
	.section	.text._ZN2at6native12_GLOBAL__N_130CatArrayBatchedCopy_vectorizedINS1_10OpaqueTypeILj16EEEjLi2ELi64ELi64ELi16ELi1EEEvPcNS1_25CatArrInputTensorMetadataIT_T0_XT2_EXT3_EEENS1_16TensorSizeStrideIS8_Lj4EEEiS8_,"axG",@progbits,_ZN2at6native12_GLOBAL__N_130CatArrayBatchedCopy_vectorizedINS1_10OpaqueTypeILj16EEEjLi2ELi64ELi64ELi16ELi1EEEvPcNS1_25CatArrInputTensorMetadataIT_T0_XT2_EXT3_EEENS1_16TensorSizeStrideIS8_Lj4EEEiS8_,comdat
.Lfunc_end185:
	.size	_ZN2at6native12_GLOBAL__N_130CatArrayBatchedCopy_vectorizedINS1_10OpaqueTypeILj16EEEjLi2ELi64ELi64ELi16ELi1EEEvPcNS1_25CatArrInputTensorMetadataIT_T0_XT2_EXT3_EEENS1_16TensorSizeStrideIS8_Lj4EEEiS8_, .Lfunc_end185-_ZN2at6native12_GLOBAL__N_130CatArrayBatchedCopy_vectorizedINS1_10OpaqueTypeILj16EEEjLi2ELi64ELi64ELi16ELi1EEEvPcNS1_25CatArrInputTensorMetadataIT_T0_XT2_EXT3_EEENS1_16TensorSizeStrideIS8_Lj4EEEiS8_
                                        ; -- End function
	.set _ZN2at6native12_GLOBAL__N_130CatArrayBatchedCopy_vectorizedINS1_10OpaqueTypeILj16EEEjLi2ELi64ELi64ELi16ELi1EEEvPcNS1_25CatArrInputTensorMetadataIT_T0_XT2_EXT3_EEENS1_16TensorSizeStrideIS8_Lj4EEEiS8_.num_vgpr, 12
	.set _ZN2at6native12_GLOBAL__N_130CatArrayBatchedCopy_vectorizedINS1_10OpaqueTypeILj16EEEjLi2ELi64ELi64ELi16ELi1EEEvPcNS1_25CatArrInputTensorMetadataIT_T0_XT2_EXT3_EEENS1_16TensorSizeStrideIS8_Lj4EEEiS8_.num_agpr, 0
	.set _ZN2at6native12_GLOBAL__N_130CatArrayBatchedCopy_vectorizedINS1_10OpaqueTypeILj16EEEjLi2ELi64ELi64ELi16ELi1EEEvPcNS1_25CatArrInputTensorMetadataIT_T0_XT2_EXT3_EEENS1_16TensorSizeStrideIS8_Lj4EEEiS8_.numbered_sgpr, 18
	.set _ZN2at6native12_GLOBAL__N_130CatArrayBatchedCopy_vectorizedINS1_10OpaqueTypeILj16EEEjLi2ELi64ELi64ELi16ELi1EEEvPcNS1_25CatArrInputTensorMetadataIT_T0_XT2_EXT3_EEENS1_16TensorSizeStrideIS8_Lj4EEEiS8_.num_named_barrier, 0
	.set _ZN2at6native12_GLOBAL__N_130CatArrayBatchedCopy_vectorizedINS1_10OpaqueTypeILj16EEEjLi2ELi64ELi64ELi16ELi1EEEvPcNS1_25CatArrInputTensorMetadataIT_T0_XT2_EXT3_EEENS1_16TensorSizeStrideIS8_Lj4EEEiS8_.private_seg_size, 0
	.set _ZN2at6native12_GLOBAL__N_130CatArrayBatchedCopy_vectorizedINS1_10OpaqueTypeILj16EEEjLi2ELi64ELi64ELi16ELi1EEEvPcNS1_25CatArrInputTensorMetadataIT_T0_XT2_EXT3_EEENS1_16TensorSizeStrideIS8_Lj4EEEiS8_.uses_vcc, 1
	.set _ZN2at6native12_GLOBAL__N_130CatArrayBatchedCopy_vectorizedINS1_10OpaqueTypeILj16EEEjLi2ELi64ELi64ELi16ELi1EEEvPcNS1_25CatArrInputTensorMetadataIT_T0_XT2_EXT3_EEENS1_16TensorSizeStrideIS8_Lj4EEEiS8_.uses_flat_scratch, 0
	.set _ZN2at6native12_GLOBAL__N_130CatArrayBatchedCopy_vectorizedINS1_10OpaqueTypeILj16EEEjLi2ELi64ELi64ELi16ELi1EEEvPcNS1_25CatArrInputTensorMetadataIT_T0_XT2_EXT3_EEENS1_16TensorSizeStrideIS8_Lj4EEEiS8_.has_dyn_sized_stack, 0
	.set _ZN2at6native12_GLOBAL__N_130CatArrayBatchedCopy_vectorizedINS1_10OpaqueTypeILj16EEEjLi2ELi64ELi64ELi16ELi1EEEvPcNS1_25CatArrInputTensorMetadataIT_T0_XT2_EXT3_EEENS1_16TensorSizeStrideIS8_Lj4EEEiS8_.has_recursion, 0
	.set _ZN2at6native12_GLOBAL__N_130CatArrayBatchedCopy_vectorizedINS1_10OpaqueTypeILj16EEEjLi2ELi64ELi64ELi16ELi1EEEvPcNS1_25CatArrInputTensorMetadataIT_T0_XT2_EXT3_EEENS1_16TensorSizeStrideIS8_Lj4EEEiS8_.has_indirect_call, 0
	.section	.AMDGPU.csdata,"",@progbits
; Kernel info:
; codeLenInByte = 508
; TotalNumSgprs: 20
; NumVgprs: 12
; ScratchSize: 0
; MemoryBound: 0
; FloatMode: 240
; IeeeMode: 1
; LDSByteSize: 0 bytes/workgroup (compile time only)
; SGPRBlocks: 0
; VGPRBlocks: 1
; NumSGPRsForWavesPerEU: 20
; NumVGPRsForWavesPerEU: 12
; Occupancy: 16
; WaveLimiterHint : 1
; COMPUTE_PGM_RSRC2:SCRATCH_EN: 0
; COMPUTE_PGM_RSRC2:USER_SGPR: 6
; COMPUTE_PGM_RSRC2:TRAP_HANDLER: 0
; COMPUTE_PGM_RSRC2:TGID_X_EN: 1
; COMPUTE_PGM_RSRC2:TGID_Y_EN: 1
; COMPUTE_PGM_RSRC2:TGID_Z_EN: 0
; COMPUTE_PGM_RSRC2:TIDIG_COMP_CNT: 0
	.section	.text._ZN2at6native12_GLOBAL__N_135CatArrayBatchedCopy_alignedK_contigINS1_10OpaqueTypeILj16EEEjLi2ELi64ELi64ELi16EEEvPT_NS1_25CatArrInputTensorMetadataIS5_T0_XT2_EXT3_EEENS1_16TensorSizeStrideIS8_Lj4EEEiS8_,"axG",@progbits,_ZN2at6native12_GLOBAL__N_135CatArrayBatchedCopy_alignedK_contigINS1_10OpaqueTypeILj16EEEjLi2ELi64ELi64ELi16EEEvPT_NS1_25CatArrInputTensorMetadataIS5_T0_XT2_EXT3_EEENS1_16TensorSizeStrideIS8_Lj4EEEiS8_,comdat
	.globl	_ZN2at6native12_GLOBAL__N_135CatArrayBatchedCopy_alignedK_contigINS1_10OpaqueTypeILj16EEEjLi2ELi64ELi64ELi16EEEvPT_NS1_25CatArrInputTensorMetadataIS5_T0_XT2_EXT3_EEENS1_16TensorSizeStrideIS8_Lj4EEEiS8_ ; -- Begin function _ZN2at6native12_GLOBAL__N_135CatArrayBatchedCopy_alignedK_contigINS1_10OpaqueTypeILj16EEEjLi2ELi64ELi64ELi16EEEvPT_NS1_25CatArrInputTensorMetadataIS5_T0_XT2_EXT3_EEENS1_16TensorSizeStrideIS8_Lj4EEEiS8_
	.p2align	8
	.type	_ZN2at6native12_GLOBAL__N_135CatArrayBatchedCopy_alignedK_contigINS1_10OpaqueTypeILj16EEEjLi2ELi64ELi64ELi16EEEvPT_NS1_25CatArrInputTensorMetadataIS5_T0_XT2_EXT3_EEENS1_16TensorSizeStrideIS8_Lj4EEEiS8_,@function
_ZN2at6native12_GLOBAL__N_135CatArrayBatchedCopy_alignedK_contigINS1_10OpaqueTypeILj16EEEjLi2ELi64ELi64ELi16EEEvPT_NS1_25CatArrInputTensorMetadataIS5_T0_XT2_EXT3_EEENS1_16TensorSizeStrideIS8_Lj4EEEiS8_: ; @_ZN2at6native12_GLOBAL__N_135CatArrayBatchedCopy_alignedK_contigINS1_10OpaqueTypeILj16EEEjLi2ELi64ELi64ELi16EEEvPT_NS1_25CatArrInputTensorMetadataIS5_T0_XT2_EXT3_EEENS1_16TensorSizeStrideIS8_Lj4EEEiS8_
; %bb.0:
	s_mov_b32 s0, s7
	s_load_dword s7, s[4:5], 0xd7c
	s_mov_b32 s1, 0
	s_add_u32 s8, s4, 0xd70
	s_addc_u32 s9, s5, 0
	s_lshl_b64 s[2:3], s[0:1], 2
	s_mov_b32 s11, exec_lo
	s_waitcnt lgkmcnt(0)
	s_and_b32 s0, s7, 0xffff
	s_add_u32 s12, s4, s2
	s_addc_u32 s13, s5, s3
	v_mad_u64_u32 v[0:1], null, s6, s0, v[0:1]
	s_load_dword s10, s[12:13], 0x408
	s_add_u32 s6, s12, 8
	s_addc_u32 s7, s13, 0
	s_waitcnt lgkmcnt(0)
	v_cmpx_gt_u32_e64 s10, v0
	s_cbranch_execz .LBB186_6
; %bb.1:
	s_add_u32 s6, s6, s2
	s_addc_u32 s7, s7, s3
	s_sub_u32 s2, 0, s2
	s_subb_u32 s3, 0, s3
	s_add_u32 s12, s6, s2
	s_addc_u32 s13, s7, s3
	s_clause 0x4
	s_load_dwordx2 s[14:15], s[4:5], 0xd68
	s_load_dword s11, s[12:13], 0x300
	s_load_dword s16, s[4:5], 0xd4c
	s_load_dwordx2 s[2:3], s[4:5], 0xd58
	s_load_dword s13, s[12:13], 0x200
	s_load_dword s9, s[8:9], 0x0
	s_clause 0x1
	s_load_dwordx2 s[4:5], s[4:5], 0x0
	s_load_dwordx2 s[6:7], s[6:7], 0x0
	s_waitcnt lgkmcnt(0)
	s_cmp_eq_u32 s14, 1
	s_cselect_b32 s11, s11, s16
	v_cvt_f32_u32_e32 v1, s11
	s_sub_i32 s12, 0, s11
	s_mul_i32 s9, s9, s0
	s_mul_i32 s8, s13, s15
	v_rcp_iflag_f32_e32 v1, v1
	v_mul_f32_e32 v1, 0x4f7ffffe, v1
	v_cvt_u32_f32_e32 v1, v1
	v_mul_lo_u32 v2, s12, v1
	v_mul_hi_u32 v3, v1, v2
	v_mov_b32_e32 v2, 0
	v_add_nc_u32_e32 v7, v1, v3
	v_add_nc_u32_e32 v3, 1, v0
	s_inst_prefetch 0x1
	.p2align	6
.LBB186_2:                              ; =>This Inner Loop Header: Depth=1
	v_add_nc_u32_e32 v1, -1, v3
	v_add_nc_u32_e32 v3, s9, v3
	v_lshlrev_b64 v[4:5], 4, v[1:2]
	v_mul_hi_u32 v6, v1, v7
	v_add_co_u32 v4, vcc_lo, s6, v4
	v_add_co_ci_u32_e64 v5, null, s7, v5, vcc_lo
	v_add_nc_u32_e32 v12, 1, v6
	global_load_dwordx4 v[8:11], v[4:5], off
	v_mul_hi_u32 v4, v7, v0
	v_mul_lo_u32 v5, s11, v4
	v_not_b32_e32 v4, v4
	v_sub_nc_u32_e32 v13, v0, v5
	v_mad_u64_u32 v[4:5], null, s11, v4, v[0:1]
	v_add_nc_u32_e32 v0, s9, v0
	v_cmp_le_u32_e32 vcc_lo, s11, v13
	v_cndmask_b32_e32 v5, v6, v12, vcc_lo
	v_cndmask_b32_e32 v4, v13, v4, vcc_lo
	v_add_nc_u32_e32 v6, 1, v5
	v_cmp_le_u32_e32 vcc_lo, s11, v4
	v_cndmask_b32_e32 v6, v5, v6, vcc_lo
	v_cmp_lt_u32_e32 vcc_lo, s10, v3
	v_mad_u64_u32 v[4:5], null, s12, v6, v[1:2]
	v_mul_lo_u32 v1, v6, s2
	s_or_b32 s1, vcc_lo, s1
	v_mul_lo_u32 v4, v4, s3
	v_add3_u32 v1, v4, v1, s8
	v_lshlrev_b64 v[4:5], 4, v[1:2]
	v_add_co_u32 v4, s0, s4, v4
	v_add_co_ci_u32_e64 v5, null, s5, v5, s0
	s_waitcnt vmcnt(0)
	global_store_dwordx4 v[4:5], v[8:11], off
	s_andn2_b32 exec_lo, exec_lo, s1
	s_cbranch_execnz .LBB186_2
; %bb.3:
	s_inst_prefetch 0x2
	s_or_b32 exec_lo, exec_lo, s1
	v_add_nc_u32_e32 v0, -1, v3
	v_cmp_gt_u32_e32 vcc_lo, s10, v0
	s_and_b32 exec_lo, exec_lo, vcc_lo
	s_cbranch_execz .LBB186_6
; %bb.4:
	v_mov_b32_e32 v2, 0
	v_mad_u64_u32 v[3:4], null, v7, v0, 0
	v_mov_b32_e32 v1, v2
	v_lshlrev_b64 v[5:6], 4, v[0:1]
	v_add_co_u32 v5, vcc_lo, s6, v5
	v_add_co_ci_u32_e64 v6, null, s7, v6, vcc_lo
	s_mov_b32 s6, 0
	s_inst_prefetch 0x1
	.p2align	6
.LBB186_5:                              ; =>This Inner Loop Header: Depth=1
	global_load_dwordx4 v[8:11], v[5:6], off
	v_mul_lo_u32 v1, s11, v4
	v_not_b32_e32 v12, v4
	v_add_nc_u32_e32 v14, 1, v4
	v_add_co_u32 v5, s0, v5, 16
	v_add_co_ci_u32_e64 v6, null, 0, v6, s0
	v_mad_u64_u32 v[12:13], null, s11, v12, v[0:1]
	v_sub_nc_u32_e32 v1, v0, v1
	v_cmp_le_u32_e32 vcc_lo, s11, v1
	v_cndmask_b32_e32 v13, v4, v14, vcc_lo
	v_cndmask_b32_e32 v1, v1, v12, vcc_lo
	v_add_nc_u32_e32 v12, 1, v13
	v_cmp_le_u32_e32 vcc_lo, s11, v1
	v_cndmask_b32_e32 v1, v13, v12, vcc_lo
	v_add_co_u32 v3, vcc_lo, v3, v7
	v_add_co_ci_u32_e64 v4, null, 0, v4, vcc_lo
	v_mad_u64_u32 v[12:13], null, s12, v1, v[0:1]
	v_mul_lo_u32 v1, v1, s2
	v_add_nc_u32_e32 v0, 1, v0
	v_mul_lo_u32 v12, v12, s3
	v_cmp_le_u32_e64 s0, s10, v0
	s_or_b32 s6, s0, s6
	v_add3_u32 v1, v1, s8, v12
	v_lshlrev_b64 v[12:13], 4, v[1:2]
	v_add_co_u32 v12, s1, s4, v12
	v_add_co_ci_u32_e64 v13, null, s5, v13, s1
	s_waitcnt vmcnt(0)
	global_store_dwordx4 v[12:13], v[8:11], off
	s_andn2_b32 exec_lo, exec_lo, s6
	s_cbranch_execnz .LBB186_5
.LBB186_6:
	s_inst_prefetch 0x2
	s_endpgm
	.section	.rodata,"a",@progbits
	.p2align	6, 0x0
	.amdhsa_kernel _ZN2at6native12_GLOBAL__N_135CatArrayBatchedCopy_alignedK_contigINS1_10OpaqueTypeILj16EEEjLi2ELi64ELi64ELi16EEEvPT_NS1_25CatArrInputTensorMetadataIS5_T0_XT2_EXT3_EEENS1_16TensorSizeStrideIS8_Lj4EEEiS8_
		.amdhsa_group_segment_fixed_size 0
		.amdhsa_private_segment_fixed_size 0
		.amdhsa_kernarg_size 3696
		.amdhsa_user_sgpr_count 6
		.amdhsa_user_sgpr_private_segment_buffer 1
		.amdhsa_user_sgpr_dispatch_ptr 0
		.amdhsa_user_sgpr_queue_ptr 0
		.amdhsa_user_sgpr_kernarg_segment_ptr 1
		.amdhsa_user_sgpr_dispatch_id 0
		.amdhsa_user_sgpr_flat_scratch_init 0
		.amdhsa_user_sgpr_private_segment_size 0
		.amdhsa_wavefront_size32 1
		.amdhsa_uses_dynamic_stack 0
		.amdhsa_system_sgpr_private_segment_wavefront_offset 0
		.amdhsa_system_sgpr_workgroup_id_x 1
		.amdhsa_system_sgpr_workgroup_id_y 1
		.amdhsa_system_sgpr_workgroup_id_z 0
		.amdhsa_system_sgpr_workgroup_info 0
		.amdhsa_system_vgpr_workitem_id 0
		.amdhsa_next_free_vgpr 15
		.amdhsa_next_free_sgpr 17
		.amdhsa_reserve_vcc 1
		.amdhsa_reserve_flat_scratch 0
		.amdhsa_float_round_mode_32 0
		.amdhsa_float_round_mode_16_64 0
		.amdhsa_float_denorm_mode_32 3
		.amdhsa_float_denorm_mode_16_64 3
		.amdhsa_dx10_clamp 1
		.amdhsa_ieee_mode 1
		.amdhsa_fp16_overflow 0
		.amdhsa_workgroup_processor_mode 1
		.amdhsa_memory_ordered 1
		.amdhsa_forward_progress 1
		.amdhsa_shared_vgpr_count 0
		.amdhsa_exception_fp_ieee_invalid_op 0
		.amdhsa_exception_fp_denorm_src 0
		.amdhsa_exception_fp_ieee_div_zero 0
		.amdhsa_exception_fp_ieee_overflow 0
		.amdhsa_exception_fp_ieee_underflow 0
		.amdhsa_exception_fp_ieee_inexact 0
		.amdhsa_exception_int_div_zero 0
	.end_amdhsa_kernel
	.section	.text._ZN2at6native12_GLOBAL__N_135CatArrayBatchedCopy_alignedK_contigINS1_10OpaqueTypeILj16EEEjLi2ELi64ELi64ELi16EEEvPT_NS1_25CatArrInputTensorMetadataIS5_T0_XT2_EXT3_EEENS1_16TensorSizeStrideIS8_Lj4EEEiS8_,"axG",@progbits,_ZN2at6native12_GLOBAL__N_135CatArrayBatchedCopy_alignedK_contigINS1_10OpaqueTypeILj16EEEjLi2ELi64ELi64ELi16EEEvPT_NS1_25CatArrInputTensorMetadataIS5_T0_XT2_EXT3_EEENS1_16TensorSizeStrideIS8_Lj4EEEiS8_,comdat
.Lfunc_end186:
	.size	_ZN2at6native12_GLOBAL__N_135CatArrayBatchedCopy_alignedK_contigINS1_10OpaqueTypeILj16EEEjLi2ELi64ELi64ELi16EEEvPT_NS1_25CatArrInputTensorMetadataIS5_T0_XT2_EXT3_EEENS1_16TensorSizeStrideIS8_Lj4EEEiS8_, .Lfunc_end186-_ZN2at6native12_GLOBAL__N_135CatArrayBatchedCopy_alignedK_contigINS1_10OpaqueTypeILj16EEEjLi2ELi64ELi64ELi16EEEvPT_NS1_25CatArrInputTensorMetadataIS5_T0_XT2_EXT3_EEENS1_16TensorSizeStrideIS8_Lj4EEEiS8_
                                        ; -- End function
	.set _ZN2at6native12_GLOBAL__N_135CatArrayBatchedCopy_alignedK_contigINS1_10OpaqueTypeILj16EEEjLi2ELi64ELi64ELi16EEEvPT_NS1_25CatArrInputTensorMetadataIS5_T0_XT2_EXT3_EEENS1_16TensorSizeStrideIS8_Lj4EEEiS8_.num_vgpr, 15
	.set _ZN2at6native12_GLOBAL__N_135CatArrayBatchedCopy_alignedK_contigINS1_10OpaqueTypeILj16EEEjLi2ELi64ELi64ELi16EEEvPT_NS1_25CatArrInputTensorMetadataIS5_T0_XT2_EXT3_EEENS1_16TensorSizeStrideIS8_Lj4EEEiS8_.num_agpr, 0
	.set _ZN2at6native12_GLOBAL__N_135CatArrayBatchedCopy_alignedK_contigINS1_10OpaqueTypeILj16EEEjLi2ELi64ELi64ELi16EEEvPT_NS1_25CatArrInputTensorMetadataIS5_T0_XT2_EXT3_EEENS1_16TensorSizeStrideIS8_Lj4EEEiS8_.numbered_sgpr, 17
	.set _ZN2at6native12_GLOBAL__N_135CatArrayBatchedCopy_alignedK_contigINS1_10OpaqueTypeILj16EEEjLi2ELi64ELi64ELi16EEEvPT_NS1_25CatArrInputTensorMetadataIS5_T0_XT2_EXT3_EEENS1_16TensorSizeStrideIS8_Lj4EEEiS8_.num_named_barrier, 0
	.set _ZN2at6native12_GLOBAL__N_135CatArrayBatchedCopy_alignedK_contigINS1_10OpaqueTypeILj16EEEjLi2ELi64ELi64ELi16EEEvPT_NS1_25CatArrInputTensorMetadataIS5_T0_XT2_EXT3_EEENS1_16TensorSizeStrideIS8_Lj4EEEiS8_.private_seg_size, 0
	.set _ZN2at6native12_GLOBAL__N_135CatArrayBatchedCopy_alignedK_contigINS1_10OpaqueTypeILj16EEEjLi2ELi64ELi64ELi16EEEvPT_NS1_25CatArrInputTensorMetadataIS5_T0_XT2_EXT3_EEENS1_16TensorSizeStrideIS8_Lj4EEEiS8_.uses_vcc, 1
	.set _ZN2at6native12_GLOBAL__N_135CatArrayBatchedCopy_alignedK_contigINS1_10OpaqueTypeILj16EEEjLi2ELi64ELi64ELi16EEEvPT_NS1_25CatArrInputTensorMetadataIS5_T0_XT2_EXT3_EEENS1_16TensorSizeStrideIS8_Lj4EEEiS8_.uses_flat_scratch, 0
	.set _ZN2at6native12_GLOBAL__N_135CatArrayBatchedCopy_alignedK_contigINS1_10OpaqueTypeILj16EEEjLi2ELi64ELi64ELi16EEEvPT_NS1_25CatArrInputTensorMetadataIS5_T0_XT2_EXT3_EEENS1_16TensorSizeStrideIS8_Lj4EEEiS8_.has_dyn_sized_stack, 0
	.set _ZN2at6native12_GLOBAL__N_135CatArrayBatchedCopy_alignedK_contigINS1_10OpaqueTypeILj16EEEjLi2ELi64ELi64ELi16EEEvPT_NS1_25CatArrInputTensorMetadataIS5_T0_XT2_EXT3_EEENS1_16TensorSizeStrideIS8_Lj4EEEiS8_.has_recursion, 0
	.set _ZN2at6native12_GLOBAL__N_135CatArrayBatchedCopy_alignedK_contigINS1_10OpaqueTypeILj16EEEjLi2ELi64ELi64ELi16EEEvPT_NS1_25CatArrInputTensorMetadataIS5_T0_XT2_EXT3_EEENS1_16TensorSizeStrideIS8_Lj4EEEiS8_.has_indirect_call, 0
	.section	.AMDGPU.csdata,"",@progbits
; Kernel info:
; codeLenInByte = 832
; TotalNumSgprs: 19
; NumVgprs: 15
; ScratchSize: 0
; MemoryBound: 0
; FloatMode: 240
; IeeeMode: 1
; LDSByteSize: 0 bytes/workgroup (compile time only)
; SGPRBlocks: 0
; VGPRBlocks: 1
; NumSGPRsForWavesPerEU: 19
; NumVGPRsForWavesPerEU: 15
; Occupancy: 16
; WaveLimiterHint : 1
; COMPUTE_PGM_RSRC2:SCRATCH_EN: 0
; COMPUTE_PGM_RSRC2:USER_SGPR: 6
; COMPUTE_PGM_RSRC2:TRAP_HANDLER: 0
; COMPUTE_PGM_RSRC2:TGID_X_EN: 1
; COMPUTE_PGM_RSRC2:TGID_Y_EN: 1
; COMPUTE_PGM_RSRC2:TGID_Z_EN: 0
; COMPUTE_PGM_RSRC2:TIDIG_COMP_CNT: 0
	.section	.text._ZN2at6native12_GLOBAL__N_135CatArrayBatchedCopy_alignedK_contigINS1_10OpaqueTypeILj16EEEjLi2ELi64ELi64ELi8EEEvPT_NS1_25CatArrInputTensorMetadataIS5_T0_XT2_EXT3_EEENS1_16TensorSizeStrideIS8_Lj4EEEiS8_,"axG",@progbits,_ZN2at6native12_GLOBAL__N_135CatArrayBatchedCopy_alignedK_contigINS1_10OpaqueTypeILj16EEEjLi2ELi64ELi64ELi8EEEvPT_NS1_25CatArrInputTensorMetadataIS5_T0_XT2_EXT3_EEENS1_16TensorSizeStrideIS8_Lj4EEEiS8_,comdat
	.globl	_ZN2at6native12_GLOBAL__N_135CatArrayBatchedCopy_alignedK_contigINS1_10OpaqueTypeILj16EEEjLi2ELi64ELi64ELi8EEEvPT_NS1_25CatArrInputTensorMetadataIS5_T0_XT2_EXT3_EEENS1_16TensorSizeStrideIS8_Lj4EEEiS8_ ; -- Begin function _ZN2at6native12_GLOBAL__N_135CatArrayBatchedCopy_alignedK_contigINS1_10OpaqueTypeILj16EEEjLi2ELi64ELi64ELi8EEEvPT_NS1_25CatArrInputTensorMetadataIS5_T0_XT2_EXT3_EEENS1_16TensorSizeStrideIS8_Lj4EEEiS8_
	.p2align	8
	.type	_ZN2at6native12_GLOBAL__N_135CatArrayBatchedCopy_alignedK_contigINS1_10OpaqueTypeILj16EEEjLi2ELi64ELi64ELi8EEEvPT_NS1_25CatArrInputTensorMetadataIS5_T0_XT2_EXT3_EEENS1_16TensorSizeStrideIS8_Lj4EEEiS8_,@function
_ZN2at6native12_GLOBAL__N_135CatArrayBatchedCopy_alignedK_contigINS1_10OpaqueTypeILj16EEEjLi2ELi64ELi64ELi8EEEvPT_NS1_25CatArrInputTensorMetadataIS5_T0_XT2_EXT3_EEENS1_16TensorSizeStrideIS8_Lj4EEEiS8_: ; @_ZN2at6native12_GLOBAL__N_135CatArrayBatchedCopy_alignedK_contigINS1_10OpaqueTypeILj16EEEjLi2ELi64ELi64ELi8EEEvPT_NS1_25CatArrInputTensorMetadataIS5_T0_XT2_EXT3_EEENS1_16TensorSizeStrideIS8_Lj4EEEiS8_
; %bb.0:
	s_mov_b32 s0, s7
	s_load_dword s7, s[4:5], 0xd7c
	s_mov_b32 s1, 0
	s_add_u32 s8, s4, 0xd70
	s_addc_u32 s9, s5, 0
	s_lshl_b64 s[2:3], s[0:1], 2
	s_mov_b32 s11, exec_lo
	s_waitcnt lgkmcnt(0)
	s_and_b32 s0, s7, 0xffff
	s_add_u32 s12, s4, s2
	s_addc_u32 s13, s5, s3
	v_mad_u64_u32 v[0:1], null, s6, s0, v[0:1]
	s_load_dword s10, s[12:13], 0x408
	s_add_u32 s6, s12, 8
	s_addc_u32 s7, s13, 0
	s_waitcnt lgkmcnt(0)
	v_cmpx_gt_u32_e64 s10, v0
	s_cbranch_execz .LBB187_6
; %bb.1:
	s_add_u32 s6, s6, s2
	s_addc_u32 s7, s7, s3
	s_sub_u32 s2, 0, s2
	s_subb_u32 s3, 0, s3
	s_add_u32 s12, s6, s2
	s_addc_u32 s13, s7, s3
	s_clause 0x4
	s_load_dwordx2 s[14:15], s[4:5], 0xd68
	s_load_dword s11, s[12:13], 0x300
	s_load_dword s16, s[4:5], 0xd4c
	s_load_dwordx2 s[2:3], s[4:5], 0xd58
	s_load_dword s13, s[12:13], 0x200
	s_load_dword s9, s[8:9], 0x0
	s_clause 0x1
	s_load_dwordx2 s[4:5], s[4:5], 0x0
	s_load_dwordx2 s[6:7], s[6:7], 0x0
	s_waitcnt lgkmcnt(0)
	s_cmp_eq_u32 s14, 1
	s_cselect_b32 s11, s11, s16
	v_cvt_f32_u32_e32 v1, s11
	s_sub_i32 s12, 0, s11
	s_mul_i32 s9, s9, s0
	s_mul_i32 s8, s13, s15
	v_rcp_iflag_f32_e32 v1, v1
	v_mul_f32_e32 v1, 0x4f7ffffe, v1
	v_cvt_u32_f32_e32 v1, v1
	v_mul_lo_u32 v2, s12, v1
	v_mul_hi_u32 v3, v1, v2
	v_mov_b32_e32 v2, 0
	v_add_nc_u32_e32 v7, v1, v3
	v_add_nc_u32_e32 v3, 1, v0
	s_inst_prefetch 0x1
	.p2align	6
.LBB187_2:                              ; =>This Inner Loop Header: Depth=1
	v_add_nc_u32_e32 v1, -1, v3
	v_add_nc_u32_e32 v3, s9, v3
	v_lshlrev_b64 v[4:5], 4, v[1:2]
	v_mul_hi_u32 v6, v1, v7
	v_add_co_u32 v4, vcc_lo, s6, v4
	v_add_co_ci_u32_e64 v5, null, s7, v5, vcc_lo
	v_add_nc_u32_e32 v12, 1, v6
	global_load_dwordx4 v[8:11], v[4:5], off
	v_mul_hi_u32 v4, v7, v0
	v_mul_lo_u32 v5, s11, v4
	v_not_b32_e32 v4, v4
	v_sub_nc_u32_e32 v13, v0, v5
	v_mad_u64_u32 v[4:5], null, s11, v4, v[0:1]
	v_add_nc_u32_e32 v0, s9, v0
	v_cmp_le_u32_e32 vcc_lo, s11, v13
	v_cndmask_b32_e32 v5, v6, v12, vcc_lo
	v_cndmask_b32_e32 v4, v13, v4, vcc_lo
	v_add_nc_u32_e32 v6, 1, v5
	v_cmp_le_u32_e32 vcc_lo, s11, v4
	v_cndmask_b32_e32 v6, v5, v6, vcc_lo
	v_cmp_lt_u32_e32 vcc_lo, s10, v3
	v_mad_u64_u32 v[4:5], null, s12, v6, v[1:2]
	v_mul_lo_u32 v1, v6, s2
	s_or_b32 s1, vcc_lo, s1
	v_mul_lo_u32 v4, v4, s3
	v_add3_u32 v1, v4, v1, s8
	v_lshlrev_b64 v[4:5], 4, v[1:2]
	v_add_co_u32 v4, s0, s4, v4
	v_add_co_ci_u32_e64 v5, null, s5, v5, s0
	s_waitcnt vmcnt(0)
	global_store_dwordx4 v[4:5], v[8:11], off
	s_andn2_b32 exec_lo, exec_lo, s1
	s_cbranch_execnz .LBB187_2
; %bb.3:
	s_inst_prefetch 0x2
	s_or_b32 exec_lo, exec_lo, s1
	v_add_nc_u32_e32 v0, -1, v3
	v_cmp_gt_u32_e32 vcc_lo, s10, v0
	s_and_b32 exec_lo, exec_lo, vcc_lo
	s_cbranch_execz .LBB187_6
; %bb.4:
	v_mov_b32_e32 v2, 0
	v_mad_u64_u32 v[3:4], null, v7, v0, 0
	v_mov_b32_e32 v1, v2
	v_lshlrev_b64 v[5:6], 4, v[0:1]
	v_add_co_u32 v5, vcc_lo, s6, v5
	v_add_co_ci_u32_e64 v6, null, s7, v6, vcc_lo
	s_mov_b32 s6, 0
	s_inst_prefetch 0x1
	.p2align	6
.LBB187_5:                              ; =>This Inner Loop Header: Depth=1
	global_load_dwordx4 v[8:11], v[5:6], off
	v_mul_lo_u32 v1, s11, v4
	v_not_b32_e32 v12, v4
	v_add_nc_u32_e32 v14, 1, v4
	v_add_co_u32 v5, s0, v5, 16
	v_add_co_ci_u32_e64 v6, null, 0, v6, s0
	v_mad_u64_u32 v[12:13], null, s11, v12, v[0:1]
	v_sub_nc_u32_e32 v1, v0, v1
	v_cmp_le_u32_e32 vcc_lo, s11, v1
	v_cndmask_b32_e32 v13, v4, v14, vcc_lo
	v_cndmask_b32_e32 v1, v1, v12, vcc_lo
	v_add_nc_u32_e32 v12, 1, v13
	v_cmp_le_u32_e32 vcc_lo, s11, v1
	v_cndmask_b32_e32 v1, v13, v12, vcc_lo
	v_add_co_u32 v3, vcc_lo, v3, v7
	v_add_co_ci_u32_e64 v4, null, 0, v4, vcc_lo
	v_mad_u64_u32 v[12:13], null, s12, v1, v[0:1]
	v_mul_lo_u32 v1, v1, s2
	v_add_nc_u32_e32 v0, 1, v0
	v_mul_lo_u32 v12, v12, s3
	v_cmp_le_u32_e64 s0, s10, v0
	s_or_b32 s6, s0, s6
	v_add3_u32 v1, v1, s8, v12
	v_lshlrev_b64 v[12:13], 4, v[1:2]
	v_add_co_u32 v12, s1, s4, v12
	v_add_co_ci_u32_e64 v13, null, s5, v13, s1
	s_waitcnt vmcnt(0)
	global_store_dwordx4 v[12:13], v[8:11], off
	s_andn2_b32 exec_lo, exec_lo, s6
	s_cbranch_execnz .LBB187_5
.LBB187_6:
	s_inst_prefetch 0x2
	s_endpgm
	.section	.rodata,"a",@progbits
	.p2align	6, 0x0
	.amdhsa_kernel _ZN2at6native12_GLOBAL__N_135CatArrayBatchedCopy_alignedK_contigINS1_10OpaqueTypeILj16EEEjLi2ELi64ELi64ELi8EEEvPT_NS1_25CatArrInputTensorMetadataIS5_T0_XT2_EXT3_EEENS1_16TensorSizeStrideIS8_Lj4EEEiS8_
		.amdhsa_group_segment_fixed_size 0
		.amdhsa_private_segment_fixed_size 0
		.amdhsa_kernarg_size 3696
		.amdhsa_user_sgpr_count 6
		.amdhsa_user_sgpr_private_segment_buffer 1
		.amdhsa_user_sgpr_dispatch_ptr 0
		.amdhsa_user_sgpr_queue_ptr 0
		.amdhsa_user_sgpr_kernarg_segment_ptr 1
		.amdhsa_user_sgpr_dispatch_id 0
		.amdhsa_user_sgpr_flat_scratch_init 0
		.amdhsa_user_sgpr_private_segment_size 0
		.amdhsa_wavefront_size32 1
		.amdhsa_uses_dynamic_stack 0
		.amdhsa_system_sgpr_private_segment_wavefront_offset 0
		.amdhsa_system_sgpr_workgroup_id_x 1
		.amdhsa_system_sgpr_workgroup_id_y 1
		.amdhsa_system_sgpr_workgroup_id_z 0
		.amdhsa_system_sgpr_workgroup_info 0
		.amdhsa_system_vgpr_workitem_id 0
		.amdhsa_next_free_vgpr 15
		.amdhsa_next_free_sgpr 17
		.amdhsa_reserve_vcc 1
		.amdhsa_reserve_flat_scratch 0
		.amdhsa_float_round_mode_32 0
		.amdhsa_float_round_mode_16_64 0
		.amdhsa_float_denorm_mode_32 3
		.amdhsa_float_denorm_mode_16_64 3
		.amdhsa_dx10_clamp 1
		.amdhsa_ieee_mode 1
		.amdhsa_fp16_overflow 0
		.amdhsa_workgroup_processor_mode 1
		.amdhsa_memory_ordered 1
		.amdhsa_forward_progress 1
		.amdhsa_shared_vgpr_count 0
		.amdhsa_exception_fp_ieee_invalid_op 0
		.amdhsa_exception_fp_denorm_src 0
		.amdhsa_exception_fp_ieee_div_zero 0
		.amdhsa_exception_fp_ieee_overflow 0
		.amdhsa_exception_fp_ieee_underflow 0
		.amdhsa_exception_fp_ieee_inexact 0
		.amdhsa_exception_int_div_zero 0
	.end_amdhsa_kernel
	.section	.text._ZN2at6native12_GLOBAL__N_135CatArrayBatchedCopy_alignedK_contigINS1_10OpaqueTypeILj16EEEjLi2ELi64ELi64ELi8EEEvPT_NS1_25CatArrInputTensorMetadataIS5_T0_XT2_EXT3_EEENS1_16TensorSizeStrideIS8_Lj4EEEiS8_,"axG",@progbits,_ZN2at6native12_GLOBAL__N_135CatArrayBatchedCopy_alignedK_contigINS1_10OpaqueTypeILj16EEEjLi2ELi64ELi64ELi8EEEvPT_NS1_25CatArrInputTensorMetadataIS5_T0_XT2_EXT3_EEENS1_16TensorSizeStrideIS8_Lj4EEEiS8_,comdat
.Lfunc_end187:
	.size	_ZN2at6native12_GLOBAL__N_135CatArrayBatchedCopy_alignedK_contigINS1_10OpaqueTypeILj16EEEjLi2ELi64ELi64ELi8EEEvPT_NS1_25CatArrInputTensorMetadataIS5_T0_XT2_EXT3_EEENS1_16TensorSizeStrideIS8_Lj4EEEiS8_, .Lfunc_end187-_ZN2at6native12_GLOBAL__N_135CatArrayBatchedCopy_alignedK_contigINS1_10OpaqueTypeILj16EEEjLi2ELi64ELi64ELi8EEEvPT_NS1_25CatArrInputTensorMetadataIS5_T0_XT2_EXT3_EEENS1_16TensorSizeStrideIS8_Lj4EEEiS8_
                                        ; -- End function
	.set _ZN2at6native12_GLOBAL__N_135CatArrayBatchedCopy_alignedK_contigINS1_10OpaqueTypeILj16EEEjLi2ELi64ELi64ELi8EEEvPT_NS1_25CatArrInputTensorMetadataIS5_T0_XT2_EXT3_EEENS1_16TensorSizeStrideIS8_Lj4EEEiS8_.num_vgpr, 15
	.set _ZN2at6native12_GLOBAL__N_135CatArrayBatchedCopy_alignedK_contigINS1_10OpaqueTypeILj16EEEjLi2ELi64ELi64ELi8EEEvPT_NS1_25CatArrInputTensorMetadataIS5_T0_XT2_EXT3_EEENS1_16TensorSizeStrideIS8_Lj4EEEiS8_.num_agpr, 0
	.set _ZN2at6native12_GLOBAL__N_135CatArrayBatchedCopy_alignedK_contigINS1_10OpaqueTypeILj16EEEjLi2ELi64ELi64ELi8EEEvPT_NS1_25CatArrInputTensorMetadataIS5_T0_XT2_EXT3_EEENS1_16TensorSizeStrideIS8_Lj4EEEiS8_.numbered_sgpr, 17
	.set _ZN2at6native12_GLOBAL__N_135CatArrayBatchedCopy_alignedK_contigINS1_10OpaqueTypeILj16EEEjLi2ELi64ELi64ELi8EEEvPT_NS1_25CatArrInputTensorMetadataIS5_T0_XT2_EXT3_EEENS1_16TensorSizeStrideIS8_Lj4EEEiS8_.num_named_barrier, 0
	.set _ZN2at6native12_GLOBAL__N_135CatArrayBatchedCopy_alignedK_contigINS1_10OpaqueTypeILj16EEEjLi2ELi64ELi64ELi8EEEvPT_NS1_25CatArrInputTensorMetadataIS5_T0_XT2_EXT3_EEENS1_16TensorSizeStrideIS8_Lj4EEEiS8_.private_seg_size, 0
	.set _ZN2at6native12_GLOBAL__N_135CatArrayBatchedCopy_alignedK_contigINS1_10OpaqueTypeILj16EEEjLi2ELi64ELi64ELi8EEEvPT_NS1_25CatArrInputTensorMetadataIS5_T0_XT2_EXT3_EEENS1_16TensorSizeStrideIS8_Lj4EEEiS8_.uses_vcc, 1
	.set _ZN2at6native12_GLOBAL__N_135CatArrayBatchedCopy_alignedK_contigINS1_10OpaqueTypeILj16EEEjLi2ELi64ELi64ELi8EEEvPT_NS1_25CatArrInputTensorMetadataIS5_T0_XT2_EXT3_EEENS1_16TensorSizeStrideIS8_Lj4EEEiS8_.uses_flat_scratch, 0
	.set _ZN2at6native12_GLOBAL__N_135CatArrayBatchedCopy_alignedK_contigINS1_10OpaqueTypeILj16EEEjLi2ELi64ELi64ELi8EEEvPT_NS1_25CatArrInputTensorMetadataIS5_T0_XT2_EXT3_EEENS1_16TensorSizeStrideIS8_Lj4EEEiS8_.has_dyn_sized_stack, 0
	.set _ZN2at6native12_GLOBAL__N_135CatArrayBatchedCopy_alignedK_contigINS1_10OpaqueTypeILj16EEEjLi2ELi64ELi64ELi8EEEvPT_NS1_25CatArrInputTensorMetadataIS5_T0_XT2_EXT3_EEENS1_16TensorSizeStrideIS8_Lj4EEEiS8_.has_recursion, 0
	.set _ZN2at6native12_GLOBAL__N_135CatArrayBatchedCopy_alignedK_contigINS1_10OpaqueTypeILj16EEEjLi2ELi64ELi64ELi8EEEvPT_NS1_25CatArrInputTensorMetadataIS5_T0_XT2_EXT3_EEENS1_16TensorSizeStrideIS8_Lj4EEEiS8_.has_indirect_call, 0
	.section	.AMDGPU.csdata,"",@progbits
; Kernel info:
; codeLenInByte = 832
; TotalNumSgprs: 19
; NumVgprs: 15
; ScratchSize: 0
; MemoryBound: 0
; FloatMode: 240
; IeeeMode: 1
; LDSByteSize: 0 bytes/workgroup (compile time only)
; SGPRBlocks: 0
; VGPRBlocks: 1
; NumSGPRsForWavesPerEU: 19
; NumVGPRsForWavesPerEU: 15
; Occupancy: 16
; WaveLimiterHint : 1
; COMPUTE_PGM_RSRC2:SCRATCH_EN: 0
; COMPUTE_PGM_RSRC2:USER_SGPR: 6
; COMPUTE_PGM_RSRC2:TRAP_HANDLER: 0
; COMPUTE_PGM_RSRC2:TGID_X_EN: 1
; COMPUTE_PGM_RSRC2:TGID_Y_EN: 1
; COMPUTE_PGM_RSRC2:TGID_Z_EN: 0
; COMPUTE_PGM_RSRC2:TIDIG_COMP_CNT: 0
	.section	.text._ZN2at6native12_GLOBAL__N_126CatArrayBatchedCopy_contigINS1_10OpaqueTypeILj16EEEjLi2ELi64ELi64EEEvPT_NS1_25CatArrInputTensorMetadataIS5_T0_XT2_EXT3_EEENS1_16TensorSizeStrideIS8_Lj4EEEiS8_,"axG",@progbits,_ZN2at6native12_GLOBAL__N_126CatArrayBatchedCopy_contigINS1_10OpaqueTypeILj16EEEjLi2ELi64ELi64EEEvPT_NS1_25CatArrInputTensorMetadataIS5_T0_XT2_EXT3_EEENS1_16TensorSizeStrideIS8_Lj4EEEiS8_,comdat
	.globl	_ZN2at6native12_GLOBAL__N_126CatArrayBatchedCopy_contigINS1_10OpaqueTypeILj16EEEjLi2ELi64ELi64EEEvPT_NS1_25CatArrInputTensorMetadataIS5_T0_XT2_EXT3_EEENS1_16TensorSizeStrideIS8_Lj4EEEiS8_ ; -- Begin function _ZN2at6native12_GLOBAL__N_126CatArrayBatchedCopy_contigINS1_10OpaqueTypeILj16EEEjLi2ELi64ELi64EEEvPT_NS1_25CatArrInputTensorMetadataIS5_T0_XT2_EXT3_EEENS1_16TensorSizeStrideIS8_Lj4EEEiS8_
	.p2align	8
	.type	_ZN2at6native12_GLOBAL__N_126CatArrayBatchedCopy_contigINS1_10OpaqueTypeILj16EEEjLi2ELi64ELi64EEEvPT_NS1_25CatArrInputTensorMetadataIS5_T0_XT2_EXT3_EEENS1_16TensorSizeStrideIS8_Lj4EEEiS8_,@function
_ZN2at6native12_GLOBAL__N_126CatArrayBatchedCopy_contigINS1_10OpaqueTypeILj16EEEjLi2ELi64ELi64EEEvPT_NS1_25CatArrInputTensorMetadataIS5_T0_XT2_EXT3_EEENS1_16TensorSizeStrideIS8_Lj4EEEiS8_: ; @_ZN2at6native12_GLOBAL__N_126CatArrayBatchedCopy_contigINS1_10OpaqueTypeILj16EEEjLi2ELi64ELi64EEEvPT_NS1_25CatArrInputTensorMetadataIS5_T0_XT2_EXT3_EEENS1_16TensorSizeStrideIS8_Lj4EEEiS8_
; %bb.0:
	s_mov_b32 s0, s7
	s_load_dword s7, s[4:5], 0xd7c
	s_mov_b32 s1, 0
	s_add_u32 s8, s4, 0xd70
	s_addc_u32 s9, s5, 0
	s_lshl_b64 s[2:3], s[0:1], 2
	s_mov_b32 s11, exec_lo
	s_waitcnt lgkmcnt(0)
	s_and_b32 s0, s7, 0xffff
	s_add_u32 s12, s4, s2
	s_addc_u32 s13, s5, s3
	v_mad_u64_u32 v[0:1], null, s6, s0, v[0:1]
	s_load_dword s10, s[12:13], 0x408
	s_add_u32 s6, s12, 8
	s_addc_u32 s7, s13, 0
	s_waitcnt lgkmcnt(0)
	v_cmpx_gt_u32_e64 s10, v0
	s_cbranch_execz .LBB188_3
; %bb.1:
	s_add_u32 s6, s6, s2
	s_addc_u32 s7, s7, s3
	s_sub_u32 s2, 0, s2
	s_subb_u32 s3, 0, s3
	s_add_u32 s12, s6, s2
	s_addc_u32 s13, s7, s3
	s_clause 0x4
	s_load_dwordx2 s[14:15], s[4:5], 0xd68
	s_load_dword s11, s[12:13], 0x300
	s_load_dword s16, s[4:5], 0xd4c
	s_load_dwordx2 s[2:3], s[4:5], 0xd58
	s_load_dword s13, s[12:13], 0x200
	s_load_dword s9, s[8:9], 0x0
	s_clause 0x1
	s_load_dwordx2 s[4:5], s[4:5], 0x0
	s_load_dwordx2 s[6:7], s[6:7], 0x0
	s_waitcnt lgkmcnt(0)
	s_cmp_eq_u32 s14, 1
	s_cselect_b32 s11, s11, s16
	v_cvt_f32_u32_e32 v1, s11
	s_sub_i32 s12, 0, s11
	s_mul_i32 s8, s13, s15
	s_mul_i32 s9, s9, s0
	v_rcp_iflag_f32_e32 v1, v1
	v_mul_f32_e32 v1, 0x4f7ffffe, v1
	v_cvt_u32_f32_e32 v1, v1
	v_mul_lo_u32 v2, s12, v1
	v_mul_hi_u32 v2, v1, v2
	v_add_nc_u32_e32 v2, v1, v2
	v_mov_b32_e32 v1, 0
	s_inst_prefetch 0x1
	.p2align	6
.LBB188_2:                              ; =>This Inner Loop Header: Depth=1
	v_lshlrev_b64 v[3:4], 4, v[0:1]
	v_mul_hi_u32 v9, v2, v0
	v_add_co_u32 v3, vcc_lo, s6, v3
	v_add_co_ci_u32_e64 v4, null, s7, v4, vcc_lo
	v_mul_lo_u32 v7, s11, v9
	v_not_b32_e32 v8, v9
	v_add_nc_u32_e32 v10, 1, v9
	global_load_dwordx4 v[3:6], v[3:4], off
	v_sub_nc_u32_e32 v11, v0, v7
	v_mad_u64_u32 v[7:8], null, s11, v8, v[0:1]
	v_cmp_le_u32_e32 vcc_lo, s11, v11
	v_cndmask_b32_e32 v8, v9, v10, vcc_lo
	v_cndmask_b32_e32 v7, v11, v7, vcc_lo
	v_add_nc_u32_e32 v9, 1, v8
	v_cmp_le_u32_e32 vcc_lo, s11, v7
	v_cndmask_b32_e32 v9, v8, v9, vcc_lo
	v_mad_u64_u32 v[7:8], null, s12, v9, v[0:1]
	v_mul_lo_u32 v9, v9, s2
	v_mov_b32_e32 v8, v1
	v_add_nc_u32_e32 v0, s9, v0
	v_mul_lo_u32 v7, v7, s3
	v_cmp_le_u32_e32 vcc_lo, s10, v0
	s_or_b32 s1, vcc_lo, s1
	v_add3_u32 v7, v9, s8, v7
	v_lshlrev_b64 v[7:8], 4, v[7:8]
	v_add_co_u32 v7, s0, s4, v7
	v_add_co_ci_u32_e64 v8, null, s5, v8, s0
	s_waitcnt vmcnt(0)
	global_store_dwordx4 v[7:8], v[3:6], off
	s_andn2_b32 exec_lo, exec_lo, s1
	s_cbranch_execnz .LBB188_2
.LBB188_3:
	s_inst_prefetch 0x2
	s_endpgm
	.section	.rodata,"a",@progbits
	.p2align	6, 0x0
	.amdhsa_kernel _ZN2at6native12_GLOBAL__N_126CatArrayBatchedCopy_contigINS1_10OpaqueTypeILj16EEEjLi2ELi64ELi64EEEvPT_NS1_25CatArrInputTensorMetadataIS5_T0_XT2_EXT3_EEENS1_16TensorSizeStrideIS8_Lj4EEEiS8_
		.amdhsa_group_segment_fixed_size 0
		.amdhsa_private_segment_fixed_size 0
		.amdhsa_kernarg_size 3696
		.amdhsa_user_sgpr_count 6
		.amdhsa_user_sgpr_private_segment_buffer 1
		.amdhsa_user_sgpr_dispatch_ptr 0
		.amdhsa_user_sgpr_queue_ptr 0
		.amdhsa_user_sgpr_kernarg_segment_ptr 1
		.amdhsa_user_sgpr_dispatch_id 0
		.amdhsa_user_sgpr_flat_scratch_init 0
		.amdhsa_user_sgpr_private_segment_size 0
		.amdhsa_wavefront_size32 1
		.amdhsa_uses_dynamic_stack 0
		.amdhsa_system_sgpr_private_segment_wavefront_offset 0
		.amdhsa_system_sgpr_workgroup_id_x 1
		.amdhsa_system_sgpr_workgroup_id_y 1
		.amdhsa_system_sgpr_workgroup_id_z 0
		.amdhsa_system_sgpr_workgroup_info 0
		.amdhsa_system_vgpr_workitem_id 0
		.amdhsa_next_free_vgpr 12
		.amdhsa_next_free_sgpr 17
		.amdhsa_reserve_vcc 1
		.amdhsa_reserve_flat_scratch 0
		.amdhsa_float_round_mode_32 0
		.amdhsa_float_round_mode_16_64 0
		.amdhsa_float_denorm_mode_32 3
		.amdhsa_float_denorm_mode_16_64 3
		.amdhsa_dx10_clamp 1
		.amdhsa_ieee_mode 1
		.amdhsa_fp16_overflow 0
		.amdhsa_workgroup_processor_mode 1
		.amdhsa_memory_ordered 1
		.amdhsa_forward_progress 1
		.amdhsa_shared_vgpr_count 0
		.amdhsa_exception_fp_ieee_invalid_op 0
		.amdhsa_exception_fp_denorm_src 0
		.amdhsa_exception_fp_ieee_div_zero 0
		.amdhsa_exception_fp_ieee_overflow 0
		.amdhsa_exception_fp_ieee_underflow 0
		.amdhsa_exception_fp_ieee_inexact 0
		.amdhsa_exception_int_div_zero 0
	.end_amdhsa_kernel
	.section	.text._ZN2at6native12_GLOBAL__N_126CatArrayBatchedCopy_contigINS1_10OpaqueTypeILj16EEEjLi2ELi64ELi64EEEvPT_NS1_25CatArrInputTensorMetadataIS5_T0_XT2_EXT3_EEENS1_16TensorSizeStrideIS8_Lj4EEEiS8_,"axG",@progbits,_ZN2at6native12_GLOBAL__N_126CatArrayBatchedCopy_contigINS1_10OpaqueTypeILj16EEEjLi2ELi64ELi64EEEvPT_NS1_25CatArrInputTensorMetadataIS5_T0_XT2_EXT3_EEENS1_16TensorSizeStrideIS8_Lj4EEEiS8_,comdat
.Lfunc_end188:
	.size	_ZN2at6native12_GLOBAL__N_126CatArrayBatchedCopy_contigINS1_10OpaqueTypeILj16EEEjLi2ELi64ELi64EEEvPT_NS1_25CatArrInputTensorMetadataIS5_T0_XT2_EXT3_EEENS1_16TensorSizeStrideIS8_Lj4EEEiS8_, .Lfunc_end188-_ZN2at6native12_GLOBAL__N_126CatArrayBatchedCopy_contigINS1_10OpaqueTypeILj16EEEjLi2ELi64ELi64EEEvPT_NS1_25CatArrInputTensorMetadataIS5_T0_XT2_EXT3_EEENS1_16TensorSizeStrideIS8_Lj4EEEiS8_
                                        ; -- End function
	.set _ZN2at6native12_GLOBAL__N_126CatArrayBatchedCopy_contigINS1_10OpaqueTypeILj16EEEjLi2ELi64ELi64EEEvPT_NS1_25CatArrInputTensorMetadataIS5_T0_XT2_EXT3_EEENS1_16TensorSizeStrideIS8_Lj4EEEiS8_.num_vgpr, 12
	.set _ZN2at6native12_GLOBAL__N_126CatArrayBatchedCopy_contigINS1_10OpaqueTypeILj16EEEjLi2ELi64ELi64EEEvPT_NS1_25CatArrInputTensorMetadataIS5_T0_XT2_EXT3_EEENS1_16TensorSizeStrideIS8_Lj4EEEiS8_.num_agpr, 0
	.set _ZN2at6native12_GLOBAL__N_126CatArrayBatchedCopy_contigINS1_10OpaqueTypeILj16EEEjLi2ELi64ELi64EEEvPT_NS1_25CatArrInputTensorMetadataIS5_T0_XT2_EXT3_EEENS1_16TensorSizeStrideIS8_Lj4EEEiS8_.numbered_sgpr, 17
	.set _ZN2at6native12_GLOBAL__N_126CatArrayBatchedCopy_contigINS1_10OpaqueTypeILj16EEEjLi2ELi64ELi64EEEvPT_NS1_25CatArrInputTensorMetadataIS5_T0_XT2_EXT3_EEENS1_16TensorSizeStrideIS8_Lj4EEEiS8_.num_named_barrier, 0
	.set _ZN2at6native12_GLOBAL__N_126CatArrayBatchedCopy_contigINS1_10OpaqueTypeILj16EEEjLi2ELi64ELi64EEEvPT_NS1_25CatArrInputTensorMetadataIS5_T0_XT2_EXT3_EEENS1_16TensorSizeStrideIS8_Lj4EEEiS8_.private_seg_size, 0
	.set _ZN2at6native12_GLOBAL__N_126CatArrayBatchedCopy_contigINS1_10OpaqueTypeILj16EEEjLi2ELi64ELi64EEEvPT_NS1_25CatArrInputTensorMetadataIS5_T0_XT2_EXT3_EEENS1_16TensorSizeStrideIS8_Lj4EEEiS8_.uses_vcc, 1
	.set _ZN2at6native12_GLOBAL__N_126CatArrayBatchedCopy_contigINS1_10OpaqueTypeILj16EEEjLi2ELi64ELi64EEEvPT_NS1_25CatArrInputTensorMetadataIS5_T0_XT2_EXT3_EEENS1_16TensorSizeStrideIS8_Lj4EEEiS8_.uses_flat_scratch, 0
	.set _ZN2at6native12_GLOBAL__N_126CatArrayBatchedCopy_contigINS1_10OpaqueTypeILj16EEEjLi2ELi64ELi64EEEvPT_NS1_25CatArrInputTensorMetadataIS5_T0_XT2_EXT3_EEENS1_16TensorSizeStrideIS8_Lj4EEEiS8_.has_dyn_sized_stack, 0
	.set _ZN2at6native12_GLOBAL__N_126CatArrayBatchedCopy_contigINS1_10OpaqueTypeILj16EEEjLi2ELi64ELi64EEEvPT_NS1_25CatArrInputTensorMetadataIS5_T0_XT2_EXT3_EEENS1_16TensorSizeStrideIS8_Lj4EEEiS8_.has_recursion, 0
	.set _ZN2at6native12_GLOBAL__N_126CatArrayBatchedCopy_contigINS1_10OpaqueTypeILj16EEEjLi2ELi64ELi64EEEvPT_NS1_25CatArrInputTensorMetadataIS5_T0_XT2_EXT3_EEENS1_16TensorSizeStrideIS8_Lj4EEEiS8_.has_indirect_call, 0
	.section	.AMDGPU.csdata,"",@progbits
; Kernel info:
; codeLenInByte = 512
; TotalNumSgprs: 19
; NumVgprs: 12
; ScratchSize: 0
; MemoryBound: 0
; FloatMode: 240
; IeeeMode: 1
; LDSByteSize: 0 bytes/workgroup (compile time only)
; SGPRBlocks: 0
; VGPRBlocks: 1
; NumSGPRsForWavesPerEU: 19
; NumVGPRsForWavesPerEU: 12
; Occupancy: 16
; WaveLimiterHint : 1
; COMPUTE_PGM_RSRC2:SCRATCH_EN: 0
; COMPUTE_PGM_RSRC2:USER_SGPR: 6
; COMPUTE_PGM_RSRC2:TRAP_HANDLER: 0
; COMPUTE_PGM_RSRC2:TGID_X_EN: 1
; COMPUTE_PGM_RSRC2:TGID_Y_EN: 1
; COMPUTE_PGM_RSRC2:TGID_Z_EN: 0
; COMPUTE_PGM_RSRC2:TIDIG_COMP_CNT: 0
	.section	.text._ZN2at6native12_GLOBAL__N_119CatArrayBatchedCopyINS1_10OpaqueTypeILj16EEEjLi2ELi64ELi64EEEvPT_NS1_25CatArrInputTensorMetadataIS5_T0_XT2_EXT3_EEENS1_16TensorSizeStrideIS8_Lj4EEEiS8_,"axG",@progbits,_ZN2at6native12_GLOBAL__N_119CatArrayBatchedCopyINS1_10OpaqueTypeILj16EEEjLi2ELi64ELi64EEEvPT_NS1_25CatArrInputTensorMetadataIS5_T0_XT2_EXT3_EEENS1_16TensorSizeStrideIS8_Lj4EEEiS8_,comdat
	.globl	_ZN2at6native12_GLOBAL__N_119CatArrayBatchedCopyINS1_10OpaqueTypeILj16EEEjLi2ELi64ELi64EEEvPT_NS1_25CatArrInputTensorMetadataIS5_T0_XT2_EXT3_EEENS1_16TensorSizeStrideIS8_Lj4EEEiS8_ ; -- Begin function _ZN2at6native12_GLOBAL__N_119CatArrayBatchedCopyINS1_10OpaqueTypeILj16EEEjLi2ELi64ELi64EEEvPT_NS1_25CatArrInputTensorMetadataIS5_T0_XT2_EXT3_EEENS1_16TensorSizeStrideIS8_Lj4EEEiS8_
	.p2align	8
	.type	_ZN2at6native12_GLOBAL__N_119CatArrayBatchedCopyINS1_10OpaqueTypeILj16EEEjLi2ELi64ELi64EEEvPT_NS1_25CatArrInputTensorMetadataIS5_T0_XT2_EXT3_EEENS1_16TensorSizeStrideIS8_Lj4EEEiS8_,@function
_ZN2at6native12_GLOBAL__N_119CatArrayBatchedCopyINS1_10OpaqueTypeILj16EEEjLi2ELi64ELi64EEEvPT_NS1_25CatArrInputTensorMetadataIS5_T0_XT2_EXT3_EEENS1_16TensorSizeStrideIS8_Lj4EEEiS8_: ; @_ZN2at6native12_GLOBAL__N_119CatArrayBatchedCopyINS1_10OpaqueTypeILj16EEEjLi2ELi64ELi64EEEvPT_NS1_25CatArrInputTensorMetadataIS5_T0_XT2_EXT3_EEENS1_16TensorSizeStrideIS8_Lj4EEEiS8_
; %bb.0:
	s_load_dword s8, s[4:5], 0xd7c
	s_mov_b32 s0, s7
	s_or_b32 s7, s4, 8
	s_mov_b32 s1, 0
	s_add_u32 s10, s4, 0xd70
	s_addc_u32 s11, s5, 0
	s_lshl_b64 s[2:3], s[0:1], 2
	s_mov_b32 s13, exec_lo
	s_waitcnt lgkmcnt(0)
	s_and_b32 s17, s8, 0xffff
	s_add_u32 s8, s7, s2
	s_addc_u32 s9, s5, s3
	v_mad_u64_u32 v[0:1], null, s6, s17, v[0:1]
	s_load_dword s12, s[8:9], 0x400
	s_waitcnt lgkmcnt(0)
	v_cmpx_gt_u32_e64 s12, v0
	s_cbranch_execz .LBB189_5
; %bb.1:
	s_mul_i32 s13, s0, 28
	s_mul_hi_u32 s14, s0, 28
	s_add_u32 s8, s8, s13
	v_mov_b32_e32 v1, 0
	s_addc_u32 s9, s9, s14
	s_add_u32 s14, s7, s0
	s_addc_u32 s15, s5, 0
	s_load_dwordx2 s[18:19], s[4:5], 0xd68
	global_load_ubyte v2, v1, s[14:15] offset:1280
	s_mul_hi_u32 s6, s0, 7
	s_mul_i32 s0, s0, 7
	s_waitcnt vmcnt(0)
	v_and_b32_e32 v2, 1, v2
	v_cmp_eq_u32_e32 vcc_lo, 1, v2
	s_xor_b32 s13, vcc_lo, -1
	s_add_u32 s14, s14, s0
	s_addc_u32 s15, s15, s6
	s_sub_u32 s0, 0, s2
	s_subb_u32 s2, 0, s3
	s_add_u32 s20, s14, s0
	s_addc_u32 s21, s15, s2
	s_clause 0x3
	s_load_dword s0, s[4:5], 0xd4c
	s_load_dword s16, s[20:21], 0x300
	;; [unrolled: 1-line block ×3, first 2 shown]
	s_load_dwordx2 s[2:3], s[4:5], 0xd58
	s_waitcnt lgkmcnt(0)
	s_cmp_eq_u32 s18, 1
	s_clause 0x3
	s_load_dwordx2 s[6:7], s[8:9], 0x550
	s_load_dwordx2 s[8:9], s[14:15], 0x0
	s_load_dword s18, s[20:21], 0x200
	s_load_dwordx2 s[4:5], s[4:5], 0x0
	s_cselect_b32 s14, s16, s0
	s_cselect_b32 s15, s16, s22
	v_cvt_f32_u32_e32 v2, s14
	v_cvt_f32_u32_e32 v3, s15
	s_load_dword s0, s[10:11], 0x0
	s_sub_i32 s10, 0, s14
	s_sub_i32 s11, 0, s15
	v_rcp_iflag_f32_e32 v2, v2
	v_rcp_iflag_f32_e32 v3, v3
	s_waitcnt lgkmcnt(0)
	s_mul_i32 s16, s18, s19
	v_mul_f32_e32 v2, 0x4f7ffffe, v2
	v_mul_f32_e32 v3, 0x4f7ffffe, v3
	v_cvt_u32_f32_e32 v2, v2
	v_cvt_u32_f32_e32 v3, v3
	s_mul_i32 s17, s0, s17
	v_mul_lo_u32 v4, s10, v2
	v_mul_lo_u32 v5, s11, v3
	v_mul_hi_u32 v4, v2, v4
	v_mul_hi_u32 v5, v3, v5
	v_add_nc_u32_e32 v4, v2, v4
	v_add_nc_u32_e32 v5, v3, v5
	s_branch .LBB189_3
.LBB189_2:                              ;   in Loop: Header=BB189_3 Depth=1
	v_lshlrev_b64 v[2:3], 4, v[2:3]
	v_mul_hi_u32 v12, v4, v0
	v_add_co_u32 v2, vcc_lo, s8, v2
	v_add_co_ci_u32_e64 v3, null, s9, v3, vcc_lo
	v_not_b32_e32 v10, v12
	global_load_dwordx4 v[6:9], v[2:3], off
	v_mad_u64_u32 v[2:3], null, s10, v12, v[0:1]
	v_mad_u64_u32 v[10:11], null, s14, v10, v[0:1]
	v_add_nc_u32_e32 v3, 1, v12
	v_cmp_le_u32_e32 vcc_lo, s14, v2
	v_cndmask_b32_e32 v3, v12, v3, vcc_lo
	v_cndmask_b32_e32 v2, v2, v10, vcc_lo
	v_add_nc_u32_e32 v10, 1, v3
	v_cmp_le_u32_e32 vcc_lo, s14, v2
	v_cndmask_b32_e32 v10, v3, v10, vcc_lo
	v_mad_u64_u32 v[2:3], null, s10, v10, v[0:1]
	v_mul_lo_u32 v3, v10, s2
	v_add_nc_u32_e32 v0, s17, v0
	v_cmp_le_u32_e32 vcc_lo, s12, v0
	v_mul_lo_u32 v2, v2, s3
	s_or_b32 s1, vcc_lo, s1
	v_add3_u32 v2, v2, v3, s16
	v_mov_b32_e32 v3, v1
	v_lshlrev_b64 v[2:3], 4, v[2:3]
	v_add_co_u32 v2, s0, s4, v2
	v_add_co_ci_u32_e64 v3, null, s5, v3, s0
	s_waitcnt vmcnt(0)
	global_store_dwordx4 v[2:3], v[6:9], off
	s_andn2_b32 exec_lo, exec_lo, s1
	s_cbranch_execz .LBB189_5
.LBB189_3:                              ; =>This Inner Loop Header: Depth=1
	v_mov_b32_e32 v3, v1
	v_mov_b32_e32 v2, v0
	s_andn2_b32 vcc_lo, exec_lo, s13
	s_cbranch_vccnz .LBB189_2
; %bb.4:                                ;   in Loop: Header=BB189_3 Depth=1
	v_mul_hi_u32 v8, v5, v0
	v_not_b32_e32 v6, v8
	v_mad_u64_u32 v[2:3], null, s11, v8, v[0:1]
	v_add_nc_u32_e32 v3, 1, v8
	v_mad_u64_u32 v[6:7], null, s15, v6, v[0:1]
	v_cmp_le_u32_e32 vcc_lo, s15, v2
	v_cndmask_b32_e32 v3, v8, v3, vcc_lo
	v_cndmask_b32_e32 v2, v2, v6, vcc_lo
	v_add_nc_u32_e32 v6, 1, v3
	v_cmp_le_u32_e32 vcc_lo, s15, v2
	v_cndmask_b32_e32 v6, v3, v6, vcc_lo
	v_mad_u64_u32 v[2:3], null, s11, v6, v[0:1]
	v_mul_lo_u32 v3, v6, s6
	v_mad_u64_u32 v[2:3], null, v2, s7, v[3:4]
	v_mov_b32_e32 v3, v1
	s_branch .LBB189_2
.LBB189_5:
	s_endpgm
	.section	.rodata,"a",@progbits
	.p2align	6, 0x0
	.amdhsa_kernel _ZN2at6native12_GLOBAL__N_119CatArrayBatchedCopyINS1_10OpaqueTypeILj16EEEjLi2ELi64ELi64EEEvPT_NS1_25CatArrInputTensorMetadataIS5_T0_XT2_EXT3_EEENS1_16TensorSizeStrideIS8_Lj4EEEiS8_
		.amdhsa_group_segment_fixed_size 0
		.amdhsa_private_segment_fixed_size 0
		.amdhsa_kernarg_size 3696
		.amdhsa_user_sgpr_count 6
		.amdhsa_user_sgpr_private_segment_buffer 1
		.amdhsa_user_sgpr_dispatch_ptr 0
		.amdhsa_user_sgpr_queue_ptr 0
		.amdhsa_user_sgpr_kernarg_segment_ptr 1
		.amdhsa_user_sgpr_dispatch_id 0
		.amdhsa_user_sgpr_flat_scratch_init 0
		.amdhsa_user_sgpr_private_segment_size 0
		.amdhsa_wavefront_size32 1
		.amdhsa_uses_dynamic_stack 0
		.amdhsa_system_sgpr_private_segment_wavefront_offset 0
		.amdhsa_system_sgpr_workgroup_id_x 1
		.amdhsa_system_sgpr_workgroup_id_y 1
		.amdhsa_system_sgpr_workgroup_id_z 0
		.amdhsa_system_sgpr_workgroup_info 0
		.amdhsa_system_vgpr_workitem_id 0
		.amdhsa_next_free_vgpr 13
		.amdhsa_next_free_sgpr 23
		.amdhsa_reserve_vcc 1
		.amdhsa_reserve_flat_scratch 0
		.amdhsa_float_round_mode_32 0
		.amdhsa_float_round_mode_16_64 0
		.amdhsa_float_denorm_mode_32 3
		.amdhsa_float_denorm_mode_16_64 3
		.amdhsa_dx10_clamp 1
		.amdhsa_ieee_mode 1
		.amdhsa_fp16_overflow 0
		.amdhsa_workgroup_processor_mode 1
		.amdhsa_memory_ordered 1
		.amdhsa_forward_progress 1
		.amdhsa_shared_vgpr_count 0
		.amdhsa_exception_fp_ieee_invalid_op 0
		.amdhsa_exception_fp_denorm_src 0
		.amdhsa_exception_fp_ieee_div_zero 0
		.amdhsa_exception_fp_ieee_overflow 0
		.amdhsa_exception_fp_ieee_underflow 0
		.amdhsa_exception_fp_ieee_inexact 0
		.amdhsa_exception_int_div_zero 0
	.end_amdhsa_kernel
	.section	.text._ZN2at6native12_GLOBAL__N_119CatArrayBatchedCopyINS1_10OpaqueTypeILj16EEEjLi2ELi64ELi64EEEvPT_NS1_25CatArrInputTensorMetadataIS5_T0_XT2_EXT3_EEENS1_16TensorSizeStrideIS8_Lj4EEEiS8_,"axG",@progbits,_ZN2at6native12_GLOBAL__N_119CatArrayBatchedCopyINS1_10OpaqueTypeILj16EEEjLi2ELi64ELi64EEEvPT_NS1_25CatArrInputTensorMetadataIS5_T0_XT2_EXT3_EEENS1_16TensorSizeStrideIS8_Lj4EEEiS8_,comdat
.Lfunc_end189:
	.size	_ZN2at6native12_GLOBAL__N_119CatArrayBatchedCopyINS1_10OpaqueTypeILj16EEEjLi2ELi64ELi64EEEvPT_NS1_25CatArrInputTensorMetadataIS5_T0_XT2_EXT3_EEENS1_16TensorSizeStrideIS8_Lj4EEEiS8_, .Lfunc_end189-_ZN2at6native12_GLOBAL__N_119CatArrayBatchedCopyINS1_10OpaqueTypeILj16EEEjLi2ELi64ELi64EEEvPT_NS1_25CatArrInputTensorMetadataIS5_T0_XT2_EXT3_EEENS1_16TensorSizeStrideIS8_Lj4EEEiS8_
                                        ; -- End function
	.set _ZN2at6native12_GLOBAL__N_119CatArrayBatchedCopyINS1_10OpaqueTypeILj16EEEjLi2ELi64ELi64EEEvPT_NS1_25CatArrInputTensorMetadataIS5_T0_XT2_EXT3_EEENS1_16TensorSizeStrideIS8_Lj4EEEiS8_.num_vgpr, 13
	.set _ZN2at6native12_GLOBAL__N_119CatArrayBatchedCopyINS1_10OpaqueTypeILj16EEEjLi2ELi64ELi64EEEvPT_NS1_25CatArrInputTensorMetadataIS5_T0_XT2_EXT3_EEENS1_16TensorSizeStrideIS8_Lj4EEEiS8_.num_agpr, 0
	.set _ZN2at6native12_GLOBAL__N_119CatArrayBatchedCopyINS1_10OpaqueTypeILj16EEEjLi2ELi64ELi64EEEvPT_NS1_25CatArrInputTensorMetadataIS5_T0_XT2_EXT3_EEENS1_16TensorSizeStrideIS8_Lj4EEEiS8_.numbered_sgpr, 23
	.set _ZN2at6native12_GLOBAL__N_119CatArrayBatchedCopyINS1_10OpaqueTypeILj16EEEjLi2ELi64ELi64EEEvPT_NS1_25CatArrInputTensorMetadataIS5_T0_XT2_EXT3_EEENS1_16TensorSizeStrideIS8_Lj4EEEiS8_.num_named_barrier, 0
	.set _ZN2at6native12_GLOBAL__N_119CatArrayBatchedCopyINS1_10OpaqueTypeILj16EEEjLi2ELi64ELi64EEEvPT_NS1_25CatArrInputTensorMetadataIS5_T0_XT2_EXT3_EEENS1_16TensorSizeStrideIS8_Lj4EEEiS8_.private_seg_size, 0
	.set _ZN2at6native12_GLOBAL__N_119CatArrayBatchedCopyINS1_10OpaqueTypeILj16EEEjLi2ELi64ELi64EEEvPT_NS1_25CatArrInputTensorMetadataIS5_T0_XT2_EXT3_EEENS1_16TensorSizeStrideIS8_Lj4EEEiS8_.uses_vcc, 1
	.set _ZN2at6native12_GLOBAL__N_119CatArrayBatchedCopyINS1_10OpaqueTypeILj16EEEjLi2ELi64ELi64EEEvPT_NS1_25CatArrInputTensorMetadataIS5_T0_XT2_EXT3_EEENS1_16TensorSizeStrideIS8_Lj4EEEiS8_.uses_flat_scratch, 0
	.set _ZN2at6native12_GLOBAL__N_119CatArrayBatchedCopyINS1_10OpaqueTypeILj16EEEjLi2ELi64ELi64EEEvPT_NS1_25CatArrInputTensorMetadataIS5_T0_XT2_EXT3_EEENS1_16TensorSizeStrideIS8_Lj4EEEiS8_.has_dyn_sized_stack, 0
	.set _ZN2at6native12_GLOBAL__N_119CatArrayBatchedCopyINS1_10OpaqueTypeILj16EEEjLi2ELi64ELi64EEEvPT_NS1_25CatArrInputTensorMetadataIS5_T0_XT2_EXT3_EEENS1_16TensorSizeStrideIS8_Lj4EEEiS8_.has_recursion, 0
	.set _ZN2at6native12_GLOBAL__N_119CatArrayBatchedCopyINS1_10OpaqueTypeILj16EEEjLi2ELi64ELi64EEEvPT_NS1_25CatArrInputTensorMetadataIS5_T0_XT2_EXT3_EEENS1_16TensorSizeStrideIS8_Lj4EEEiS8_.has_indirect_call, 0
	.section	.AMDGPU.csdata,"",@progbits
; Kernel info:
; codeLenInByte = 672
; TotalNumSgprs: 25
; NumVgprs: 13
; ScratchSize: 0
; MemoryBound: 0
; FloatMode: 240
; IeeeMode: 1
; LDSByteSize: 0 bytes/workgroup (compile time only)
; SGPRBlocks: 0
; VGPRBlocks: 1
; NumSGPRsForWavesPerEU: 25
; NumVGPRsForWavesPerEU: 13
; Occupancy: 16
; WaveLimiterHint : 1
; COMPUTE_PGM_RSRC2:SCRATCH_EN: 0
; COMPUTE_PGM_RSRC2:USER_SGPR: 6
; COMPUTE_PGM_RSRC2:TRAP_HANDLER: 0
; COMPUTE_PGM_RSRC2:TGID_X_EN: 1
; COMPUTE_PGM_RSRC2:TGID_Y_EN: 1
; COMPUTE_PGM_RSRC2:TGID_Z_EN: 0
; COMPUTE_PGM_RSRC2:TIDIG_COMP_CNT: 0
	.section	.text._ZN2at6native12_GLOBAL__N_130CatArrayBatchedCopy_vectorizedINS1_10OpaqueTypeILj16EEEjLi3ELi64ELi64ELi16ELi1EEEvPcNS1_25CatArrInputTensorMetadataIT_T0_XT2_EXT3_EEENS1_16TensorSizeStrideIS8_Lj4EEEiS8_,"axG",@progbits,_ZN2at6native12_GLOBAL__N_130CatArrayBatchedCopy_vectorizedINS1_10OpaqueTypeILj16EEEjLi3ELi64ELi64ELi16ELi1EEEvPcNS1_25CatArrInputTensorMetadataIT_T0_XT2_EXT3_EEENS1_16TensorSizeStrideIS8_Lj4EEEiS8_,comdat
	.globl	_ZN2at6native12_GLOBAL__N_130CatArrayBatchedCopy_vectorizedINS1_10OpaqueTypeILj16EEEjLi3ELi64ELi64ELi16ELi1EEEvPcNS1_25CatArrInputTensorMetadataIT_T0_XT2_EXT3_EEENS1_16TensorSizeStrideIS8_Lj4EEEiS8_ ; -- Begin function _ZN2at6native12_GLOBAL__N_130CatArrayBatchedCopy_vectorizedINS1_10OpaqueTypeILj16EEEjLi3ELi64ELi64ELi16ELi1EEEvPcNS1_25CatArrInputTensorMetadataIT_T0_XT2_EXT3_EEENS1_16TensorSizeStrideIS8_Lj4EEEiS8_
	.p2align	8
	.type	_ZN2at6native12_GLOBAL__N_130CatArrayBatchedCopy_vectorizedINS1_10OpaqueTypeILj16EEEjLi3ELi64ELi64ELi16ELi1EEEvPcNS1_25CatArrInputTensorMetadataIT_T0_XT2_EXT3_EEENS1_16TensorSizeStrideIS8_Lj4EEEiS8_,@function
_ZN2at6native12_GLOBAL__N_130CatArrayBatchedCopy_vectorizedINS1_10OpaqueTypeILj16EEEjLi3ELi64ELi64ELi16ELi1EEEvPcNS1_25CatArrInputTensorMetadataIT_T0_XT2_EXT3_EEENS1_16TensorSizeStrideIS8_Lj4EEEiS8_: ; @_ZN2at6native12_GLOBAL__N_130CatArrayBatchedCopy_vectorizedINS1_10OpaqueTypeILj16EEEjLi3ELi64ELi64ELi16ELi1EEEvPcNS1_25CatArrInputTensorMetadataIT_T0_XT2_EXT3_EEENS1_16TensorSizeStrideIS8_Lj4EEEiS8_
; %bb.0:
	s_mov_b32 s0, s7
	s_load_dword s7, s[4:5], 0xd7c
	s_mov_b32 s1, 0
	s_add_u32 s2, s4, 0xd70
	s_addc_u32 s3, s5, 0
	s_lshl_b64 s[8:9], s[0:1], 2
	s_waitcnt lgkmcnt(0)
	s_and_b32 s13, s7, 0xffff
	s_add_u32 s10, s4, s8
	s_addc_u32 s11, s5, s9
	v_mad_u64_u32 v[0:1], null, s6, s13, v[0:1]
	s_load_dword s7, s[10:11], 0x408
	s_add_u32 s0, s10, 8
	s_addc_u32 s6, s11, 0
	s_mov_b32 s10, exec_lo
	s_waitcnt lgkmcnt(0)
	v_cmpx_gt_u32_e64 s7, v0
	s_cbranch_execz .LBB190_3
; %bb.1:
	s_add_u32 s14, s0, s8
	s_addc_u32 s15, s6, s9
	s_sub_u32 s0, 0, s8
	s_subb_u32 s6, 0, s9
	s_add_u32 s8, s14, s0
	s_addc_u32 s9, s15, s6
	s_clause 0x5
	s_load_dwordx2 s[16:17], s[4:5], 0xd68
	s_load_dword s0, s[8:9], 0x200
	s_load_dword s6, s[8:9], 0x300
	s_load_dwordx2 s[18:19], s[4:5], 0xd4c
	s_load_dwordx4 s[8:11], s[4:5], 0xd58
	s_load_dwordx2 s[22:23], s[4:5], 0x0
	s_waitcnt lgkmcnt(0)
	s_mul_i32 s0, s0, s17
	s_mul_i32 s6, s6, s17
	s_lshl_b64 s[20:21], s[0:1], 4
	s_cmp_eq_u32 s16, 2
	s_cselect_b32 s4, s6, s19
	s_cmp_eq_u32 s16, 1
	v_cvt_f32_u32_e32 v1, s4
	s_cselect_b32 s5, s6, s18
	s_add_u32 s6, s22, s20
	v_cvt_f32_u32_e32 v2, s5
	s_addc_u32 s11, s23, s21
	v_rcp_iflag_f32_e32 v1, v1
	s_sub_i32 s12, 0, s4
	s_sub_i32 s0, 0, s5
	v_rcp_iflag_f32_e32 v2, v2
	s_load_dword s16, s[2:3], 0x0
	s_load_dwordx2 s[2:3], s[14:15], 0x0
	v_mul_f32_e32 v1, 0x4f7ffffe, v1
	v_mul_f32_e32 v2, 0x4f7ffffe, v2
	v_cvt_u32_f32_e32 v1, v1
	v_cvt_u32_f32_e32 v3, v2
	v_mul_lo_u32 v2, s12, v1
	v_mul_lo_u32 v4, s0, v3
	s_waitcnt lgkmcnt(0)
	s_mul_i32 s13, s16, s13
	v_mul_hi_u32 v2, v1, v2
	v_mul_hi_u32 v4, v3, v4
	v_add_nc_u32_e32 v2, v1, v2
	v_mov_b32_e32 v1, 0
	v_add_nc_u32_e32 v3, v3, v4
.LBB190_2:                              ; =>This Inner Loop Header: Depth=1
	v_lshlrev_b64 v[4:5], 4, v[0:1]
	v_mul_hi_u32 v10, v2, v0
	v_add_co_u32 v4, vcc_lo, s2, v4
	v_add_co_ci_u32_e64 v5, null, s3, v5, vcc_lo
	v_mul_lo_u32 v11, s4, v10
	v_not_b32_e32 v8, v10
	v_add_nc_u32_e32 v12, 1, v10
	global_load_dwordx4 v[4:7], v[4:5], off
	v_mad_u64_u32 v[8:9], null, s4, v8, v[0:1]
	v_sub_nc_u32_e32 v9, v0, v11
	v_cmp_le_u32_e32 vcc_lo, s4, v9
	v_cndmask_b32_e32 v10, v10, v12, vcc_lo
	v_cndmask_b32_e32 v8, v9, v8, vcc_lo
	v_add_nc_u32_e32 v9, 1, v10
	v_cmp_le_u32_e32 vcc_lo, s4, v8
	v_cndmask_b32_e32 v10, v10, v9, vcc_lo
	v_mul_hi_u32 v8, v10, v3
	v_mul_lo_u32 v9, v8, s5
	v_add_nc_u32_e32 v11, 1, v8
	v_sub_nc_u32_e32 v9, v10, v9
	v_subrev_nc_u32_e32 v12, s5, v9
	v_cmp_le_u32_e32 vcc_lo, s5, v9
	v_cndmask_b32_e32 v8, v8, v11, vcc_lo
	v_cndmask_b32_e32 v9, v9, v12, vcc_lo
	v_add_nc_u32_e32 v11, 1, v8
	v_cmp_le_u32_e32 vcc_lo, s5, v9
	v_cndmask_b32_e32 v11, v8, v11, vcc_lo
	v_mad_u64_u32 v[8:9], null, s12, v10, v[0:1]
	v_add_nc_u32_e32 v0, s13, v0
	v_mul_lo_u32 v12, v11, s5
	v_cmp_le_u32_e32 vcc_lo, s7, v0
	v_mul_lo_u32 v8, v8, s10
	v_sub_nc_u32_e32 v9, v10, v12
	v_mul_lo_u32 v10, v11, s8
	s_or_b32 s1, vcc_lo, s1
	v_mul_lo_u32 v11, v9, s9
	v_mov_b32_e32 v9, v1
	v_add3_u32 v8, v8, v10, v11
	v_lshlrev_b64 v[8:9], 4, v[8:9]
	v_add_co_u32 v8, s0, s6, v8
	v_add_co_ci_u32_e64 v9, null, s11, v9, s0
	s_waitcnt vmcnt(0)
	global_store_dwordx4 v[8:9], v[4:7], off
	s_andn2_b32 exec_lo, exec_lo, s1
	s_cbranch_execnz .LBB190_2
.LBB190_3:
	s_endpgm
	.section	.rodata,"a",@progbits
	.p2align	6, 0x0
	.amdhsa_kernel _ZN2at6native12_GLOBAL__N_130CatArrayBatchedCopy_vectorizedINS1_10OpaqueTypeILj16EEEjLi3ELi64ELi64ELi16ELi1EEEvPcNS1_25CatArrInputTensorMetadataIT_T0_XT2_EXT3_EEENS1_16TensorSizeStrideIS8_Lj4EEEiS8_
		.amdhsa_group_segment_fixed_size 0
		.amdhsa_private_segment_fixed_size 0
		.amdhsa_kernarg_size 3696
		.amdhsa_user_sgpr_count 6
		.amdhsa_user_sgpr_private_segment_buffer 1
		.amdhsa_user_sgpr_dispatch_ptr 0
		.amdhsa_user_sgpr_queue_ptr 0
		.amdhsa_user_sgpr_kernarg_segment_ptr 1
		.amdhsa_user_sgpr_dispatch_id 0
		.amdhsa_user_sgpr_flat_scratch_init 0
		.amdhsa_user_sgpr_private_segment_size 0
		.amdhsa_wavefront_size32 1
		.amdhsa_uses_dynamic_stack 0
		.amdhsa_system_sgpr_private_segment_wavefront_offset 0
		.amdhsa_system_sgpr_workgroup_id_x 1
		.amdhsa_system_sgpr_workgroup_id_y 1
		.amdhsa_system_sgpr_workgroup_id_z 0
		.amdhsa_system_sgpr_workgroup_info 0
		.amdhsa_system_vgpr_workitem_id 0
		.amdhsa_next_free_vgpr 13
		.amdhsa_next_free_sgpr 24
		.amdhsa_reserve_vcc 1
		.amdhsa_reserve_flat_scratch 0
		.amdhsa_float_round_mode_32 0
		.amdhsa_float_round_mode_16_64 0
		.amdhsa_float_denorm_mode_32 3
		.amdhsa_float_denorm_mode_16_64 3
		.amdhsa_dx10_clamp 1
		.amdhsa_ieee_mode 1
		.amdhsa_fp16_overflow 0
		.amdhsa_workgroup_processor_mode 1
		.amdhsa_memory_ordered 1
		.amdhsa_forward_progress 1
		.amdhsa_shared_vgpr_count 0
		.amdhsa_exception_fp_ieee_invalid_op 0
		.amdhsa_exception_fp_denorm_src 0
		.amdhsa_exception_fp_ieee_div_zero 0
		.amdhsa_exception_fp_ieee_overflow 0
		.amdhsa_exception_fp_ieee_underflow 0
		.amdhsa_exception_fp_ieee_inexact 0
		.amdhsa_exception_int_div_zero 0
	.end_amdhsa_kernel
	.section	.text._ZN2at6native12_GLOBAL__N_130CatArrayBatchedCopy_vectorizedINS1_10OpaqueTypeILj16EEEjLi3ELi64ELi64ELi16ELi1EEEvPcNS1_25CatArrInputTensorMetadataIT_T0_XT2_EXT3_EEENS1_16TensorSizeStrideIS8_Lj4EEEiS8_,"axG",@progbits,_ZN2at6native12_GLOBAL__N_130CatArrayBatchedCopy_vectorizedINS1_10OpaqueTypeILj16EEEjLi3ELi64ELi64ELi16ELi1EEEvPcNS1_25CatArrInputTensorMetadataIT_T0_XT2_EXT3_EEENS1_16TensorSizeStrideIS8_Lj4EEEiS8_,comdat
.Lfunc_end190:
	.size	_ZN2at6native12_GLOBAL__N_130CatArrayBatchedCopy_vectorizedINS1_10OpaqueTypeILj16EEEjLi3ELi64ELi64ELi16ELi1EEEvPcNS1_25CatArrInputTensorMetadataIT_T0_XT2_EXT3_EEENS1_16TensorSizeStrideIS8_Lj4EEEiS8_, .Lfunc_end190-_ZN2at6native12_GLOBAL__N_130CatArrayBatchedCopy_vectorizedINS1_10OpaqueTypeILj16EEEjLi3ELi64ELi64ELi16ELi1EEEvPcNS1_25CatArrInputTensorMetadataIT_T0_XT2_EXT3_EEENS1_16TensorSizeStrideIS8_Lj4EEEiS8_
                                        ; -- End function
	.set _ZN2at6native12_GLOBAL__N_130CatArrayBatchedCopy_vectorizedINS1_10OpaqueTypeILj16EEEjLi3ELi64ELi64ELi16ELi1EEEvPcNS1_25CatArrInputTensorMetadataIT_T0_XT2_EXT3_EEENS1_16TensorSizeStrideIS8_Lj4EEEiS8_.num_vgpr, 13
	.set _ZN2at6native12_GLOBAL__N_130CatArrayBatchedCopy_vectorizedINS1_10OpaqueTypeILj16EEEjLi3ELi64ELi64ELi16ELi1EEEvPcNS1_25CatArrInputTensorMetadataIT_T0_XT2_EXT3_EEENS1_16TensorSizeStrideIS8_Lj4EEEiS8_.num_agpr, 0
	.set _ZN2at6native12_GLOBAL__N_130CatArrayBatchedCopy_vectorizedINS1_10OpaqueTypeILj16EEEjLi3ELi64ELi64ELi16ELi1EEEvPcNS1_25CatArrInputTensorMetadataIT_T0_XT2_EXT3_EEENS1_16TensorSizeStrideIS8_Lj4EEEiS8_.numbered_sgpr, 24
	.set _ZN2at6native12_GLOBAL__N_130CatArrayBatchedCopy_vectorizedINS1_10OpaqueTypeILj16EEEjLi3ELi64ELi64ELi16ELi1EEEvPcNS1_25CatArrInputTensorMetadataIT_T0_XT2_EXT3_EEENS1_16TensorSizeStrideIS8_Lj4EEEiS8_.num_named_barrier, 0
	.set _ZN2at6native12_GLOBAL__N_130CatArrayBatchedCopy_vectorizedINS1_10OpaqueTypeILj16EEEjLi3ELi64ELi64ELi16ELi1EEEvPcNS1_25CatArrInputTensorMetadataIT_T0_XT2_EXT3_EEENS1_16TensorSizeStrideIS8_Lj4EEEiS8_.private_seg_size, 0
	.set _ZN2at6native12_GLOBAL__N_130CatArrayBatchedCopy_vectorizedINS1_10OpaqueTypeILj16EEEjLi3ELi64ELi64ELi16ELi1EEEvPcNS1_25CatArrInputTensorMetadataIT_T0_XT2_EXT3_EEENS1_16TensorSizeStrideIS8_Lj4EEEiS8_.uses_vcc, 1
	.set _ZN2at6native12_GLOBAL__N_130CatArrayBatchedCopy_vectorizedINS1_10OpaqueTypeILj16EEEjLi3ELi64ELi64ELi16ELi1EEEvPcNS1_25CatArrInputTensorMetadataIT_T0_XT2_EXT3_EEENS1_16TensorSizeStrideIS8_Lj4EEEiS8_.uses_flat_scratch, 0
	.set _ZN2at6native12_GLOBAL__N_130CatArrayBatchedCopy_vectorizedINS1_10OpaqueTypeILj16EEEjLi3ELi64ELi64ELi16ELi1EEEvPcNS1_25CatArrInputTensorMetadataIT_T0_XT2_EXT3_EEENS1_16TensorSizeStrideIS8_Lj4EEEiS8_.has_dyn_sized_stack, 0
	.set _ZN2at6native12_GLOBAL__N_130CatArrayBatchedCopy_vectorizedINS1_10OpaqueTypeILj16EEEjLi3ELi64ELi64ELi16ELi1EEEvPcNS1_25CatArrInputTensorMetadataIT_T0_XT2_EXT3_EEENS1_16TensorSizeStrideIS8_Lj4EEEiS8_.has_recursion, 0
	.set _ZN2at6native12_GLOBAL__N_130CatArrayBatchedCopy_vectorizedINS1_10OpaqueTypeILj16EEEjLi3ELi64ELi64ELi16ELi1EEEvPcNS1_25CatArrInputTensorMetadataIT_T0_XT2_EXT3_EEENS1_16TensorSizeStrideIS8_Lj4EEEiS8_.has_indirect_call, 0
	.section	.AMDGPU.csdata,"",@progbits
; Kernel info:
; codeLenInByte = 588
; TotalNumSgprs: 26
; NumVgprs: 13
; ScratchSize: 0
; MemoryBound: 0
; FloatMode: 240
; IeeeMode: 1
; LDSByteSize: 0 bytes/workgroup (compile time only)
; SGPRBlocks: 0
; VGPRBlocks: 1
; NumSGPRsForWavesPerEU: 26
; NumVGPRsForWavesPerEU: 13
; Occupancy: 16
; WaveLimiterHint : 1
; COMPUTE_PGM_RSRC2:SCRATCH_EN: 0
; COMPUTE_PGM_RSRC2:USER_SGPR: 6
; COMPUTE_PGM_RSRC2:TRAP_HANDLER: 0
; COMPUTE_PGM_RSRC2:TGID_X_EN: 1
; COMPUTE_PGM_RSRC2:TGID_Y_EN: 1
; COMPUTE_PGM_RSRC2:TGID_Z_EN: 0
; COMPUTE_PGM_RSRC2:TIDIG_COMP_CNT: 0
	.section	.text._ZN2at6native12_GLOBAL__N_135CatArrayBatchedCopy_alignedK_contigINS1_10OpaqueTypeILj16EEEjLi3ELi64ELi64ELi16EEEvPT_NS1_25CatArrInputTensorMetadataIS5_T0_XT2_EXT3_EEENS1_16TensorSizeStrideIS8_Lj4EEEiS8_,"axG",@progbits,_ZN2at6native12_GLOBAL__N_135CatArrayBatchedCopy_alignedK_contigINS1_10OpaqueTypeILj16EEEjLi3ELi64ELi64ELi16EEEvPT_NS1_25CatArrInputTensorMetadataIS5_T0_XT2_EXT3_EEENS1_16TensorSizeStrideIS8_Lj4EEEiS8_,comdat
	.globl	_ZN2at6native12_GLOBAL__N_135CatArrayBatchedCopy_alignedK_contigINS1_10OpaqueTypeILj16EEEjLi3ELi64ELi64ELi16EEEvPT_NS1_25CatArrInputTensorMetadataIS5_T0_XT2_EXT3_EEENS1_16TensorSizeStrideIS8_Lj4EEEiS8_ ; -- Begin function _ZN2at6native12_GLOBAL__N_135CatArrayBatchedCopy_alignedK_contigINS1_10OpaqueTypeILj16EEEjLi3ELi64ELi64ELi16EEEvPT_NS1_25CatArrInputTensorMetadataIS5_T0_XT2_EXT3_EEENS1_16TensorSizeStrideIS8_Lj4EEEiS8_
	.p2align	8
	.type	_ZN2at6native12_GLOBAL__N_135CatArrayBatchedCopy_alignedK_contigINS1_10OpaqueTypeILj16EEEjLi3ELi64ELi64ELi16EEEvPT_NS1_25CatArrInputTensorMetadataIS5_T0_XT2_EXT3_EEENS1_16TensorSizeStrideIS8_Lj4EEEiS8_,@function
_ZN2at6native12_GLOBAL__N_135CatArrayBatchedCopy_alignedK_contigINS1_10OpaqueTypeILj16EEEjLi3ELi64ELi64ELi16EEEvPT_NS1_25CatArrInputTensorMetadataIS5_T0_XT2_EXT3_EEENS1_16TensorSizeStrideIS8_Lj4EEEiS8_: ; @_ZN2at6native12_GLOBAL__N_135CatArrayBatchedCopy_alignedK_contigINS1_10OpaqueTypeILj16EEEjLi3ELi64ELi64ELi16EEEvPT_NS1_25CatArrInputTensorMetadataIS5_T0_XT2_EXT3_EEENS1_16TensorSizeStrideIS8_Lj4EEEiS8_
; %bb.0:
	s_mov_b32 s0, s7
	s_load_dword s7, s[4:5], 0xd7c
	s_mov_b32 s1, 0
	s_add_u32 s2, s4, 0xd70
	s_addc_u32 s3, s5, 0
	s_lshl_b64 s[8:9], s[0:1], 2
	s_waitcnt lgkmcnt(0)
	s_and_b32 s0, s7, 0xffff
	s_add_u32 s10, s4, s8
	s_addc_u32 s11, s5, s9
	v_mad_u64_u32 v[0:1], null, s6, s0, v[0:1]
	s_load_dword s12, s[10:11], 0x408
	s_add_u32 s6, s10, 8
	s_addc_u32 s7, s11, 0
	s_mov_b32 s10, exec_lo
	s_waitcnt lgkmcnt(0)
	v_cmpx_gt_u32_e64 s12, v0
	s_cbranch_execz .LBB191_6
; %bb.1:
	s_add_u32 s6, s6, s8
	s_addc_u32 s7, s7, s9
	s_sub_u32 s8, 0, s8
	s_load_dwordx2 s[14:15], s[4:5], 0xd68
	s_subb_u32 s9, 0, s9
	s_add_u32 s16, s6, s8
	s_addc_u32 s17, s7, s9
	s_clause 0x3
	s_load_dwordx2 s[18:19], s[4:5], 0xd4c
	s_load_dword s13, s[16:17], 0x300
	s_load_dwordx4 s[8:11], s[4:5], 0xd58
	s_load_dword s16, s[16:17], 0x200
	s_load_dword s17, s[2:3], 0x0
	s_waitcnt lgkmcnt(0)
	s_cmp_eq_u32 s14, 2
	s_cselect_b32 s11, s13, s19
	s_cmp_eq_u32 s14, 1
	v_cvt_f32_u32_e32 v1, s11
	s_cselect_b32 s13, s13, s18
	s_sub_i32 s14, 0, s11
	v_cvt_f32_u32_e32 v2, s13
	s_sub_i32 s2, 0, s13
	v_rcp_iflag_f32_e32 v1, v1
	v_rcp_iflag_f32_e32 v2, v2
	v_mul_f32_e32 v1, 0x4f7ffffe, v1
	v_mul_f32_e32 v2, 0x4f7ffffe, v2
	v_cvt_u32_f32_e32 v1, v1
	v_cvt_u32_f32_e32 v3, v2
	v_mul_lo_u32 v2, s14, v1
	v_mul_lo_u32 v4, s2, v3
	s_clause 0x1
	s_load_dwordx2 s[2:3], s[4:5], 0x0
	s_load_dwordx2 s[6:7], s[6:7], 0x0
	s_mul_i32 s5, s17, s0
	s_mul_i32 s4, s16, s15
	v_mul_hi_u32 v5, v1, v2
	v_mov_b32_e32 v2, 0
	v_mul_hi_u32 v4, v3, v4
	v_add_nc_u32_e32 v7, v1, v5
	v_add_nc_u32_e32 v8, v3, v4
	;; [unrolled: 1-line block ×3, first 2 shown]
.LBB191_2:                              ; =>This Inner Loop Header: Depth=1
	v_add_nc_u32_e32 v1, -1, v3
	v_add_nc_u32_e32 v3, s5, v3
	v_lshlrev_b64 v[4:5], 4, v[1:2]
	v_mul_hi_u32 v6, v1, v7
	s_waitcnt lgkmcnt(0)
	v_add_co_u32 v4, vcc_lo, s6, v4
	v_add_co_ci_u32_e64 v5, null, s7, v5, vcc_lo
	global_load_dwordx4 v[9:12], v[4:5], off
	v_mul_hi_u32 v4, v7, v0
	v_mul_lo_u32 v13, s11, v4
	v_not_b32_e32 v4, v4
	v_mad_u64_u32 v[4:5], null, s11, v4, v[0:1]
	v_sub_nc_u32_e32 v13, v0, v13
	v_add_nc_u32_e32 v5, 1, v6
	v_add_nc_u32_e32 v0, s5, v0
	v_cmp_le_u32_e32 vcc_lo, s11, v13
	v_cndmask_b32_e32 v5, v6, v5, vcc_lo
	v_cndmask_b32_e32 v4, v13, v4, vcc_lo
	v_add_nc_u32_e32 v6, 1, v5
	v_cmp_le_u32_e32 vcc_lo, s11, v4
	v_cndmask_b32_e32 v6, v5, v6, vcc_lo
	v_mul_hi_u32 v4, v6, v8
	v_mul_lo_u32 v5, v4, s13
	v_add_nc_u32_e32 v13, 1, v4
	v_sub_nc_u32_e32 v5, v6, v5
	v_subrev_nc_u32_e32 v14, s13, v5
	v_cmp_le_u32_e32 vcc_lo, s13, v5
	v_cndmask_b32_e32 v4, v4, v13, vcc_lo
	v_cndmask_b32_e32 v5, v5, v14, vcc_lo
	v_add_nc_u32_e32 v13, 1, v4
	v_cmp_le_u32_e32 vcc_lo, s13, v5
	v_cndmask_b32_e32 v13, v4, v13, vcc_lo
	v_mad_u64_u32 v[4:5], null, s14, v6, v[1:2]
	v_cmp_lt_u32_e32 vcc_lo, s12, v3
	v_mul_lo_u32 v14, v13, s13
	v_mul_lo_u32 v1, v13, s8
	s_or_b32 s1, vcc_lo, s1
	v_sub_nc_u32_e32 v6, v6, v14
	v_mad_u64_u32 v[4:5], null, v4, s10, v[1:2]
	v_mul_lo_u32 v1, v6, s9
	v_add3_u32 v1, v4, v1, s4
	v_lshlrev_b64 v[4:5], 4, v[1:2]
	v_add_co_u32 v4, s0, s2, v4
	v_add_co_ci_u32_e64 v5, null, s3, v5, s0
	s_waitcnt vmcnt(0)
	global_store_dwordx4 v[4:5], v[9:12], off
	s_andn2_b32 exec_lo, exec_lo, s1
	s_cbranch_execnz .LBB191_2
; %bb.3:
	s_or_b32 exec_lo, exec_lo, s1
	v_add_nc_u32_e32 v0, -1, v3
	v_cmp_gt_u32_e32 vcc_lo, s12, v0
	s_and_b32 exec_lo, exec_lo, vcc_lo
	s_cbranch_execz .LBB191_6
; %bb.4:
	v_mov_b32_e32 v2, 0
	v_mad_u64_u32 v[3:4], null, v7, v0, 0
	s_mov_b32 s5, 0
	v_mov_b32_e32 v1, v2
	v_lshlrev_b64 v[5:6], 4, v[0:1]
	v_add_co_u32 v5, vcc_lo, s6, v5
	v_add_co_ci_u32_e64 v6, null, s7, v6, vcc_lo
.LBB191_5:                              ; =>This Inner Loop Header: Depth=1
	global_load_dwordx4 v[9:12], v[5:6], off
	v_mul_lo_u32 v1, s11, v4
	v_not_b32_e32 v13, v4
	v_add_nc_u32_e32 v15, 1, v4
	v_add_co_u32 v3, vcc_lo, v3, v7
	v_mad_u64_u32 v[13:14], null, s11, v13, v[0:1]
	v_sub_nc_u32_e32 v1, v0, v1
	v_cmp_le_u32_e64 s0, s11, v1
	v_cndmask_b32_e64 v14, v4, v15, s0
	v_cndmask_b32_e64 v1, v1, v13, s0
	v_add_co_ci_u32_e64 v4, null, 0, v4, vcc_lo
	v_add_nc_u32_e32 v13, 1, v14
	v_cmp_le_u32_e64 s0, s11, v1
	v_cndmask_b32_e64 v1, v14, v13, s0
	v_mul_hi_u32 v13, v1, v8
	v_mul_lo_u32 v14, v13, s13
	v_add_nc_u32_e32 v15, 1, v13
	v_sub_nc_u32_e32 v14, v1, v14
	v_subrev_nc_u32_e32 v16, s13, v14
	v_cmp_le_u32_e64 s0, s13, v14
	v_cndmask_b32_e64 v13, v13, v15, s0
	v_cndmask_b32_e64 v14, v14, v16, s0
	v_add_nc_u32_e32 v15, 1, v13
	v_cmp_le_u32_e64 s0, s13, v14
	v_cndmask_b32_e64 v15, v13, v15, s0
	v_mad_u64_u32 v[13:14], null, s14, v1, v[0:1]
	v_add_nc_u32_e32 v0, 1, v0
	v_add_co_u32 v5, s0, v5, 16
	v_mul_lo_u32 v16, v15, s13
	v_add_co_ci_u32_e64 v6, null, 0, v6, s0
	v_mul_lo_u32 v17, v13, s10
	v_mad_u64_u32 v[13:14], null, v15, s8, s[4:5]
	v_cmp_le_u32_e64 s0, s12, v0
	v_sub_nc_u32_e32 v1, v1, v16
	s_or_b32 s5, s0, s5
	v_mul_lo_u32 v1, v1, s9
	v_add3_u32 v1, v13, v17, v1
	v_lshlrev_b64 v[13:14], 4, v[1:2]
	v_add_co_u32 v13, s1, s2, v13
	v_add_co_ci_u32_e64 v14, null, s3, v14, s1
	s_waitcnt vmcnt(0)
	global_store_dwordx4 v[13:14], v[9:12], off
	s_andn2_b32 exec_lo, exec_lo, s5
	s_cbranch_execnz .LBB191_5
.LBB191_6:
	s_endpgm
	.section	.rodata,"a",@progbits
	.p2align	6, 0x0
	.amdhsa_kernel _ZN2at6native12_GLOBAL__N_135CatArrayBatchedCopy_alignedK_contigINS1_10OpaqueTypeILj16EEEjLi3ELi64ELi64ELi16EEEvPT_NS1_25CatArrInputTensorMetadataIS5_T0_XT2_EXT3_EEENS1_16TensorSizeStrideIS8_Lj4EEEiS8_
		.amdhsa_group_segment_fixed_size 0
		.amdhsa_private_segment_fixed_size 0
		.amdhsa_kernarg_size 3696
		.amdhsa_user_sgpr_count 6
		.amdhsa_user_sgpr_private_segment_buffer 1
		.amdhsa_user_sgpr_dispatch_ptr 0
		.amdhsa_user_sgpr_queue_ptr 0
		.amdhsa_user_sgpr_kernarg_segment_ptr 1
		.amdhsa_user_sgpr_dispatch_id 0
		.amdhsa_user_sgpr_flat_scratch_init 0
		.amdhsa_user_sgpr_private_segment_size 0
		.amdhsa_wavefront_size32 1
		.amdhsa_uses_dynamic_stack 0
		.amdhsa_system_sgpr_private_segment_wavefront_offset 0
		.amdhsa_system_sgpr_workgroup_id_x 1
		.amdhsa_system_sgpr_workgroup_id_y 1
		.amdhsa_system_sgpr_workgroup_id_z 0
		.amdhsa_system_sgpr_workgroup_info 0
		.amdhsa_system_vgpr_workitem_id 0
		.amdhsa_next_free_vgpr 18
		.amdhsa_next_free_sgpr 20
		.amdhsa_reserve_vcc 1
		.amdhsa_reserve_flat_scratch 0
		.amdhsa_float_round_mode_32 0
		.amdhsa_float_round_mode_16_64 0
		.amdhsa_float_denorm_mode_32 3
		.amdhsa_float_denorm_mode_16_64 3
		.amdhsa_dx10_clamp 1
		.amdhsa_ieee_mode 1
		.amdhsa_fp16_overflow 0
		.amdhsa_workgroup_processor_mode 1
		.amdhsa_memory_ordered 1
		.amdhsa_forward_progress 1
		.amdhsa_shared_vgpr_count 0
		.amdhsa_exception_fp_ieee_invalid_op 0
		.amdhsa_exception_fp_denorm_src 0
		.amdhsa_exception_fp_ieee_div_zero 0
		.amdhsa_exception_fp_ieee_overflow 0
		.amdhsa_exception_fp_ieee_underflow 0
		.amdhsa_exception_fp_ieee_inexact 0
		.amdhsa_exception_int_div_zero 0
	.end_amdhsa_kernel
	.section	.text._ZN2at6native12_GLOBAL__N_135CatArrayBatchedCopy_alignedK_contigINS1_10OpaqueTypeILj16EEEjLi3ELi64ELi64ELi16EEEvPT_NS1_25CatArrInputTensorMetadataIS5_T0_XT2_EXT3_EEENS1_16TensorSizeStrideIS8_Lj4EEEiS8_,"axG",@progbits,_ZN2at6native12_GLOBAL__N_135CatArrayBatchedCopy_alignedK_contigINS1_10OpaqueTypeILj16EEEjLi3ELi64ELi64ELi16EEEvPT_NS1_25CatArrInputTensorMetadataIS5_T0_XT2_EXT3_EEENS1_16TensorSizeStrideIS8_Lj4EEEiS8_,comdat
.Lfunc_end191:
	.size	_ZN2at6native12_GLOBAL__N_135CatArrayBatchedCopy_alignedK_contigINS1_10OpaqueTypeILj16EEEjLi3ELi64ELi64ELi16EEEvPT_NS1_25CatArrInputTensorMetadataIS5_T0_XT2_EXT3_EEENS1_16TensorSizeStrideIS8_Lj4EEEiS8_, .Lfunc_end191-_ZN2at6native12_GLOBAL__N_135CatArrayBatchedCopy_alignedK_contigINS1_10OpaqueTypeILj16EEEjLi3ELi64ELi64ELi16EEEvPT_NS1_25CatArrInputTensorMetadataIS5_T0_XT2_EXT3_EEENS1_16TensorSizeStrideIS8_Lj4EEEiS8_
                                        ; -- End function
	.set _ZN2at6native12_GLOBAL__N_135CatArrayBatchedCopy_alignedK_contigINS1_10OpaqueTypeILj16EEEjLi3ELi64ELi64ELi16EEEvPT_NS1_25CatArrInputTensorMetadataIS5_T0_XT2_EXT3_EEENS1_16TensorSizeStrideIS8_Lj4EEEiS8_.num_vgpr, 18
	.set _ZN2at6native12_GLOBAL__N_135CatArrayBatchedCopy_alignedK_contigINS1_10OpaqueTypeILj16EEEjLi3ELi64ELi64ELi16EEEvPT_NS1_25CatArrInputTensorMetadataIS5_T0_XT2_EXT3_EEENS1_16TensorSizeStrideIS8_Lj4EEEiS8_.num_agpr, 0
	.set _ZN2at6native12_GLOBAL__N_135CatArrayBatchedCopy_alignedK_contigINS1_10OpaqueTypeILj16EEEjLi3ELi64ELi64ELi16EEEvPT_NS1_25CatArrInputTensorMetadataIS5_T0_XT2_EXT3_EEENS1_16TensorSizeStrideIS8_Lj4EEEiS8_.numbered_sgpr, 20
	.set _ZN2at6native12_GLOBAL__N_135CatArrayBatchedCopy_alignedK_contigINS1_10OpaqueTypeILj16EEEjLi3ELi64ELi64ELi16EEEvPT_NS1_25CatArrInputTensorMetadataIS5_T0_XT2_EXT3_EEENS1_16TensorSizeStrideIS8_Lj4EEEiS8_.num_named_barrier, 0
	.set _ZN2at6native12_GLOBAL__N_135CatArrayBatchedCopy_alignedK_contigINS1_10OpaqueTypeILj16EEEjLi3ELi64ELi64ELi16EEEvPT_NS1_25CatArrInputTensorMetadataIS5_T0_XT2_EXT3_EEENS1_16TensorSizeStrideIS8_Lj4EEEiS8_.private_seg_size, 0
	.set _ZN2at6native12_GLOBAL__N_135CatArrayBatchedCopy_alignedK_contigINS1_10OpaqueTypeILj16EEEjLi3ELi64ELi64ELi16EEEvPT_NS1_25CatArrInputTensorMetadataIS5_T0_XT2_EXT3_EEENS1_16TensorSizeStrideIS8_Lj4EEEiS8_.uses_vcc, 1
	.set _ZN2at6native12_GLOBAL__N_135CatArrayBatchedCopy_alignedK_contigINS1_10OpaqueTypeILj16EEEjLi3ELi64ELi64ELi16EEEvPT_NS1_25CatArrInputTensorMetadataIS5_T0_XT2_EXT3_EEENS1_16TensorSizeStrideIS8_Lj4EEEiS8_.uses_flat_scratch, 0
	.set _ZN2at6native12_GLOBAL__N_135CatArrayBatchedCopy_alignedK_contigINS1_10OpaqueTypeILj16EEEjLi3ELi64ELi64ELi16EEEvPT_NS1_25CatArrInputTensorMetadataIS5_T0_XT2_EXT3_EEENS1_16TensorSizeStrideIS8_Lj4EEEiS8_.has_dyn_sized_stack, 0
	.set _ZN2at6native12_GLOBAL__N_135CatArrayBatchedCopy_alignedK_contigINS1_10OpaqueTypeILj16EEEjLi3ELi64ELi64ELi16EEEvPT_NS1_25CatArrInputTensorMetadataIS5_T0_XT2_EXT3_EEENS1_16TensorSizeStrideIS8_Lj4EEEiS8_.has_recursion, 0
	.set _ZN2at6native12_GLOBAL__N_135CatArrayBatchedCopy_alignedK_contigINS1_10OpaqueTypeILj16EEEjLi3ELi64ELi64ELi16EEEvPT_NS1_25CatArrInputTensorMetadataIS5_T0_XT2_EXT3_EEENS1_16TensorSizeStrideIS8_Lj4EEEiS8_.has_indirect_call, 0
	.section	.AMDGPU.csdata,"",@progbits
; Kernel info:
; codeLenInByte = 952
; TotalNumSgprs: 22
; NumVgprs: 18
; ScratchSize: 0
; MemoryBound: 0
; FloatMode: 240
; IeeeMode: 1
; LDSByteSize: 0 bytes/workgroup (compile time only)
; SGPRBlocks: 0
; VGPRBlocks: 2
; NumSGPRsForWavesPerEU: 22
; NumVGPRsForWavesPerEU: 18
; Occupancy: 16
; WaveLimiterHint : 1
; COMPUTE_PGM_RSRC2:SCRATCH_EN: 0
; COMPUTE_PGM_RSRC2:USER_SGPR: 6
; COMPUTE_PGM_RSRC2:TRAP_HANDLER: 0
; COMPUTE_PGM_RSRC2:TGID_X_EN: 1
; COMPUTE_PGM_RSRC2:TGID_Y_EN: 1
; COMPUTE_PGM_RSRC2:TGID_Z_EN: 0
; COMPUTE_PGM_RSRC2:TIDIG_COMP_CNT: 0
	.section	.text._ZN2at6native12_GLOBAL__N_135CatArrayBatchedCopy_alignedK_contigINS1_10OpaqueTypeILj16EEEjLi3ELi64ELi64ELi8EEEvPT_NS1_25CatArrInputTensorMetadataIS5_T0_XT2_EXT3_EEENS1_16TensorSizeStrideIS8_Lj4EEEiS8_,"axG",@progbits,_ZN2at6native12_GLOBAL__N_135CatArrayBatchedCopy_alignedK_contigINS1_10OpaqueTypeILj16EEEjLi3ELi64ELi64ELi8EEEvPT_NS1_25CatArrInputTensorMetadataIS5_T0_XT2_EXT3_EEENS1_16TensorSizeStrideIS8_Lj4EEEiS8_,comdat
	.globl	_ZN2at6native12_GLOBAL__N_135CatArrayBatchedCopy_alignedK_contigINS1_10OpaqueTypeILj16EEEjLi3ELi64ELi64ELi8EEEvPT_NS1_25CatArrInputTensorMetadataIS5_T0_XT2_EXT3_EEENS1_16TensorSizeStrideIS8_Lj4EEEiS8_ ; -- Begin function _ZN2at6native12_GLOBAL__N_135CatArrayBatchedCopy_alignedK_contigINS1_10OpaqueTypeILj16EEEjLi3ELi64ELi64ELi8EEEvPT_NS1_25CatArrInputTensorMetadataIS5_T0_XT2_EXT3_EEENS1_16TensorSizeStrideIS8_Lj4EEEiS8_
	.p2align	8
	.type	_ZN2at6native12_GLOBAL__N_135CatArrayBatchedCopy_alignedK_contigINS1_10OpaqueTypeILj16EEEjLi3ELi64ELi64ELi8EEEvPT_NS1_25CatArrInputTensorMetadataIS5_T0_XT2_EXT3_EEENS1_16TensorSizeStrideIS8_Lj4EEEiS8_,@function
_ZN2at6native12_GLOBAL__N_135CatArrayBatchedCopy_alignedK_contigINS1_10OpaqueTypeILj16EEEjLi3ELi64ELi64ELi8EEEvPT_NS1_25CatArrInputTensorMetadataIS5_T0_XT2_EXT3_EEENS1_16TensorSizeStrideIS8_Lj4EEEiS8_: ; @_ZN2at6native12_GLOBAL__N_135CatArrayBatchedCopy_alignedK_contigINS1_10OpaqueTypeILj16EEEjLi3ELi64ELi64ELi8EEEvPT_NS1_25CatArrInputTensorMetadataIS5_T0_XT2_EXT3_EEENS1_16TensorSizeStrideIS8_Lj4EEEiS8_
; %bb.0:
	s_mov_b32 s0, s7
	s_load_dword s7, s[4:5], 0xd7c
	s_mov_b32 s1, 0
	s_add_u32 s2, s4, 0xd70
	s_addc_u32 s3, s5, 0
	s_lshl_b64 s[8:9], s[0:1], 2
	s_waitcnt lgkmcnt(0)
	s_and_b32 s0, s7, 0xffff
	s_add_u32 s10, s4, s8
	s_addc_u32 s11, s5, s9
	v_mad_u64_u32 v[0:1], null, s6, s0, v[0:1]
	s_load_dword s12, s[10:11], 0x408
	s_add_u32 s6, s10, 8
	s_addc_u32 s7, s11, 0
	s_mov_b32 s10, exec_lo
	s_waitcnt lgkmcnt(0)
	v_cmpx_gt_u32_e64 s12, v0
	s_cbranch_execz .LBB192_6
; %bb.1:
	s_add_u32 s6, s6, s8
	s_addc_u32 s7, s7, s9
	s_sub_u32 s8, 0, s8
	s_load_dwordx2 s[14:15], s[4:5], 0xd68
	s_subb_u32 s9, 0, s9
	s_add_u32 s16, s6, s8
	s_addc_u32 s17, s7, s9
	s_clause 0x3
	s_load_dwordx2 s[18:19], s[4:5], 0xd4c
	s_load_dword s13, s[16:17], 0x300
	s_load_dwordx4 s[8:11], s[4:5], 0xd58
	s_load_dword s16, s[16:17], 0x200
	s_load_dword s17, s[2:3], 0x0
	s_waitcnt lgkmcnt(0)
	s_cmp_eq_u32 s14, 2
	s_cselect_b32 s11, s13, s19
	s_cmp_eq_u32 s14, 1
	v_cvt_f32_u32_e32 v1, s11
	s_cselect_b32 s13, s13, s18
	s_sub_i32 s14, 0, s11
	v_cvt_f32_u32_e32 v2, s13
	s_sub_i32 s2, 0, s13
	v_rcp_iflag_f32_e32 v1, v1
	v_rcp_iflag_f32_e32 v2, v2
	v_mul_f32_e32 v1, 0x4f7ffffe, v1
	v_mul_f32_e32 v2, 0x4f7ffffe, v2
	v_cvt_u32_f32_e32 v1, v1
	v_cvt_u32_f32_e32 v3, v2
	v_mul_lo_u32 v2, s14, v1
	v_mul_lo_u32 v4, s2, v3
	s_clause 0x1
	s_load_dwordx2 s[2:3], s[4:5], 0x0
	s_load_dwordx2 s[6:7], s[6:7], 0x0
	s_mul_i32 s5, s17, s0
	s_mul_i32 s4, s16, s15
	v_mul_hi_u32 v5, v1, v2
	v_mov_b32_e32 v2, 0
	v_mul_hi_u32 v4, v3, v4
	v_add_nc_u32_e32 v7, v1, v5
	v_add_nc_u32_e32 v8, v3, v4
	;; [unrolled: 1-line block ×3, first 2 shown]
.LBB192_2:                              ; =>This Inner Loop Header: Depth=1
	v_add_nc_u32_e32 v1, -1, v3
	v_add_nc_u32_e32 v3, s5, v3
	v_lshlrev_b64 v[4:5], 4, v[1:2]
	v_mul_hi_u32 v6, v1, v7
	s_waitcnt lgkmcnt(0)
	v_add_co_u32 v4, vcc_lo, s6, v4
	v_add_co_ci_u32_e64 v5, null, s7, v5, vcc_lo
	global_load_dwordx4 v[9:12], v[4:5], off
	v_mul_hi_u32 v4, v7, v0
	v_mul_lo_u32 v13, s11, v4
	v_not_b32_e32 v4, v4
	v_mad_u64_u32 v[4:5], null, s11, v4, v[0:1]
	v_sub_nc_u32_e32 v13, v0, v13
	v_add_nc_u32_e32 v5, 1, v6
	v_add_nc_u32_e32 v0, s5, v0
	v_cmp_le_u32_e32 vcc_lo, s11, v13
	v_cndmask_b32_e32 v5, v6, v5, vcc_lo
	v_cndmask_b32_e32 v4, v13, v4, vcc_lo
	v_add_nc_u32_e32 v6, 1, v5
	v_cmp_le_u32_e32 vcc_lo, s11, v4
	v_cndmask_b32_e32 v6, v5, v6, vcc_lo
	v_mul_hi_u32 v4, v6, v8
	v_mul_lo_u32 v5, v4, s13
	v_add_nc_u32_e32 v13, 1, v4
	v_sub_nc_u32_e32 v5, v6, v5
	v_subrev_nc_u32_e32 v14, s13, v5
	v_cmp_le_u32_e32 vcc_lo, s13, v5
	v_cndmask_b32_e32 v4, v4, v13, vcc_lo
	v_cndmask_b32_e32 v5, v5, v14, vcc_lo
	v_add_nc_u32_e32 v13, 1, v4
	v_cmp_le_u32_e32 vcc_lo, s13, v5
	v_cndmask_b32_e32 v13, v4, v13, vcc_lo
	v_mad_u64_u32 v[4:5], null, s14, v6, v[1:2]
	v_cmp_lt_u32_e32 vcc_lo, s12, v3
	v_mul_lo_u32 v14, v13, s13
	v_mul_lo_u32 v1, v13, s8
	s_or_b32 s1, vcc_lo, s1
	v_sub_nc_u32_e32 v6, v6, v14
	v_mad_u64_u32 v[4:5], null, v4, s10, v[1:2]
	v_mul_lo_u32 v1, v6, s9
	v_add3_u32 v1, v4, v1, s4
	v_lshlrev_b64 v[4:5], 4, v[1:2]
	v_add_co_u32 v4, s0, s2, v4
	v_add_co_ci_u32_e64 v5, null, s3, v5, s0
	s_waitcnt vmcnt(0)
	global_store_dwordx4 v[4:5], v[9:12], off
	s_andn2_b32 exec_lo, exec_lo, s1
	s_cbranch_execnz .LBB192_2
; %bb.3:
	s_or_b32 exec_lo, exec_lo, s1
	v_add_nc_u32_e32 v0, -1, v3
	v_cmp_gt_u32_e32 vcc_lo, s12, v0
	s_and_b32 exec_lo, exec_lo, vcc_lo
	s_cbranch_execz .LBB192_6
; %bb.4:
	v_mov_b32_e32 v2, 0
	v_mad_u64_u32 v[3:4], null, v7, v0, 0
	s_mov_b32 s5, 0
	v_mov_b32_e32 v1, v2
	v_lshlrev_b64 v[5:6], 4, v[0:1]
	v_add_co_u32 v5, vcc_lo, s6, v5
	v_add_co_ci_u32_e64 v6, null, s7, v6, vcc_lo
.LBB192_5:                              ; =>This Inner Loop Header: Depth=1
	global_load_dwordx4 v[9:12], v[5:6], off
	v_mul_lo_u32 v1, s11, v4
	v_not_b32_e32 v13, v4
	v_add_nc_u32_e32 v15, 1, v4
	v_add_co_u32 v3, vcc_lo, v3, v7
	v_mad_u64_u32 v[13:14], null, s11, v13, v[0:1]
	v_sub_nc_u32_e32 v1, v0, v1
	v_cmp_le_u32_e64 s0, s11, v1
	v_cndmask_b32_e64 v14, v4, v15, s0
	v_cndmask_b32_e64 v1, v1, v13, s0
	v_add_co_ci_u32_e64 v4, null, 0, v4, vcc_lo
	v_add_nc_u32_e32 v13, 1, v14
	v_cmp_le_u32_e64 s0, s11, v1
	v_cndmask_b32_e64 v1, v14, v13, s0
	v_mul_hi_u32 v13, v1, v8
	v_mul_lo_u32 v14, v13, s13
	v_add_nc_u32_e32 v15, 1, v13
	v_sub_nc_u32_e32 v14, v1, v14
	v_subrev_nc_u32_e32 v16, s13, v14
	v_cmp_le_u32_e64 s0, s13, v14
	v_cndmask_b32_e64 v13, v13, v15, s0
	v_cndmask_b32_e64 v14, v14, v16, s0
	v_add_nc_u32_e32 v15, 1, v13
	v_cmp_le_u32_e64 s0, s13, v14
	v_cndmask_b32_e64 v15, v13, v15, s0
	v_mad_u64_u32 v[13:14], null, s14, v1, v[0:1]
	v_add_nc_u32_e32 v0, 1, v0
	v_add_co_u32 v5, s0, v5, 16
	v_mul_lo_u32 v16, v15, s13
	v_add_co_ci_u32_e64 v6, null, 0, v6, s0
	v_mul_lo_u32 v17, v13, s10
	v_mad_u64_u32 v[13:14], null, v15, s8, s[4:5]
	v_cmp_le_u32_e64 s0, s12, v0
	v_sub_nc_u32_e32 v1, v1, v16
	s_or_b32 s5, s0, s5
	v_mul_lo_u32 v1, v1, s9
	v_add3_u32 v1, v13, v17, v1
	v_lshlrev_b64 v[13:14], 4, v[1:2]
	v_add_co_u32 v13, s1, s2, v13
	v_add_co_ci_u32_e64 v14, null, s3, v14, s1
	s_waitcnt vmcnt(0)
	global_store_dwordx4 v[13:14], v[9:12], off
	s_andn2_b32 exec_lo, exec_lo, s5
	s_cbranch_execnz .LBB192_5
.LBB192_6:
	s_endpgm
	.section	.rodata,"a",@progbits
	.p2align	6, 0x0
	.amdhsa_kernel _ZN2at6native12_GLOBAL__N_135CatArrayBatchedCopy_alignedK_contigINS1_10OpaqueTypeILj16EEEjLi3ELi64ELi64ELi8EEEvPT_NS1_25CatArrInputTensorMetadataIS5_T0_XT2_EXT3_EEENS1_16TensorSizeStrideIS8_Lj4EEEiS8_
		.amdhsa_group_segment_fixed_size 0
		.amdhsa_private_segment_fixed_size 0
		.amdhsa_kernarg_size 3696
		.amdhsa_user_sgpr_count 6
		.amdhsa_user_sgpr_private_segment_buffer 1
		.amdhsa_user_sgpr_dispatch_ptr 0
		.amdhsa_user_sgpr_queue_ptr 0
		.amdhsa_user_sgpr_kernarg_segment_ptr 1
		.amdhsa_user_sgpr_dispatch_id 0
		.amdhsa_user_sgpr_flat_scratch_init 0
		.amdhsa_user_sgpr_private_segment_size 0
		.amdhsa_wavefront_size32 1
		.amdhsa_uses_dynamic_stack 0
		.amdhsa_system_sgpr_private_segment_wavefront_offset 0
		.amdhsa_system_sgpr_workgroup_id_x 1
		.amdhsa_system_sgpr_workgroup_id_y 1
		.amdhsa_system_sgpr_workgroup_id_z 0
		.amdhsa_system_sgpr_workgroup_info 0
		.amdhsa_system_vgpr_workitem_id 0
		.amdhsa_next_free_vgpr 18
		.amdhsa_next_free_sgpr 20
		.amdhsa_reserve_vcc 1
		.amdhsa_reserve_flat_scratch 0
		.amdhsa_float_round_mode_32 0
		.amdhsa_float_round_mode_16_64 0
		.amdhsa_float_denorm_mode_32 3
		.amdhsa_float_denorm_mode_16_64 3
		.amdhsa_dx10_clamp 1
		.amdhsa_ieee_mode 1
		.amdhsa_fp16_overflow 0
		.amdhsa_workgroup_processor_mode 1
		.amdhsa_memory_ordered 1
		.amdhsa_forward_progress 1
		.amdhsa_shared_vgpr_count 0
		.amdhsa_exception_fp_ieee_invalid_op 0
		.amdhsa_exception_fp_denorm_src 0
		.amdhsa_exception_fp_ieee_div_zero 0
		.amdhsa_exception_fp_ieee_overflow 0
		.amdhsa_exception_fp_ieee_underflow 0
		.amdhsa_exception_fp_ieee_inexact 0
		.amdhsa_exception_int_div_zero 0
	.end_amdhsa_kernel
	.section	.text._ZN2at6native12_GLOBAL__N_135CatArrayBatchedCopy_alignedK_contigINS1_10OpaqueTypeILj16EEEjLi3ELi64ELi64ELi8EEEvPT_NS1_25CatArrInputTensorMetadataIS5_T0_XT2_EXT3_EEENS1_16TensorSizeStrideIS8_Lj4EEEiS8_,"axG",@progbits,_ZN2at6native12_GLOBAL__N_135CatArrayBatchedCopy_alignedK_contigINS1_10OpaqueTypeILj16EEEjLi3ELi64ELi64ELi8EEEvPT_NS1_25CatArrInputTensorMetadataIS5_T0_XT2_EXT3_EEENS1_16TensorSizeStrideIS8_Lj4EEEiS8_,comdat
.Lfunc_end192:
	.size	_ZN2at6native12_GLOBAL__N_135CatArrayBatchedCopy_alignedK_contigINS1_10OpaqueTypeILj16EEEjLi3ELi64ELi64ELi8EEEvPT_NS1_25CatArrInputTensorMetadataIS5_T0_XT2_EXT3_EEENS1_16TensorSizeStrideIS8_Lj4EEEiS8_, .Lfunc_end192-_ZN2at6native12_GLOBAL__N_135CatArrayBatchedCopy_alignedK_contigINS1_10OpaqueTypeILj16EEEjLi3ELi64ELi64ELi8EEEvPT_NS1_25CatArrInputTensorMetadataIS5_T0_XT2_EXT3_EEENS1_16TensorSizeStrideIS8_Lj4EEEiS8_
                                        ; -- End function
	.set _ZN2at6native12_GLOBAL__N_135CatArrayBatchedCopy_alignedK_contigINS1_10OpaqueTypeILj16EEEjLi3ELi64ELi64ELi8EEEvPT_NS1_25CatArrInputTensorMetadataIS5_T0_XT2_EXT3_EEENS1_16TensorSizeStrideIS8_Lj4EEEiS8_.num_vgpr, 18
	.set _ZN2at6native12_GLOBAL__N_135CatArrayBatchedCopy_alignedK_contigINS1_10OpaqueTypeILj16EEEjLi3ELi64ELi64ELi8EEEvPT_NS1_25CatArrInputTensorMetadataIS5_T0_XT2_EXT3_EEENS1_16TensorSizeStrideIS8_Lj4EEEiS8_.num_agpr, 0
	.set _ZN2at6native12_GLOBAL__N_135CatArrayBatchedCopy_alignedK_contigINS1_10OpaqueTypeILj16EEEjLi3ELi64ELi64ELi8EEEvPT_NS1_25CatArrInputTensorMetadataIS5_T0_XT2_EXT3_EEENS1_16TensorSizeStrideIS8_Lj4EEEiS8_.numbered_sgpr, 20
	.set _ZN2at6native12_GLOBAL__N_135CatArrayBatchedCopy_alignedK_contigINS1_10OpaqueTypeILj16EEEjLi3ELi64ELi64ELi8EEEvPT_NS1_25CatArrInputTensorMetadataIS5_T0_XT2_EXT3_EEENS1_16TensorSizeStrideIS8_Lj4EEEiS8_.num_named_barrier, 0
	.set _ZN2at6native12_GLOBAL__N_135CatArrayBatchedCopy_alignedK_contigINS1_10OpaqueTypeILj16EEEjLi3ELi64ELi64ELi8EEEvPT_NS1_25CatArrInputTensorMetadataIS5_T0_XT2_EXT3_EEENS1_16TensorSizeStrideIS8_Lj4EEEiS8_.private_seg_size, 0
	.set _ZN2at6native12_GLOBAL__N_135CatArrayBatchedCopy_alignedK_contigINS1_10OpaqueTypeILj16EEEjLi3ELi64ELi64ELi8EEEvPT_NS1_25CatArrInputTensorMetadataIS5_T0_XT2_EXT3_EEENS1_16TensorSizeStrideIS8_Lj4EEEiS8_.uses_vcc, 1
	.set _ZN2at6native12_GLOBAL__N_135CatArrayBatchedCopy_alignedK_contigINS1_10OpaqueTypeILj16EEEjLi3ELi64ELi64ELi8EEEvPT_NS1_25CatArrInputTensorMetadataIS5_T0_XT2_EXT3_EEENS1_16TensorSizeStrideIS8_Lj4EEEiS8_.uses_flat_scratch, 0
	.set _ZN2at6native12_GLOBAL__N_135CatArrayBatchedCopy_alignedK_contigINS1_10OpaqueTypeILj16EEEjLi3ELi64ELi64ELi8EEEvPT_NS1_25CatArrInputTensorMetadataIS5_T0_XT2_EXT3_EEENS1_16TensorSizeStrideIS8_Lj4EEEiS8_.has_dyn_sized_stack, 0
	.set _ZN2at6native12_GLOBAL__N_135CatArrayBatchedCopy_alignedK_contigINS1_10OpaqueTypeILj16EEEjLi3ELi64ELi64ELi8EEEvPT_NS1_25CatArrInputTensorMetadataIS5_T0_XT2_EXT3_EEENS1_16TensorSizeStrideIS8_Lj4EEEiS8_.has_recursion, 0
	.set _ZN2at6native12_GLOBAL__N_135CatArrayBatchedCopy_alignedK_contigINS1_10OpaqueTypeILj16EEEjLi3ELi64ELi64ELi8EEEvPT_NS1_25CatArrInputTensorMetadataIS5_T0_XT2_EXT3_EEENS1_16TensorSizeStrideIS8_Lj4EEEiS8_.has_indirect_call, 0
	.section	.AMDGPU.csdata,"",@progbits
; Kernel info:
; codeLenInByte = 952
; TotalNumSgprs: 22
; NumVgprs: 18
; ScratchSize: 0
; MemoryBound: 0
; FloatMode: 240
; IeeeMode: 1
; LDSByteSize: 0 bytes/workgroup (compile time only)
; SGPRBlocks: 0
; VGPRBlocks: 2
; NumSGPRsForWavesPerEU: 22
; NumVGPRsForWavesPerEU: 18
; Occupancy: 16
; WaveLimiterHint : 1
; COMPUTE_PGM_RSRC2:SCRATCH_EN: 0
; COMPUTE_PGM_RSRC2:USER_SGPR: 6
; COMPUTE_PGM_RSRC2:TRAP_HANDLER: 0
; COMPUTE_PGM_RSRC2:TGID_X_EN: 1
; COMPUTE_PGM_RSRC2:TGID_Y_EN: 1
; COMPUTE_PGM_RSRC2:TGID_Z_EN: 0
; COMPUTE_PGM_RSRC2:TIDIG_COMP_CNT: 0
	.section	.text._ZN2at6native12_GLOBAL__N_126CatArrayBatchedCopy_contigINS1_10OpaqueTypeILj16EEEjLi3ELi64ELi64EEEvPT_NS1_25CatArrInputTensorMetadataIS5_T0_XT2_EXT3_EEENS1_16TensorSizeStrideIS8_Lj4EEEiS8_,"axG",@progbits,_ZN2at6native12_GLOBAL__N_126CatArrayBatchedCopy_contigINS1_10OpaqueTypeILj16EEEjLi3ELi64ELi64EEEvPT_NS1_25CatArrInputTensorMetadataIS5_T0_XT2_EXT3_EEENS1_16TensorSizeStrideIS8_Lj4EEEiS8_,comdat
	.globl	_ZN2at6native12_GLOBAL__N_126CatArrayBatchedCopy_contigINS1_10OpaqueTypeILj16EEEjLi3ELi64ELi64EEEvPT_NS1_25CatArrInputTensorMetadataIS5_T0_XT2_EXT3_EEENS1_16TensorSizeStrideIS8_Lj4EEEiS8_ ; -- Begin function _ZN2at6native12_GLOBAL__N_126CatArrayBatchedCopy_contigINS1_10OpaqueTypeILj16EEEjLi3ELi64ELi64EEEvPT_NS1_25CatArrInputTensorMetadataIS5_T0_XT2_EXT3_EEENS1_16TensorSizeStrideIS8_Lj4EEEiS8_
	.p2align	8
	.type	_ZN2at6native12_GLOBAL__N_126CatArrayBatchedCopy_contigINS1_10OpaqueTypeILj16EEEjLi3ELi64ELi64EEEvPT_NS1_25CatArrInputTensorMetadataIS5_T0_XT2_EXT3_EEENS1_16TensorSizeStrideIS8_Lj4EEEiS8_,@function
_ZN2at6native12_GLOBAL__N_126CatArrayBatchedCopy_contigINS1_10OpaqueTypeILj16EEEjLi3ELi64ELi64EEEvPT_NS1_25CatArrInputTensorMetadataIS5_T0_XT2_EXT3_EEENS1_16TensorSizeStrideIS8_Lj4EEEiS8_: ; @_ZN2at6native12_GLOBAL__N_126CatArrayBatchedCopy_contigINS1_10OpaqueTypeILj16EEEjLi3ELi64ELi64EEEvPT_NS1_25CatArrInputTensorMetadataIS5_T0_XT2_EXT3_EEENS1_16TensorSizeStrideIS8_Lj4EEEiS8_
; %bb.0:
	s_mov_b32 s0, s7
	s_load_dword s7, s[4:5], 0xd7c
	s_mov_b32 s1, 0
	s_add_u32 s12, s4, 0xd70
	s_addc_u32 s13, s5, 0
	s_lshl_b64 s[2:3], s[0:1], 2
	s_waitcnt lgkmcnt(0)
	s_and_b32 s0, s7, 0xffff
	s_add_u32 s8, s4, s2
	s_addc_u32 s9, s5, s3
	v_mad_u64_u32 v[0:1], null, s6, s0, v[0:1]
	s_load_dword s7, s[8:9], 0x408
	s_add_u32 s6, s8, 8
	s_addc_u32 s8, s9, 0
	s_mov_b32 s9, exec_lo
	s_waitcnt lgkmcnt(0)
	v_cmpx_gt_u32_e64 s7, v0
	s_cbranch_execz .LBB193_3
; %bb.1:
	s_add_u32 s18, s6, s2
	s_addc_u32 s19, s8, s3
	s_sub_u32 s2, 0, s2
	s_load_dwordx2 s[16:17], s[4:5], 0xd68
	s_subb_u32 s3, 0, s3
	s_add_u32 s20, s18, s2
	s_addc_u32 s21, s19, s3
	s_clause 0x2
	s_load_dwordx2 s[2:3], s[4:5], 0xd4c
	s_load_dword s6, s[20:21], 0x300
	s_load_dwordx4 s[8:11], s[4:5], 0xd58
	s_load_dword s12, s[12:13], 0x0
	s_waitcnt lgkmcnt(0)
	s_cmp_eq_u32 s16, 2
	s_cselect_b32 s11, s6, s3
	s_cmp_eq_u32 s16, 1
	v_cvt_f32_u32_e32 v1, s11
	s_cselect_b32 s14, s6, s2
	s_load_dwordx2 s[2:3], s[4:5], 0x0
	v_cvt_f32_u32_e32 v2, s14
	s_sub_i32 s15, 0, s11
	v_rcp_iflag_f32_e32 v1, v1
	s_sub_i32 s4, 0, s14
	s_load_dword s6, s[20:21], 0x200
	v_rcp_iflag_f32_e32 v2, v2
	s_mul_i32 s12, s12, s0
	v_mul_f32_e32 v1, 0x4f7ffffe, v1
	v_mul_f32_e32 v2, 0x4f7ffffe, v2
	v_cvt_u32_f32_e32 v1, v1
	v_cvt_u32_f32_e32 v3, v2
	v_mul_lo_u32 v2, s15, v1
	v_mul_lo_u32 v4, s4, v3
	s_load_dwordx2 s[4:5], s[18:19], 0x0
	s_waitcnt lgkmcnt(0)
	s_mul_i32 s6, s6, s17
	v_mul_hi_u32 v2, v1, v2
	v_mul_hi_u32 v4, v3, v4
	v_add_nc_u32_e32 v2, v1, v2
	v_mov_b32_e32 v1, 0
	v_add_nc_u32_e32 v3, v3, v4
.LBB193_2:                              ; =>This Inner Loop Header: Depth=1
	v_lshlrev_b64 v[4:5], 4, v[0:1]
	v_mul_hi_u32 v10, v2, v0
	v_add_co_u32 v4, vcc_lo, s4, v4
	v_add_co_ci_u32_e64 v5, null, s5, v5, vcc_lo
	v_mul_lo_u32 v11, s11, v10
	v_not_b32_e32 v8, v10
	v_add_nc_u32_e32 v12, 1, v10
	global_load_dwordx4 v[4:7], v[4:5], off
	v_mad_u64_u32 v[8:9], null, s11, v8, v[0:1]
	v_sub_nc_u32_e32 v9, v0, v11
	v_cmp_le_u32_e32 vcc_lo, s11, v9
	v_cndmask_b32_e32 v10, v10, v12, vcc_lo
	v_cndmask_b32_e32 v8, v9, v8, vcc_lo
	v_add_nc_u32_e32 v9, 1, v10
	v_cmp_le_u32_e32 vcc_lo, s11, v8
	v_cndmask_b32_e32 v10, v10, v9, vcc_lo
	v_mul_hi_u32 v8, v10, v3
	v_mul_lo_u32 v9, v8, s14
	v_add_nc_u32_e32 v11, 1, v8
	v_sub_nc_u32_e32 v9, v10, v9
	v_subrev_nc_u32_e32 v12, s14, v9
	v_cmp_le_u32_e32 vcc_lo, s14, v9
	v_cndmask_b32_e32 v8, v8, v11, vcc_lo
	v_cndmask_b32_e32 v9, v9, v12, vcc_lo
	v_add_nc_u32_e32 v11, 1, v8
	v_cmp_le_u32_e32 vcc_lo, s14, v9
	v_cndmask_b32_e32 v11, v8, v11, vcc_lo
	v_mad_u64_u32 v[8:9], null, s15, v10, v[0:1]
	v_add_nc_u32_e32 v0, s12, v0
	v_mul_lo_u32 v12, v11, s14
	v_cmp_le_u32_e32 vcc_lo, s7, v0
	v_mul_lo_u32 v13, v8, s10
	v_mad_u64_u32 v[8:9], null, v11, s8, s[6:7]
	v_mov_b32_e32 v9, v1
	v_sub_nc_u32_e32 v10, v10, v12
	s_or_b32 s1, vcc_lo, s1
	v_mul_lo_u32 v10, v10, s9
	v_add3_u32 v8, v8, v13, v10
	v_lshlrev_b64 v[8:9], 4, v[8:9]
	v_add_co_u32 v8, s0, s2, v8
	v_add_co_ci_u32_e64 v9, null, s3, v9, s0
	s_waitcnt vmcnt(0)
	global_store_dwordx4 v[8:9], v[4:7], off
	s_andn2_b32 exec_lo, exec_lo, s1
	s_cbranch_execnz .LBB193_2
.LBB193_3:
	s_endpgm
	.section	.rodata,"a",@progbits
	.p2align	6, 0x0
	.amdhsa_kernel _ZN2at6native12_GLOBAL__N_126CatArrayBatchedCopy_contigINS1_10OpaqueTypeILj16EEEjLi3ELi64ELi64EEEvPT_NS1_25CatArrInputTensorMetadataIS5_T0_XT2_EXT3_EEENS1_16TensorSizeStrideIS8_Lj4EEEiS8_
		.amdhsa_group_segment_fixed_size 0
		.amdhsa_private_segment_fixed_size 0
		.amdhsa_kernarg_size 3696
		.amdhsa_user_sgpr_count 6
		.amdhsa_user_sgpr_private_segment_buffer 1
		.amdhsa_user_sgpr_dispatch_ptr 0
		.amdhsa_user_sgpr_queue_ptr 0
		.amdhsa_user_sgpr_kernarg_segment_ptr 1
		.amdhsa_user_sgpr_dispatch_id 0
		.amdhsa_user_sgpr_flat_scratch_init 0
		.amdhsa_user_sgpr_private_segment_size 0
		.amdhsa_wavefront_size32 1
		.amdhsa_uses_dynamic_stack 0
		.amdhsa_system_sgpr_private_segment_wavefront_offset 0
		.amdhsa_system_sgpr_workgroup_id_x 1
		.amdhsa_system_sgpr_workgroup_id_y 1
		.amdhsa_system_sgpr_workgroup_id_z 0
		.amdhsa_system_sgpr_workgroup_info 0
		.amdhsa_system_vgpr_workitem_id 0
		.amdhsa_next_free_vgpr 14
		.amdhsa_next_free_sgpr 22
		.amdhsa_reserve_vcc 1
		.amdhsa_reserve_flat_scratch 0
		.amdhsa_float_round_mode_32 0
		.amdhsa_float_round_mode_16_64 0
		.amdhsa_float_denorm_mode_32 3
		.amdhsa_float_denorm_mode_16_64 3
		.amdhsa_dx10_clamp 1
		.amdhsa_ieee_mode 1
		.amdhsa_fp16_overflow 0
		.amdhsa_workgroup_processor_mode 1
		.amdhsa_memory_ordered 1
		.amdhsa_forward_progress 1
		.amdhsa_shared_vgpr_count 0
		.amdhsa_exception_fp_ieee_invalid_op 0
		.amdhsa_exception_fp_denorm_src 0
		.amdhsa_exception_fp_ieee_div_zero 0
		.amdhsa_exception_fp_ieee_overflow 0
		.amdhsa_exception_fp_ieee_underflow 0
		.amdhsa_exception_fp_ieee_inexact 0
		.amdhsa_exception_int_div_zero 0
	.end_amdhsa_kernel
	.section	.text._ZN2at6native12_GLOBAL__N_126CatArrayBatchedCopy_contigINS1_10OpaqueTypeILj16EEEjLi3ELi64ELi64EEEvPT_NS1_25CatArrInputTensorMetadataIS5_T0_XT2_EXT3_EEENS1_16TensorSizeStrideIS8_Lj4EEEiS8_,"axG",@progbits,_ZN2at6native12_GLOBAL__N_126CatArrayBatchedCopy_contigINS1_10OpaqueTypeILj16EEEjLi3ELi64ELi64EEEvPT_NS1_25CatArrInputTensorMetadataIS5_T0_XT2_EXT3_EEENS1_16TensorSizeStrideIS8_Lj4EEEiS8_,comdat
.Lfunc_end193:
	.size	_ZN2at6native12_GLOBAL__N_126CatArrayBatchedCopy_contigINS1_10OpaqueTypeILj16EEEjLi3ELi64ELi64EEEvPT_NS1_25CatArrInputTensorMetadataIS5_T0_XT2_EXT3_EEENS1_16TensorSizeStrideIS8_Lj4EEEiS8_, .Lfunc_end193-_ZN2at6native12_GLOBAL__N_126CatArrayBatchedCopy_contigINS1_10OpaqueTypeILj16EEEjLi3ELi64ELi64EEEvPT_NS1_25CatArrInputTensorMetadataIS5_T0_XT2_EXT3_EEENS1_16TensorSizeStrideIS8_Lj4EEEiS8_
                                        ; -- End function
	.set _ZN2at6native12_GLOBAL__N_126CatArrayBatchedCopy_contigINS1_10OpaqueTypeILj16EEEjLi3ELi64ELi64EEEvPT_NS1_25CatArrInputTensorMetadataIS5_T0_XT2_EXT3_EEENS1_16TensorSizeStrideIS8_Lj4EEEiS8_.num_vgpr, 14
	.set _ZN2at6native12_GLOBAL__N_126CatArrayBatchedCopy_contigINS1_10OpaqueTypeILj16EEEjLi3ELi64ELi64EEEvPT_NS1_25CatArrInputTensorMetadataIS5_T0_XT2_EXT3_EEENS1_16TensorSizeStrideIS8_Lj4EEEiS8_.num_agpr, 0
	.set _ZN2at6native12_GLOBAL__N_126CatArrayBatchedCopy_contigINS1_10OpaqueTypeILj16EEEjLi3ELi64ELi64EEEvPT_NS1_25CatArrInputTensorMetadataIS5_T0_XT2_EXT3_EEENS1_16TensorSizeStrideIS8_Lj4EEEiS8_.numbered_sgpr, 22
	.set _ZN2at6native12_GLOBAL__N_126CatArrayBatchedCopy_contigINS1_10OpaqueTypeILj16EEEjLi3ELi64ELi64EEEvPT_NS1_25CatArrInputTensorMetadataIS5_T0_XT2_EXT3_EEENS1_16TensorSizeStrideIS8_Lj4EEEiS8_.num_named_barrier, 0
	.set _ZN2at6native12_GLOBAL__N_126CatArrayBatchedCopy_contigINS1_10OpaqueTypeILj16EEEjLi3ELi64ELi64EEEvPT_NS1_25CatArrInputTensorMetadataIS5_T0_XT2_EXT3_EEENS1_16TensorSizeStrideIS8_Lj4EEEiS8_.private_seg_size, 0
	.set _ZN2at6native12_GLOBAL__N_126CatArrayBatchedCopy_contigINS1_10OpaqueTypeILj16EEEjLi3ELi64ELi64EEEvPT_NS1_25CatArrInputTensorMetadataIS5_T0_XT2_EXT3_EEENS1_16TensorSizeStrideIS8_Lj4EEEiS8_.uses_vcc, 1
	.set _ZN2at6native12_GLOBAL__N_126CatArrayBatchedCopy_contigINS1_10OpaqueTypeILj16EEEjLi3ELi64ELi64EEEvPT_NS1_25CatArrInputTensorMetadataIS5_T0_XT2_EXT3_EEENS1_16TensorSizeStrideIS8_Lj4EEEiS8_.uses_flat_scratch, 0
	.set _ZN2at6native12_GLOBAL__N_126CatArrayBatchedCopy_contigINS1_10OpaqueTypeILj16EEEjLi3ELi64ELi64EEEvPT_NS1_25CatArrInputTensorMetadataIS5_T0_XT2_EXT3_EEENS1_16TensorSizeStrideIS8_Lj4EEEiS8_.has_dyn_sized_stack, 0
	.set _ZN2at6native12_GLOBAL__N_126CatArrayBatchedCopy_contigINS1_10OpaqueTypeILj16EEEjLi3ELi64ELi64EEEvPT_NS1_25CatArrInputTensorMetadataIS5_T0_XT2_EXT3_EEENS1_16TensorSizeStrideIS8_Lj4EEEiS8_.has_recursion, 0
	.set _ZN2at6native12_GLOBAL__N_126CatArrayBatchedCopy_contigINS1_10OpaqueTypeILj16EEEjLi3ELi64ELi64EEEvPT_NS1_25CatArrInputTensorMetadataIS5_T0_XT2_EXT3_EEENS1_16TensorSizeStrideIS8_Lj4EEEiS8_.has_indirect_call, 0
	.section	.AMDGPU.csdata,"",@progbits
; Kernel info:
; codeLenInByte = 572
; TotalNumSgprs: 24
; NumVgprs: 14
; ScratchSize: 0
; MemoryBound: 0
; FloatMode: 240
; IeeeMode: 1
; LDSByteSize: 0 bytes/workgroup (compile time only)
; SGPRBlocks: 0
; VGPRBlocks: 1
; NumSGPRsForWavesPerEU: 24
; NumVGPRsForWavesPerEU: 14
; Occupancy: 16
; WaveLimiterHint : 1
; COMPUTE_PGM_RSRC2:SCRATCH_EN: 0
; COMPUTE_PGM_RSRC2:USER_SGPR: 6
; COMPUTE_PGM_RSRC2:TRAP_HANDLER: 0
; COMPUTE_PGM_RSRC2:TGID_X_EN: 1
; COMPUTE_PGM_RSRC2:TGID_Y_EN: 1
; COMPUTE_PGM_RSRC2:TGID_Z_EN: 0
; COMPUTE_PGM_RSRC2:TIDIG_COMP_CNT: 0
	.section	.text._ZN2at6native12_GLOBAL__N_119CatArrayBatchedCopyINS1_10OpaqueTypeILj16EEEjLi3ELi64ELi64EEEvPT_NS1_25CatArrInputTensorMetadataIS5_T0_XT2_EXT3_EEENS1_16TensorSizeStrideIS8_Lj4EEEiS8_,"axG",@progbits,_ZN2at6native12_GLOBAL__N_119CatArrayBatchedCopyINS1_10OpaqueTypeILj16EEEjLi3ELi64ELi64EEEvPT_NS1_25CatArrInputTensorMetadataIS5_T0_XT2_EXT3_EEENS1_16TensorSizeStrideIS8_Lj4EEEiS8_,comdat
	.globl	_ZN2at6native12_GLOBAL__N_119CatArrayBatchedCopyINS1_10OpaqueTypeILj16EEEjLi3ELi64ELi64EEEvPT_NS1_25CatArrInputTensorMetadataIS5_T0_XT2_EXT3_EEENS1_16TensorSizeStrideIS8_Lj4EEEiS8_ ; -- Begin function _ZN2at6native12_GLOBAL__N_119CatArrayBatchedCopyINS1_10OpaqueTypeILj16EEEjLi3ELi64ELi64EEEvPT_NS1_25CatArrInputTensorMetadataIS5_T0_XT2_EXT3_EEENS1_16TensorSizeStrideIS8_Lj4EEEiS8_
	.p2align	8
	.type	_ZN2at6native12_GLOBAL__N_119CatArrayBatchedCopyINS1_10OpaqueTypeILj16EEEjLi3ELi64ELi64EEEvPT_NS1_25CatArrInputTensorMetadataIS5_T0_XT2_EXT3_EEENS1_16TensorSizeStrideIS8_Lj4EEEiS8_,@function
_ZN2at6native12_GLOBAL__N_119CatArrayBatchedCopyINS1_10OpaqueTypeILj16EEEjLi3ELi64ELi64EEEvPT_NS1_25CatArrInputTensorMetadataIS5_T0_XT2_EXT3_EEENS1_16TensorSizeStrideIS8_Lj4EEEiS8_: ; @_ZN2at6native12_GLOBAL__N_119CatArrayBatchedCopyINS1_10OpaqueTypeILj16EEEjLi3ELi64ELi64EEEvPT_NS1_25CatArrInputTensorMetadataIS5_T0_XT2_EXT3_EEENS1_16TensorSizeStrideIS8_Lj4EEEiS8_
; %bb.0:
	s_mov_b32 s0, s7
	s_load_dword s7, s[4:5], 0xd7c
	s_or_b32 s12, s4, 8
	s_mov_b32 s1, 0
	s_add_u32 s2, s4, 0xd70
	s_addc_u32 s3, s5, 0
	s_lshl_b64 s[8:9], s[0:1], 2
	s_mov_b32 s13, exec_lo
	s_waitcnt lgkmcnt(0)
	s_and_b32 s21, s7, 0xffff
	s_add_u32 s10, s12, s8
	s_addc_u32 s11, s5, s9
	v_mad_u64_u32 v[0:1], null, s6, s21, v[0:1]
	s_load_dword s7, s[10:11], 0x400
	s_waitcnt lgkmcnt(0)
	v_cmpx_gt_u32_e64 s7, v0
	s_cbranch_execz .LBB194_5
; %bb.1:
	s_mul_i32 s13, s0, 28
	s_mul_hi_u32 s15, s0, 28
	s_add_u32 s14, s10, s13
	v_mov_b32_e32 v1, 0
	s_addc_u32 s15, s11, s15
	s_add_u32 s10, s12, s0
	s_addc_u32 s11, s5, 0
	s_load_dwordx2 s[22:23], s[4:5], 0xd68
	global_load_ubyte v2, v1, s[10:11] offset:1280
	s_mul_hi_u32 s12, s0, 7
	s_mul_i32 s0, s0, 7
	s_waitcnt vmcnt(0)
	v_and_b32_e32 v2, 1, v2
	v_cmp_eq_u32_e32 vcc_lo, 1, v2
	s_xor_b32 s6, vcc_lo, -1
	s_add_u32 s24, s10, s0
	s_addc_u32 s25, s11, s12
	s_sub_u32 s0, 0, s8
	s_subb_u32 s8, 0, s9
	s_add_u32 s18, s24, s0
	s_addc_u32 s19, s25, s8
	s_clause 0x3
	s_load_dwordx2 s[16:17], s[4:5], 0xd4c
	s_load_dword s0, s[18:19], 0x300
	s_load_dwordx2 s[26:27], s[14:15], 0x544
	s_load_dwordx4 s[8:11], s[4:5], 0xd58
	s_waitcnt lgkmcnt(0)
	s_cmp_eq_u32 s22, 2
	s_load_dwordx4 s[12:15], s[14:15], 0x550
	s_cselect_b32 s11, s0, s17
	s_waitcnt lgkmcnt(0)
	s_cselect_b32 s15, s0, s27
	s_cmp_eq_u32 s22, 1
	v_cvt_f32_u32_e32 v2, s11
	s_cselect_b32 s16, s0, s16
	s_cselect_b32 s17, s0, s26
	v_cvt_f32_u32_e32 v3, s15
	v_cvt_f32_u32_e32 v4, s16
	;; [unrolled: 1-line block ×3, first 2 shown]
	v_rcp_iflag_f32_e32 v2, v2
	s_load_dword s20, s[18:19], 0x200
	s_load_dword s0, s[2:3], 0x0
	v_rcp_iflag_f32_e32 v3, v3
	v_rcp_iflag_f32_e32 v4, v4
	;; [unrolled: 1-line block ×3, first 2 shown]
	s_sub_i32 s18, 0, s11
	s_sub_i32 s19, 0, s15
	;; [unrolled: 1-line block ×4, first 2 shown]
	v_mul_f32_e32 v2, 0x4f7ffffe, v2
	v_mul_f32_e32 v3, 0x4f7ffffe, v3
	;; [unrolled: 1-line block ×4, first 2 shown]
	v_cvt_u32_f32_e32 v2, v2
	v_cvt_u32_f32_e32 v3, v3
	;; [unrolled: 1-line block ×4, first 2 shown]
	v_mul_lo_u32 v4, s18, v2
	s_waitcnt lgkmcnt(0)
	s_mul_i32 s20, s20, s23
	v_mul_lo_u32 v5, s19, v3
	v_mul_lo_u32 v8, s2, v6
	;; [unrolled: 1-line block ×3, first 2 shown]
	s_clause 0x1
	s_load_dwordx2 s[2:3], s[4:5], 0x0
	s_load_dwordx2 s[4:5], s[24:25], 0x0
	s_mul_i32 s21, s0, s21
	v_mul_hi_u32 v4, v2, v4
	v_mul_hi_u32 v5, v3, v5
	;; [unrolled: 1-line block ×4, first 2 shown]
	v_add_nc_u32_e32 v4, v2, v4
	v_add_nc_u32_e32 v5, v3, v5
	;; [unrolled: 1-line block ×4, first 2 shown]
	s_branch .LBB194_3
.LBB194_2:                              ;   in Loop: Header=BB194_3 Depth=1
	v_lshlrev_b64 v[2:3], 4, v[2:3]
	v_mul_hi_u32 v14, v4, v0
	s_waitcnt lgkmcnt(0)
	v_add_co_u32 v2, vcc_lo, s4, v2
	v_add_co_ci_u32_e64 v3, null, s5, v3, vcc_lo
	v_not_b32_e32 v12, v14
	global_load_dwordx4 v[8:11], v[2:3], off
	v_mad_u64_u32 v[2:3], null, s18, v14, v[0:1]
	v_mad_u64_u32 v[12:13], null, s11, v12, v[0:1]
	v_add_nc_u32_e32 v3, 1, v14
	v_cmp_le_u32_e32 vcc_lo, s11, v2
	v_cndmask_b32_e32 v3, v14, v3, vcc_lo
	v_cndmask_b32_e32 v2, v2, v12, vcc_lo
	v_add_nc_u32_e32 v12, 1, v3
	v_cmp_le_u32_e32 vcc_lo, s11, v2
	v_cndmask_b32_e32 v12, v3, v12, vcc_lo
	v_mul_hi_u32 v2, v12, v6
	v_mul_lo_u32 v3, v2, s16
	v_add_nc_u32_e32 v13, 1, v2
	v_sub_nc_u32_e32 v3, v12, v3
	v_subrev_nc_u32_e32 v14, s16, v3
	v_cmp_le_u32_e32 vcc_lo, s16, v3
	v_cndmask_b32_e32 v2, v2, v13, vcc_lo
	v_cndmask_b32_e32 v3, v3, v14, vcc_lo
	v_add_nc_u32_e32 v13, 1, v2
	v_cmp_le_u32_e32 vcc_lo, s16, v3
	v_cndmask_b32_e32 v13, v2, v13, vcc_lo
	v_mad_u64_u32 v[2:3], null, s18, v12, v[0:1]
	v_add_nc_u32_e32 v0, s21, v0
	v_mul_lo_u32 v14, v13, s16
	v_mul_lo_u32 v3, v13, s8
	v_cmp_le_u32_e32 vcc_lo, s7, v0
	v_sub_nc_u32_e32 v12, v12, v14
	v_mad_u64_u32 v[2:3], null, v2, s10, v[3:4]
	v_mov_b32_e32 v3, v1
	s_or_b32 s1, vcc_lo, s1
	v_mul_lo_u32 v12, v12, s9
	v_add3_u32 v2, v2, v12, s20
	v_lshlrev_b64 v[2:3], 4, v[2:3]
	v_add_co_u32 v2, s0, s2, v2
	v_add_co_ci_u32_e64 v3, null, s3, v3, s0
	s_waitcnt vmcnt(0)
	global_store_dwordx4 v[2:3], v[8:11], off
	s_andn2_b32 exec_lo, exec_lo, s1
	s_cbranch_execz .LBB194_5
.LBB194_3:                              ; =>This Inner Loop Header: Depth=1
	v_mov_b32_e32 v3, v1
	v_mov_b32_e32 v2, v0
	s_andn2_b32 vcc_lo, exec_lo, s6
	s_cbranch_vccnz .LBB194_2
; %bb.4:                                ;   in Loop: Header=BB194_3 Depth=1
	v_mul_hi_u32 v10, v5, v0
	v_not_b32_e32 v8, v10
	v_mad_u64_u32 v[2:3], null, s19, v10, v[0:1]
	v_add_nc_u32_e32 v3, 1, v10
	v_mad_u64_u32 v[8:9], null, s15, v8, v[0:1]
	v_cmp_le_u32_e32 vcc_lo, s15, v2
	v_cndmask_b32_e32 v3, v10, v3, vcc_lo
	v_cndmask_b32_e32 v2, v2, v8, vcc_lo
	v_add_nc_u32_e32 v8, 1, v3
	v_cmp_le_u32_e32 vcc_lo, s15, v2
	v_cndmask_b32_e32 v8, v3, v8, vcc_lo
	v_mul_hi_u32 v2, v8, v7
	v_mul_lo_u32 v3, v2, s17
	v_add_nc_u32_e32 v9, 1, v2
	v_sub_nc_u32_e32 v3, v8, v3
	v_subrev_nc_u32_e32 v10, s17, v3
	v_cmp_le_u32_e32 vcc_lo, s17, v3
	v_cndmask_b32_e32 v2, v2, v9, vcc_lo
	v_cndmask_b32_e32 v3, v3, v10, vcc_lo
	v_add_nc_u32_e32 v9, 1, v2
	v_cmp_le_u32_e32 vcc_lo, s17, v3
	v_cndmask_b32_e32 v9, v2, v9, vcc_lo
	v_mad_u64_u32 v[2:3], null, s19, v8, v[0:1]
	v_mul_lo_u32 v10, v9, s17
	v_mul_lo_u32 v2, v2, s14
	v_sub_nc_u32_e32 v3, v8, v10
	v_mul_lo_u32 v8, v9, s12
	v_mul_lo_u32 v3, v3, s13
	v_add3_u32 v2, v2, v8, v3
	v_mov_b32_e32 v3, v1
	s_branch .LBB194_2
.LBB194_5:
	s_endpgm
	.section	.rodata,"a",@progbits
	.p2align	6, 0x0
	.amdhsa_kernel _ZN2at6native12_GLOBAL__N_119CatArrayBatchedCopyINS1_10OpaqueTypeILj16EEEjLi3ELi64ELi64EEEvPT_NS1_25CatArrInputTensorMetadataIS5_T0_XT2_EXT3_EEENS1_16TensorSizeStrideIS8_Lj4EEEiS8_
		.amdhsa_group_segment_fixed_size 0
		.amdhsa_private_segment_fixed_size 0
		.amdhsa_kernarg_size 3696
		.amdhsa_user_sgpr_count 6
		.amdhsa_user_sgpr_private_segment_buffer 1
		.amdhsa_user_sgpr_dispatch_ptr 0
		.amdhsa_user_sgpr_queue_ptr 0
		.amdhsa_user_sgpr_kernarg_segment_ptr 1
		.amdhsa_user_sgpr_dispatch_id 0
		.amdhsa_user_sgpr_flat_scratch_init 0
		.amdhsa_user_sgpr_private_segment_size 0
		.amdhsa_wavefront_size32 1
		.amdhsa_uses_dynamic_stack 0
		.amdhsa_system_sgpr_private_segment_wavefront_offset 0
		.amdhsa_system_sgpr_workgroup_id_x 1
		.amdhsa_system_sgpr_workgroup_id_y 1
		.amdhsa_system_sgpr_workgroup_id_z 0
		.amdhsa_system_sgpr_workgroup_info 0
		.amdhsa_system_vgpr_workitem_id 0
		.amdhsa_next_free_vgpr 15
		.amdhsa_next_free_sgpr 28
		.amdhsa_reserve_vcc 1
		.amdhsa_reserve_flat_scratch 0
		.amdhsa_float_round_mode_32 0
		.amdhsa_float_round_mode_16_64 0
		.amdhsa_float_denorm_mode_32 3
		.amdhsa_float_denorm_mode_16_64 3
		.amdhsa_dx10_clamp 1
		.amdhsa_ieee_mode 1
		.amdhsa_fp16_overflow 0
		.amdhsa_workgroup_processor_mode 1
		.amdhsa_memory_ordered 1
		.amdhsa_forward_progress 1
		.amdhsa_shared_vgpr_count 0
		.amdhsa_exception_fp_ieee_invalid_op 0
		.amdhsa_exception_fp_denorm_src 0
		.amdhsa_exception_fp_ieee_div_zero 0
		.amdhsa_exception_fp_ieee_overflow 0
		.amdhsa_exception_fp_ieee_underflow 0
		.amdhsa_exception_fp_ieee_inexact 0
		.amdhsa_exception_int_div_zero 0
	.end_amdhsa_kernel
	.section	.text._ZN2at6native12_GLOBAL__N_119CatArrayBatchedCopyINS1_10OpaqueTypeILj16EEEjLi3ELi64ELi64EEEvPT_NS1_25CatArrInputTensorMetadataIS5_T0_XT2_EXT3_EEENS1_16TensorSizeStrideIS8_Lj4EEEiS8_,"axG",@progbits,_ZN2at6native12_GLOBAL__N_119CatArrayBatchedCopyINS1_10OpaqueTypeILj16EEEjLi3ELi64ELi64EEEvPT_NS1_25CatArrInputTensorMetadataIS5_T0_XT2_EXT3_EEENS1_16TensorSizeStrideIS8_Lj4EEEiS8_,comdat
.Lfunc_end194:
	.size	_ZN2at6native12_GLOBAL__N_119CatArrayBatchedCopyINS1_10OpaqueTypeILj16EEEjLi3ELi64ELi64EEEvPT_NS1_25CatArrInputTensorMetadataIS5_T0_XT2_EXT3_EEENS1_16TensorSizeStrideIS8_Lj4EEEiS8_, .Lfunc_end194-_ZN2at6native12_GLOBAL__N_119CatArrayBatchedCopyINS1_10OpaqueTypeILj16EEEjLi3ELi64ELi64EEEvPT_NS1_25CatArrInputTensorMetadataIS5_T0_XT2_EXT3_EEENS1_16TensorSizeStrideIS8_Lj4EEEiS8_
                                        ; -- End function
	.set _ZN2at6native12_GLOBAL__N_119CatArrayBatchedCopyINS1_10OpaqueTypeILj16EEEjLi3ELi64ELi64EEEvPT_NS1_25CatArrInputTensorMetadataIS5_T0_XT2_EXT3_EEENS1_16TensorSizeStrideIS8_Lj4EEEiS8_.num_vgpr, 15
	.set _ZN2at6native12_GLOBAL__N_119CatArrayBatchedCopyINS1_10OpaqueTypeILj16EEEjLi3ELi64ELi64EEEvPT_NS1_25CatArrInputTensorMetadataIS5_T0_XT2_EXT3_EEENS1_16TensorSizeStrideIS8_Lj4EEEiS8_.num_agpr, 0
	.set _ZN2at6native12_GLOBAL__N_119CatArrayBatchedCopyINS1_10OpaqueTypeILj16EEEjLi3ELi64ELi64EEEvPT_NS1_25CatArrInputTensorMetadataIS5_T0_XT2_EXT3_EEENS1_16TensorSizeStrideIS8_Lj4EEEiS8_.numbered_sgpr, 28
	.set _ZN2at6native12_GLOBAL__N_119CatArrayBatchedCopyINS1_10OpaqueTypeILj16EEEjLi3ELi64ELi64EEEvPT_NS1_25CatArrInputTensorMetadataIS5_T0_XT2_EXT3_EEENS1_16TensorSizeStrideIS8_Lj4EEEiS8_.num_named_barrier, 0
	.set _ZN2at6native12_GLOBAL__N_119CatArrayBatchedCopyINS1_10OpaqueTypeILj16EEEjLi3ELi64ELi64EEEvPT_NS1_25CatArrInputTensorMetadataIS5_T0_XT2_EXT3_EEENS1_16TensorSizeStrideIS8_Lj4EEEiS8_.private_seg_size, 0
	.set _ZN2at6native12_GLOBAL__N_119CatArrayBatchedCopyINS1_10OpaqueTypeILj16EEEjLi3ELi64ELi64EEEvPT_NS1_25CatArrInputTensorMetadataIS5_T0_XT2_EXT3_EEENS1_16TensorSizeStrideIS8_Lj4EEEiS8_.uses_vcc, 1
	.set _ZN2at6native12_GLOBAL__N_119CatArrayBatchedCopyINS1_10OpaqueTypeILj16EEEjLi3ELi64ELi64EEEvPT_NS1_25CatArrInputTensorMetadataIS5_T0_XT2_EXT3_EEENS1_16TensorSizeStrideIS8_Lj4EEEiS8_.uses_flat_scratch, 0
	.set _ZN2at6native12_GLOBAL__N_119CatArrayBatchedCopyINS1_10OpaqueTypeILj16EEEjLi3ELi64ELi64EEEvPT_NS1_25CatArrInputTensorMetadataIS5_T0_XT2_EXT3_EEENS1_16TensorSizeStrideIS8_Lj4EEEiS8_.has_dyn_sized_stack, 0
	.set _ZN2at6native12_GLOBAL__N_119CatArrayBatchedCopyINS1_10OpaqueTypeILj16EEEjLi3ELi64ELi64EEEvPT_NS1_25CatArrInputTensorMetadataIS5_T0_XT2_EXT3_EEENS1_16TensorSizeStrideIS8_Lj4EEEiS8_.has_recursion, 0
	.set _ZN2at6native12_GLOBAL__N_119CatArrayBatchedCopyINS1_10OpaqueTypeILj16EEEjLi3ELi64ELi64EEEvPT_NS1_25CatArrInputTensorMetadataIS5_T0_XT2_EXT3_EEENS1_16TensorSizeStrideIS8_Lj4EEEiS8_.has_indirect_call, 0
	.section	.AMDGPU.csdata,"",@progbits
; Kernel info:
; codeLenInByte = 932
; TotalNumSgprs: 30
; NumVgprs: 15
; ScratchSize: 0
; MemoryBound: 0
; FloatMode: 240
; IeeeMode: 1
; LDSByteSize: 0 bytes/workgroup (compile time only)
; SGPRBlocks: 0
; VGPRBlocks: 1
; NumSGPRsForWavesPerEU: 30
; NumVGPRsForWavesPerEU: 15
; Occupancy: 16
; WaveLimiterHint : 1
; COMPUTE_PGM_RSRC2:SCRATCH_EN: 0
; COMPUTE_PGM_RSRC2:USER_SGPR: 6
; COMPUTE_PGM_RSRC2:TRAP_HANDLER: 0
; COMPUTE_PGM_RSRC2:TGID_X_EN: 1
; COMPUTE_PGM_RSRC2:TGID_Y_EN: 1
; COMPUTE_PGM_RSRC2:TGID_Z_EN: 0
; COMPUTE_PGM_RSRC2:TIDIG_COMP_CNT: 0
	.section	.text._ZN2at6native12_GLOBAL__N_130CatArrayBatchedCopy_vectorizedINS1_10OpaqueTypeILj16EEEjLi4ELi64ELi64ELi16ELi1EEEvPcNS1_25CatArrInputTensorMetadataIT_T0_XT2_EXT3_EEENS1_16TensorSizeStrideIS8_Lj4EEEiS8_,"axG",@progbits,_ZN2at6native12_GLOBAL__N_130CatArrayBatchedCopy_vectorizedINS1_10OpaqueTypeILj16EEEjLi4ELi64ELi64ELi16ELi1EEEvPcNS1_25CatArrInputTensorMetadataIT_T0_XT2_EXT3_EEENS1_16TensorSizeStrideIS8_Lj4EEEiS8_,comdat
	.globl	_ZN2at6native12_GLOBAL__N_130CatArrayBatchedCopy_vectorizedINS1_10OpaqueTypeILj16EEEjLi4ELi64ELi64ELi16ELi1EEEvPcNS1_25CatArrInputTensorMetadataIT_T0_XT2_EXT3_EEENS1_16TensorSizeStrideIS8_Lj4EEEiS8_ ; -- Begin function _ZN2at6native12_GLOBAL__N_130CatArrayBatchedCopy_vectorizedINS1_10OpaqueTypeILj16EEEjLi4ELi64ELi64ELi16ELi1EEEvPcNS1_25CatArrInputTensorMetadataIT_T0_XT2_EXT3_EEENS1_16TensorSizeStrideIS8_Lj4EEEiS8_
	.p2align	8
	.type	_ZN2at6native12_GLOBAL__N_130CatArrayBatchedCopy_vectorizedINS1_10OpaqueTypeILj16EEEjLi4ELi64ELi64ELi16ELi1EEEvPcNS1_25CatArrInputTensorMetadataIT_T0_XT2_EXT3_EEENS1_16TensorSizeStrideIS8_Lj4EEEiS8_,@function
_ZN2at6native12_GLOBAL__N_130CatArrayBatchedCopy_vectorizedINS1_10OpaqueTypeILj16EEEjLi4ELi64ELi64ELi16ELi1EEEvPcNS1_25CatArrInputTensorMetadataIT_T0_XT2_EXT3_EEENS1_16TensorSizeStrideIS8_Lj4EEEiS8_: ; @_ZN2at6native12_GLOBAL__N_130CatArrayBatchedCopy_vectorizedINS1_10OpaqueTypeILj16EEEjLi4ELi64ELi64ELi16ELi1EEEvPcNS1_25CatArrInputTensorMetadataIT_T0_XT2_EXT3_EEENS1_16TensorSizeStrideIS8_Lj4EEEiS8_
; %bb.0:
	s_mov_b32 s0, s7
	s_load_dword s7, s[4:5], 0xd7c
	s_mov_b32 s1, 0
	s_add_u32 s2, s4, 0xd70
	s_addc_u32 s3, s5, 0
	s_lshl_b64 s[8:9], s[0:1], 2
	s_waitcnt lgkmcnt(0)
	s_and_b32 s15, s7, 0xffff
	s_add_u32 s12, s4, s8
	s_addc_u32 s13, s5, s9
	v_mad_u64_u32 v[0:1], null, s6, s15, v[0:1]
	s_load_dword s10, s[12:13], 0x408
	s_add_u32 s0, s12, 8
	s_addc_u32 s6, s13, 0
	s_mov_b32 s7, exec_lo
	s_waitcnt lgkmcnt(0)
	v_cmpx_gt_u32_e64 s10, v0
	s_cbranch_execz .LBB195_3
; %bb.1:
	s_add_u32 s20, s0, s8
	s_addc_u32 s21, s6, s9
	s_sub_u32 s0, 0, s8
	s_subb_u32 s7, 0, s9
	s_add_u32 s6, s20, s0
	s_addc_u32 s7, s21, s7
	s_clause 0x3
	s_load_dwordx2 s[12:13], s[4:5], 0xd68
	s_load_dword s0, s[6:7], 0x200
	s_load_dword s6, s[6:7], 0x300
	s_load_dwordx4 s[16:19], s[4:5], 0xd4c
	s_waitcnt lgkmcnt(0)
	s_mul_i32 s0, s0, s13
	s_mul_i32 s6, s6, s13
	s_lshl_b64 s[22:23], s[0:1], 4
	s_cmp_eq_u32 s12, 3
	s_load_dword s0, s[2:3], 0x0
	s_cselect_b32 s8, s6, s18
	s_cmp_eq_u32 s12, 2
	v_cvt_f32_u32_e32 v1, s8
	s_cselect_b32 s9, s6, s17
	s_cmp_eq_u32 s12, 1
	v_cvt_f32_u32_e32 v2, s9
	s_cselect_b32 s11, s6, s16
	s_load_dwordx2 s[18:19], s[4:5], 0x0
	v_cvt_f32_u32_e32 v3, s11
	v_rcp_iflag_f32_e32 v1, v1
	v_rcp_iflag_f32_e32 v2, v2
	s_load_dwordx4 s[4:7], s[4:5], 0xd58
	v_rcp_iflag_f32_e32 v3, v3
	v_mul_f32_e32 v1, 0x4f7ffffe, v1
	v_mul_f32_e32 v2, 0x4f7ffffe, v2
	s_waitcnt lgkmcnt(0)
	s_mul_i32 s15, s0, s15
	v_mul_f32_e32 v3, 0x4f7ffffe, v3
	v_cvt_u32_f32_e32 v1, v1
	v_cvt_u32_f32_e32 v4, v2
	s_add_u32 s12, s18, s22
	v_cvt_u32_f32_e32 v5, v3
	s_addc_u32 s13, s19, s23
	s_sub_i32 s14, 0, s8
	s_sub_i32 s2, 0, s9
	;; [unrolled: 1-line block ×3, first 2 shown]
	v_mul_lo_u32 v2, s14, v1
	v_mul_lo_u32 v3, s2, v4
	;; [unrolled: 1-line block ×3, first 2 shown]
	s_load_dwordx2 s[2:3], s[20:21], 0x0
	v_mul_hi_u32 v2, v1, v2
	v_mul_hi_u32 v3, v4, v3
	;; [unrolled: 1-line block ×3, first 2 shown]
	v_add_nc_u32_e32 v2, v1, v2
	v_mov_b32_e32 v1, 0
	v_add_nc_u32_e32 v3, v4, v3
	v_add_nc_u32_e32 v4, v5, v6
.LBB195_2:                              ; =>This Inner Loop Header: Depth=1
	v_lshlrev_b64 v[5:6], 4, v[0:1]
	v_mul_hi_u32 v11, v2, v0
	s_waitcnt lgkmcnt(0)
	v_add_co_u32 v5, vcc_lo, s2, v5
	v_add_co_ci_u32_e64 v6, null, s3, v6, vcc_lo
	v_mul_lo_u32 v12, s8, v11
	v_not_b32_e32 v9, v11
	v_add_nc_u32_e32 v13, 1, v11
	global_load_dwordx4 v[5:8], v[5:6], off
	v_mad_u64_u32 v[9:10], null, s8, v9, v[0:1]
	v_sub_nc_u32_e32 v10, v0, v12
	v_cmp_le_u32_e32 vcc_lo, s8, v10
	v_cndmask_b32_e32 v11, v11, v13, vcc_lo
	v_cndmask_b32_e32 v9, v10, v9, vcc_lo
	v_add_nc_u32_e32 v10, 1, v11
	v_cmp_le_u32_e32 vcc_lo, s8, v9
	v_cndmask_b32_e32 v11, v11, v10, vcc_lo
	v_mul_hi_u32 v12, v11, v3
	v_mad_u64_u32 v[9:10], null, s14, v11, v[0:1]
	v_add_nc_u32_e32 v0, s15, v0
	v_mul_lo_u32 v10, v12, s9
	v_add_nc_u32_e32 v13, 1, v12
	v_mul_lo_u32 v9, v9, s7
	v_sub_nc_u32_e32 v10, v11, v10
	v_subrev_nc_u32_e32 v14, s9, v10
	v_cmp_le_u32_e32 vcc_lo, s9, v10
	v_cndmask_b32_e32 v12, v12, v13, vcc_lo
	v_cndmask_b32_e32 v10, v10, v14, vcc_lo
	v_add_nc_u32_e32 v13, 1, v12
	v_cmp_le_u32_e32 vcc_lo, s9, v10
	v_cndmask_b32_e32 v10, v12, v13, vcc_lo
	v_mul_hi_u32 v12, v10, v4
	v_mul_lo_u32 v13, v12, s11
	v_add_nc_u32_e32 v14, 1, v12
	v_sub_nc_u32_e32 v13, v10, v13
	v_subrev_nc_u32_e32 v15, s11, v13
	v_cmp_le_u32_e32 vcc_lo, s11, v13
	v_cndmask_b32_e32 v12, v12, v14, vcc_lo
	v_cndmask_b32_e32 v13, v13, v15, vcc_lo
	v_add_nc_u32_e32 v14, 1, v12
	v_cmp_le_u32_e32 vcc_lo, s11, v13
	v_mul_lo_u32 v13, v10, s9
	v_cndmask_b32_e32 v12, v12, v14, vcc_lo
	v_cmp_le_u32_e32 vcc_lo, s10, v0
	v_sub_nc_u32_e32 v11, v11, v13
	v_mul_lo_u32 v14, v12, s11
	s_or_b32 s1, vcc_lo, s1
	v_mul_lo_u32 v11, v11, s6
	v_sub_nc_u32_e32 v13, v10, v14
	v_mad_u64_u32 v[9:10], null, v12, s4, v[9:10]
	v_mov_b32_e32 v10, v1
	v_mul_lo_u32 v12, v13, s5
	v_add3_u32 v9, v9, v11, v12
	v_lshlrev_b64 v[9:10], 4, v[9:10]
	v_add_co_u32 v9, s0, s12, v9
	v_add_co_ci_u32_e64 v10, null, s13, v10, s0
	s_waitcnt vmcnt(0)
	global_store_dwordx4 v[9:10], v[5:8], off
	s_andn2_b32 exec_lo, exec_lo, s1
	s_cbranch_execnz .LBB195_2
.LBB195_3:
	s_endpgm
	.section	.rodata,"a",@progbits
	.p2align	6, 0x0
	.amdhsa_kernel _ZN2at6native12_GLOBAL__N_130CatArrayBatchedCopy_vectorizedINS1_10OpaqueTypeILj16EEEjLi4ELi64ELi64ELi16ELi1EEEvPcNS1_25CatArrInputTensorMetadataIT_T0_XT2_EXT3_EEENS1_16TensorSizeStrideIS8_Lj4EEEiS8_
		.amdhsa_group_segment_fixed_size 0
		.amdhsa_private_segment_fixed_size 0
		.amdhsa_kernarg_size 3696
		.amdhsa_user_sgpr_count 6
		.amdhsa_user_sgpr_private_segment_buffer 1
		.amdhsa_user_sgpr_dispatch_ptr 0
		.amdhsa_user_sgpr_queue_ptr 0
		.amdhsa_user_sgpr_kernarg_segment_ptr 1
		.amdhsa_user_sgpr_dispatch_id 0
		.amdhsa_user_sgpr_flat_scratch_init 0
		.amdhsa_user_sgpr_private_segment_size 0
		.amdhsa_wavefront_size32 1
		.amdhsa_uses_dynamic_stack 0
		.amdhsa_system_sgpr_private_segment_wavefront_offset 0
		.amdhsa_system_sgpr_workgroup_id_x 1
		.amdhsa_system_sgpr_workgroup_id_y 1
		.amdhsa_system_sgpr_workgroup_id_z 0
		.amdhsa_system_sgpr_workgroup_info 0
		.amdhsa_system_vgpr_workitem_id 0
		.amdhsa_next_free_vgpr 16
		.amdhsa_next_free_sgpr 24
		.amdhsa_reserve_vcc 1
		.amdhsa_reserve_flat_scratch 0
		.amdhsa_float_round_mode_32 0
		.amdhsa_float_round_mode_16_64 0
		.amdhsa_float_denorm_mode_32 3
		.amdhsa_float_denorm_mode_16_64 3
		.amdhsa_dx10_clamp 1
		.amdhsa_ieee_mode 1
		.amdhsa_fp16_overflow 0
		.amdhsa_workgroup_processor_mode 1
		.amdhsa_memory_ordered 1
		.amdhsa_forward_progress 1
		.amdhsa_shared_vgpr_count 0
		.amdhsa_exception_fp_ieee_invalid_op 0
		.amdhsa_exception_fp_denorm_src 0
		.amdhsa_exception_fp_ieee_div_zero 0
		.amdhsa_exception_fp_ieee_overflow 0
		.amdhsa_exception_fp_ieee_underflow 0
		.amdhsa_exception_fp_ieee_inexact 0
		.amdhsa_exception_int_div_zero 0
	.end_amdhsa_kernel
	.section	.text._ZN2at6native12_GLOBAL__N_130CatArrayBatchedCopy_vectorizedINS1_10OpaqueTypeILj16EEEjLi4ELi64ELi64ELi16ELi1EEEvPcNS1_25CatArrInputTensorMetadataIT_T0_XT2_EXT3_EEENS1_16TensorSizeStrideIS8_Lj4EEEiS8_,"axG",@progbits,_ZN2at6native12_GLOBAL__N_130CatArrayBatchedCopy_vectorizedINS1_10OpaqueTypeILj16EEEjLi4ELi64ELi64ELi16ELi1EEEvPcNS1_25CatArrInputTensorMetadataIT_T0_XT2_EXT3_EEENS1_16TensorSizeStrideIS8_Lj4EEEiS8_,comdat
.Lfunc_end195:
	.size	_ZN2at6native12_GLOBAL__N_130CatArrayBatchedCopy_vectorizedINS1_10OpaqueTypeILj16EEEjLi4ELi64ELi64ELi16ELi1EEEvPcNS1_25CatArrInputTensorMetadataIT_T0_XT2_EXT3_EEENS1_16TensorSizeStrideIS8_Lj4EEEiS8_, .Lfunc_end195-_ZN2at6native12_GLOBAL__N_130CatArrayBatchedCopy_vectorizedINS1_10OpaqueTypeILj16EEEjLi4ELi64ELi64ELi16ELi1EEEvPcNS1_25CatArrInputTensorMetadataIT_T0_XT2_EXT3_EEENS1_16TensorSizeStrideIS8_Lj4EEEiS8_
                                        ; -- End function
	.set _ZN2at6native12_GLOBAL__N_130CatArrayBatchedCopy_vectorizedINS1_10OpaqueTypeILj16EEEjLi4ELi64ELi64ELi16ELi1EEEvPcNS1_25CatArrInputTensorMetadataIT_T0_XT2_EXT3_EEENS1_16TensorSizeStrideIS8_Lj4EEEiS8_.num_vgpr, 16
	.set _ZN2at6native12_GLOBAL__N_130CatArrayBatchedCopy_vectorizedINS1_10OpaqueTypeILj16EEEjLi4ELi64ELi64ELi16ELi1EEEvPcNS1_25CatArrInputTensorMetadataIT_T0_XT2_EXT3_EEENS1_16TensorSizeStrideIS8_Lj4EEEiS8_.num_agpr, 0
	.set _ZN2at6native12_GLOBAL__N_130CatArrayBatchedCopy_vectorizedINS1_10OpaqueTypeILj16EEEjLi4ELi64ELi64ELi16ELi1EEEvPcNS1_25CatArrInputTensorMetadataIT_T0_XT2_EXT3_EEENS1_16TensorSizeStrideIS8_Lj4EEEiS8_.numbered_sgpr, 24
	.set _ZN2at6native12_GLOBAL__N_130CatArrayBatchedCopy_vectorizedINS1_10OpaqueTypeILj16EEEjLi4ELi64ELi64ELi16ELi1EEEvPcNS1_25CatArrInputTensorMetadataIT_T0_XT2_EXT3_EEENS1_16TensorSizeStrideIS8_Lj4EEEiS8_.num_named_barrier, 0
	.set _ZN2at6native12_GLOBAL__N_130CatArrayBatchedCopy_vectorizedINS1_10OpaqueTypeILj16EEEjLi4ELi64ELi64ELi16ELi1EEEvPcNS1_25CatArrInputTensorMetadataIT_T0_XT2_EXT3_EEENS1_16TensorSizeStrideIS8_Lj4EEEiS8_.private_seg_size, 0
	.set _ZN2at6native12_GLOBAL__N_130CatArrayBatchedCopy_vectorizedINS1_10OpaqueTypeILj16EEEjLi4ELi64ELi64ELi16ELi1EEEvPcNS1_25CatArrInputTensorMetadataIT_T0_XT2_EXT3_EEENS1_16TensorSizeStrideIS8_Lj4EEEiS8_.uses_vcc, 1
	.set _ZN2at6native12_GLOBAL__N_130CatArrayBatchedCopy_vectorizedINS1_10OpaqueTypeILj16EEEjLi4ELi64ELi64ELi16ELi1EEEvPcNS1_25CatArrInputTensorMetadataIT_T0_XT2_EXT3_EEENS1_16TensorSizeStrideIS8_Lj4EEEiS8_.uses_flat_scratch, 0
	.set _ZN2at6native12_GLOBAL__N_130CatArrayBatchedCopy_vectorizedINS1_10OpaqueTypeILj16EEEjLi4ELi64ELi64ELi16ELi1EEEvPcNS1_25CatArrInputTensorMetadataIT_T0_XT2_EXT3_EEENS1_16TensorSizeStrideIS8_Lj4EEEiS8_.has_dyn_sized_stack, 0
	.set _ZN2at6native12_GLOBAL__N_130CatArrayBatchedCopy_vectorizedINS1_10OpaqueTypeILj16EEEjLi4ELi64ELi64ELi16ELi1EEEvPcNS1_25CatArrInputTensorMetadataIT_T0_XT2_EXT3_EEENS1_16TensorSizeStrideIS8_Lj4EEEiS8_.has_recursion, 0
	.set _ZN2at6native12_GLOBAL__N_130CatArrayBatchedCopy_vectorizedINS1_10OpaqueTypeILj16EEEjLi4ELi64ELi64ELi16ELi1EEEvPcNS1_25CatArrInputTensorMetadataIT_T0_XT2_EXT3_EEENS1_16TensorSizeStrideIS8_Lj4EEEiS8_.has_indirect_call, 0
	.section	.AMDGPU.csdata,"",@progbits
; Kernel info:
; codeLenInByte = 716
; TotalNumSgprs: 26
; NumVgprs: 16
; ScratchSize: 0
; MemoryBound: 0
; FloatMode: 240
; IeeeMode: 1
; LDSByteSize: 0 bytes/workgroup (compile time only)
; SGPRBlocks: 0
; VGPRBlocks: 1
; NumSGPRsForWavesPerEU: 26
; NumVGPRsForWavesPerEU: 16
; Occupancy: 16
; WaveLimiterHint : 1
; COMPUTE_PGM_RSRC2:SCRATCH_EN: 0
; COMPUTE_PGM_RSRC2:USER_SGPR: 6
; COMPUTE_PGM_RSRC2:TRAP_HANDLER: 0
; COMPUTE_PGM_RSRC2:TGID_X_EN: 1
; COMPUTE_PGM_RSRC2:TGID_Y_EN: 1
; COMPUTE_PGM_RSRC2:TGID_Z_EN: 0
; COMPUTE_PGM_RSRC2:TIDIG_COMP_CNT: 0
	.section	.text._ZN2at6native12_GLOBAL__N_135CatArrayBatchedCopy_alignedK_contigINS1_10OpaqueTypeILj16EEEjLi4ELi64ELi64ELi16EEEvPT_NS1_25CatArrInputTensorMetadataIS5_T0_XT2_EXT3_EEENS1_16TensorSizeStrideIS8_Lj4EEEiS8_,"axG",@progbits,_ZN2at6native12_GLOBAL__N_135CatArrayBatchedCopy_alignedK_contigINS1_10OpaqueTypeILj16EEEjLi4ELi64ELi64ELi16EEEvPT_NS1_25CatArrInputTensorMetadataIS5_T0_XT2_EXT3_EEENS1_16TensorSizeStrideIS8_Lj4EEEiS8_,comdat
	.globl	_ZN2at6native12_GLOBAL__N_135CatArrayBatchedCopy_alignedK_contigINS1_10OpaqueTypeILj16EEEjLi4ELi64ELi64ELi16EEEvPT_NS1_25CatArrInputTensorMetadataIS5_T0_XT2_EXT3_EEENS1_16TensorSizeStrideIS8_Lj4EEEiS8_ ; -- Begin function _ZN2at6native12_GLOBAL__N_135CatArrayBatchedCopy_alignedK_contigINS1_10OpaqueTypeILj16EEEjLi4ELi64ELi64ELi16EEEvPT_NS1_25CatArrInputTensorMetadataIS5_T0_XT2_EXT3_EEENS1_16TensorSizeStrideIS8_Lj4EEEiS8_
	.p2align	8
	.type	_ZN2at6native12_GLOBAL__N_135CatArrayBatchedCopy_alignedK_contigINS1_10OpaqueTypeILj16EEEjLi4ELi64ELi64ELi16EEEvPT_NS1_25CatArrInputTensorMetadataIS5_T0_XT2_EXT3_EEENS1_16TensorSizeStrideIS8_Lj4EEEiS8_,@function
_ZN2at6native12_GLOBAL__N_135CatArrayBatchedCopy_alignedK_contigINS1_10OpaqueTypeILj16EEEjLi4ELi64ELi64ELi16EEEvPT_NS1_25CatArrInputTensorMetadataIS5_T0_XT2_EXT3_EEENS1_16TensorSizeStrideIS8_Lj4EEEiS8_: ; @_ZN2at6native12_GLOBAL__N_135CatArrayBatchedCopy_alignedK_contigINS1_10OpaqueTypeILj16EEEjLi4ELi64ELi64ELi16EEEvPT_NS1_25CatArrInputTensorMetadataIS5_T0_XT2_EXT3_EEENS1_16TensorSizeStrideIS8_Lj4EEEiS8_
; %bb.0:
	s_mov_b32 s0, s7
	s_load_dword s7, s[4:5], 0xd7c
	s_mov_b32 s1, 0
	s_add_u32 s2, s4, 0xd70
	s_addc_u32 s3, s5, 0
	s_lshl_b64 s[16:17], s[0:1], 2
	s_waitcnt lgkmcnt(0)
	s_and_b32 s0, s7, 0xffff
	s_add_u32 s8, s4, s16
	s_addc_u32 s9, s5, s17
	v_mad_u64_u32 v[0:1], null, s6, s0, v[0:1]
	s_load_dword s18, s[8:9], 0x408
	s_add_u32 s6, s8, 8
	s_addc_u32 s7, s9, 0
	s_mov_b32 s8, exec_lo
	s_waitcnt lgkmcnt(0)
	v_cmpx_gt_u32_e64 s18, v0
	s_cbranch_execz .LBB196_6
; %bb.1:
	s_add_u32 s6, s6, s16
	s_addc_u32 s7, s7, s17
	s_sub_u32 s16, 0, s16
	s_subb_u32 s17, 0, s17
	s_add_u32 s16, s6, s16
	s_load_dwordx8 s[8:15], s[4:5], 0xd4c
	s_addc_u32 s17, s7, s17
	s_load_dword s19, s[16:17], 0x300
	s_waitcnt lgkmcnt(0)
	s_cmp_eq_u32 s15, 3
	s_cselect_b32 s10, s19, s10
	s_cmp_eq_u32 s15, 2
	v_cvt_f32_u32_e32 v1, s10
	s_cselect_b32 s9, s19, s9
	s_cmp_eq_u32 s15, 1
	v_cvt_f32_u32_e32 v2, s9
	s_cselect_b32 s8, s19, s8
	v_rcp_iflag_f32_e32 v1, v1
	v_cvt_f32_u32_e32 v3, s8
	s_load_dword s19, s[2:3], 0x0
	v_rcp_iflag_f32_e32 v2, v2
	s_sub_i32 s15, 0, s10
	s_sub_i32 s2, 0, s9
	v_rcp_iflag_f32_e32 v3, v3
	s_sub_i32 s3, 0, s8
	v_mul_f32_e32 v1, 0x4f7ffffe, v1
	v_mul_f32_e32 v2, 0x4f7ffffe, v2
	v_cvt_u32_f32_e32 v1, v1
	v_mul_f32_e32 v3, 0x4f7ffffe, v3
	v_cvt_u32_f32_e32 v4, v2
	v_mul_lo_u32 v2, s15, v1
	v_cvt_u32_f32_e32 v3, v3
	v_mul_lo_u32 v5, s2, v4
	v_mul_lo_u32 v6, s3, v3
	s_clause 0x3
	s_load_dword s16, s[16:17], 0x200
	s_load_dword s17, s[4:5], 0xd6c
	s_load_dwordx2 s[6:7], s[6:7], 0x0
	s_load_dwordx2 s[2:3], s[4:5], 0x0
	v_mul_hi_u32 v7, v1, v2
	v_mov_b32_e32 v2, 0
	s_waitcnt lgkmcnt(0)
	s_mul_i32 s5, s19, s0
	v_mul_hi_u32 v5, v4, v5
	v_mul_hi_u32 v6, v3, v6
	v_add_nc_u32_e32 v7, v1, v7
	v_add_nc_u32_e32 v8, v4, v5
	;; [unrolled: 1-line block ×4, first 2 shown]
	s_mul_i32 s4, s16, s17
.LBB196_2:                              ; =>This Inner Loop Header: Depth=1
	v_add_nc_u32_e32 v1, -1, v3
	v_add_nc_u32_e32 v3, s5, v3
	v_lshlrev_b64 v[4:5], 4, v[1:2]
	v_mul_hi_u32 v6, v1, v7
	v_add_co_u32 v4, vcc_lo, s6, v4
	v_add_co_ci_u32_e64 v5, null, s7, v5, vcc_lo
	global_load_dwordx4 v[10:13], v[4:5], off
	v_mul_hi_u32 v4, v7, v0
	v_mul_lo_u32 v14, s10, v4
	v_not_b32_e32 v4, v4
	v_mad_u64_u32 v[4:5], null, s10, v4, v[0:1]
	v_sub_nc_u32_e32 v14, v0, v14
	v_add_nc_u32_e32 v5, 1, v6
	v_add_nc_u32_e32 v0, s5, v0
	v_cmp_le_u32_e32 vcc_lo, s10, v14
	v_cndmask_b32_e32 v5, v6, v5, vcc_lo
	v_cndmask_b32_e32 v4, v14, v4, vcc_lo
	v_add_nc_u32_e32 v6, 1, v5
	v_cmp_le_u32_e32 vcc_lo, s10, v4
	v_cndmask_b32_e32 v6, v5, v6, vcc_lo
	v_mul_hi_u32 v4, v6, v8
	v_mul_lo_u32 v5, v4, s9
	v_add_nc_u32_e32 v14, 1, v4
	v_sub_nc_u32_e32 v5, v6, v5
	v_subrev_nc_u32_e32 v15, s9, v5
	v_cmp_le_u32_e32 vcc_lo, s9, v5
	v_cndmask_b32_e32 v4, v4, v14, vcc_lo
	v_cndmask_b32_e32 v5, v5, v15, vcc_lo
	v_add_nc_u32_e32 v14, 1, v4
	v_cmp_le_u32_e32 vcc_lo, s9, v5
	v_cndmask_b32_e32 v14, v4, v14, vcc_lo
	v_mul_hi_u32 v4, v14, v9
	v_mul_lo_u32 v15, v14, s9
	v_mul_lo_u32 v5, v4, s8
	v_add_nc_u32_e32 v16, 1, v4
	v_sub_nc_u32_e32 v5, v14, v5
	v_subrev_nc_u32_e32 v17, s8, v5
	v_cmp_le_u32_e32 vcc_lo, s8, v5
	v_cndmask_b32_e32 v4, v4, v16, vcc_lo
	v_cndmask_b32_e32 v5, v5, v17, vcc_lo
	v_add_nc_u32_e32 v16, 1, v4
	v_cmp_le_u32_e32 vcc_lo, s8, v5
	v_cndmask_b32_e32 v16, v4, v16, vcc_lo
	v_mad_u64_u32 v[4:5], null, s15, v6, v[1:2]
	v_sub_nc_u32_e32 v5, v6, v15
	v_cmp_lt_u32_e32 vcc_lo, s18, v3
	v_mul_lo_u32 v6, v16, s11
	v_mul_lo_u32 v5, v5, s13
	;; [unrolled: 1-line block ×4, first 2 shown]
	s_or_b32 s1, vcc_lo, s1
	v_add3_u32 v1, v6, v1, v5
	v_sub_nc_u32_e32 v4, v14, v4
	v_mul_lo_u32 v4, v4, s12
	v_add3_u32 v1, v1, v4, s4
	v_lshlrev_b64 v[4:5], 4, v[1:2]
	v_add_co_u32 v4, s0, s2, v4
	v_add_co_ci_u32_e64 v5, null, s3, v5, s0
	s_waitcnt vmcnt(0)
	global_store_dwordx4 v[4:5], v[10:13], off
	s_andn2_b32 exec_lo, exec_lo, s1
	s_cbranch_execnz .LBB196_2
; %bb.3:
	s_or_b32 exec_lo, exec_lo, s1
	v_add_nc_u32_e32 v0, -1, v3
	v_cmp_gt_u32_e32 vcc_lo, s18, v0
	s_and_b32 exec_lo, exec_lo, vcc_lo
	s_cbranch_execz .LBB196_6
; %bb.4:
	v_mov_b32_e32 v2, 0
	v_mad_u64_u32 v[3:4], null, v7, v0, 0
	s_mov_b32 s5, 0
	v_mov_b32_e32 v1, v2
	v_lshlrev_b64 v[5:6], 4, v[0:1]
	v_add_co_u32 v5, vcc_lo, s6, v5
	v_add_co_ci_u32_e64 v6, null, s7, v6, vcc_lo
.LBB196_5:                              ; =>This Inner Loop Header: Depth=1
	global_load_dwordx4 v[10:13], v[5:6], off
	v_mul_lo_u32 v1, s10, v4
	v_not_b32_e32 v14, v4
	v_add_nc_u32_e32 v16, 1, v4
	v_mad_u64_u32 v[14:15], null, s10, v14, v[0:1]
	v_sub_nc_u32_e32 v1, v0, v1
	v_cmp_le_u32_e32 vcc_lo, s10, v1
	v_cndmask_b32_e32 v15, v4, v16, vcc_lo
	v_cndmask_b32_e32 v1, v1, v14, vcc_lo
	v_add_nc_u32_e32 v14, 1, v15
	v_cmp_le_u32_e32 vcc_lo, s10, v1
	v_cndmask_b32_e32 v1, v15, v14, vcc_lo
	v_mul_hi_u32 v14, v1, v8
	v_mul_lo_u32 v15, v14, s9
	v_add_nc_u32_e32 v16, 1, v14
	v_sub_nc_u32_e32 v15, v1, v15
	v_subrev_nc_u32_e32 v17, s9, v15
	v_cmp_le_u32_e32 vcc_lo, s9, v15
	v_cndmask_b32_e32 v14, v14, v16, vcc_lo
	v_cndmask_b32_e32 v15, v15, v17, vcc_lo
	v_add_nc_u32_e32 v16, 1, v14
	v_cmp_le_u32_e32 vcc_lo, s9, v15
	v_cndmask_b32_e32 v16, v14, v16, vcc_lo
	v_mad_u64_u32 v[14:15], null, s15, v1, v[0:1]
	v_add_nc_u32_e32 v0, 1, v0
	v_add_co_u32 v3, vcc_lo, v3, v7
	v_mul_hi_u32 v17, v16, v9
	v_add_co_ci_u32_e64 v4, null, 0, v4, vcc_lo
	v_mul_lo_u32 v14, v14, s14
	v_mul_lo_u32 v18, v17, s8
	v_add_nc_u32_e32 v15, 1, v17
	v_sub_nc_u32_e32 v18, v16, v18
	v_subrev_nc_u32_e32 v19, s8, v18
	v_cmp_le_u32_e64 s0, s8, v18
	v_cndmask_b32_e64 v15, v17, v15, s0
	v_cndmask_b32_e64 v17, v18, v19, s0
	v_add_nc_u32_e32 v18, 1, v15
	v_cmp_le_u32_e64 s0, s8, v17
	v_mul_lo_u32 v17, v16, s9
	v_cndmask_b32_e64 v15, v15, v18, s0
	v_add_co_u32 v5, s0, v5, 16
	v_add_co_ci_u32_e64 v6, null, 0, v6, s0
	v_mul_lo_u32 v18, v15, s8
	v_sub_nc_u32_e32 v1, v1, v17
	v_mul_lo_u32 v15, v15, s11
	v_cmp_le_u32_e64 s0, s18, v0
	v_mul_lo_u32 v1, v1, s13
	v_sub_nc_u32_e32 v16, v16, v18
	s_or_b32 s5, s0, s5
	v_add3_u32 v14, v14, s4, v15
	v_mul_lo_u32 v16, v16, s12
	v_add3_u32 v1, v14, v1, v16
	v_lshlrev_b64 v[14:15], 4, v[1:2]
	v_add_co_u32 v14, s1, s2, v14
	v_add_co_ci_u32_e64 v15, null, s3, v15, s1
	s_waitcnt vmcnt(0)
	global_store_dwordx4 v[14:15], v[10:13], off
	s_andn2_b32 exec_lo, exec_lo, s5
	s_cbranch_execnz .LBB196_5
.LBB196_6:
	s_endpgm
	.section	.rodata,"a",@progbits
	.p2align	6, 0x0
	.amdhsa_kernel _ZN2at6native12_GLOBAL__N_135CatArrayBatchedCopy_alignedK_contigINS1_10OpaqueTypeILj16EEEjLi4ELi64ELi64ELi16EEEvPT_NS1_25CatArrInputTensorMetadataIS5_T0_XT2_EXT3_EEENS1_16TensorSizeStrideIS8_Lj4EEEiS8_
		.amdhsa_group_segment_fixed_size 0
		.amdhsa_private_segment_fixed_size 0
		.amdhsa_kernarg_size 3696
		.amdhsa_user_sgpr_count 6
		.amdhsa_user_sgpr_private_segment_buffer 1
		.amdhsa_user_sgpr_dispatch_ptr 0
		.amdhsa_user_sgpr_queue_ptr 0
		.amdhsa_user_sgpr_kernarg_segment_ptr 1
		.amdhsa_user_sgpr_dispatch_id 0
		.amdhsa_user_sgpr_flat_scratch_init 0
		.amdhsa_user_sgpr_private_segment_size 0
		.amdhsa_wavefront_size32 1
		.amdhsa_uses_dynamic_stack 0
		.amdhsa_system_sgpr_private_segment_wavefront_offset 0
		.amdhsa_system_sgpr_workgroup_id_x 1
		.amdhsa_system_sgpr_workgroup_id_y 1
		.amdhsa_system_sgpr_workgroup_id_z 0
		.amdhsa_system_sgpr_workgroup_info 0
		.amdhsa_system_vgpr_workitem_id 0
		.amdhsa_next_free_vgpr 20
		.amdhsa_next_free_sgpr 20
		.amdhsa_reserve_vcc 1
		.amdhsa_reserve_flat_scratch 0
		.amdhsa_float_round_mode_32 0
		.amdhsa_float_round_mode_16_64 0
		.amdhsa_float_denorm_mode_32 3
		.amdhsa_float_denorm_mode_16_64 3
		.amdhsa_dx10_clamp 1
		.amdhsa_ieee_mode 1
		.amdhsa_fp16_overflow 0
		.amdhsa_workgroup_processor_mode 1
		.amdhsa_memory_ordered 1
		.amdhsa_forward_progress 1
		.amdhsa_shared_vgpr_count 0
		.amdhsa_exception_fp_ieee_invalid_op 0
		.amdhsa_exception_fp_denorm_src 0
		.amdhsa_exception_fp_ieee_div_zero 0
		.amdhsa_exception_fp_ieee_overflow 0
		.amdhsa_exception_fp_ieee_underflow 0
		.amdhsa_exception_fp_ieee_inexact 0
		.amdhsa_exception_int_div_zero 0
	.end_amdhsa_kernel
	.section	.text._ZN2at6native12_GLOBAL__N_135CatArrayBatchedCopy_alignedK_contigINS1_10OpaqueTypeILj16EEEjLi4ELi64ELi64ELi16EEEvPT_NS1_25CatArrInputTensorMetadataIS5_T0_XT2_EXT3_EEENS1_16TensorSizeStrideIS8_Lj4EEEiS8_,"axG",@progbits,_ZN2at6native12_GLOBAL__N_135CatArrayBatchedCopy_alignedK_contigINS1_10OpaqueTypeILj16EEEjLi4ELi64ELi64ELi16EEEvPT_NS1_25CatArrInputTensorMetadataIS5_T0_XT2_EXT3_EEENS1_16TensorSizeStrideIS8_Lj4EEEiS8_,comdat
.Lfunc_end196:
	.size	_ZN2at6native12_GLOBAL__N_135CatArrayBatchedCopy_alignedK_contigINS1_10OpaqueTypeILj16EEEjLi4ELi64ELi64ELi16EEEvPT_NS1_25CatArrInputTensorMetadataIS5_T0_XT2_EXT3_EEENS1_16TensorSizeStrideIS8_Lj4EEEiS8_, .Lfunc_end196-_ZN2at6native12_GLOBAL__N_135CatArrayBatchedCopy_alignedK_contigINS1_10OpaqueTypeILj16EEEjLi4ELi64ELi64ELi16EEEvPT_NS1_25CatArrInputTensorMetadataIS5_T0_XT2_EXT3_EEENS1_16TensorSizeStrideIS8_Lj4EEEiS8_
                                        ; -- End function
	.set _ZN2at6native12_GLOBAL__N_135CatArrayBatchedCopy_alignedK_contigINS1_10OpaqueTypeILj16EEEjLi4ELi64ELi64ELi16EEEvPT_NS1_25CatArrInputTensorMetadataIS5_T0_XT2_EXT3_EEENS1_16TensorSizeStrideIS8_Lj4EEEiS8_.num_vgpr, 20
	.set _ZN2at6native12_GLOBAL__N_135CatArrayBatchedCopy_alignedK_contigINS1_10OpaqueTypeILj16EEEjLi4ELi64ELi64ELi16EEEvPT_NS1_25CatArrInputTensorMetadataIS5_T0_XT2_EXT3_EEENS1_16TensorSizeStrideIS8_Lj4EEEiS8_.num_agpr, 0
	.set _ZN2at6native12_GLOBAL__N_135CatArrayBatchedCopy_alignedK_contigINS1_10OpaqueTypeILj16EEEjLi4ELi64ELi64ELi16EEEvPT_NS1_25CatArrInputTensorMetadataIS5_T0_XT2_EXT3_EEENS1_16TensorSizeStrideIS8_Lj4EEEiS8_.numbered_sgpr, 20
	.set _ZN2at6native12_GLOBAL__N_135CatArrayBatchedCopy_alignedK_contigINS1_10OpaqueTypeILj16EEEjLi4ELi64ELi64ELi16EEEvPT_NS1_25CatArrInputTensorMetadataIS5_T0_XT2_EXT3_EEENS1_16TensorSizeStrideIS8_Lj4EEEiS8_.num_named_barrier, 0
	.set _ZN2at6native12_GLOBAL__N_135CatArrayBatchedCopy_alignedK_contigINS1_10OpaqueTypeILj16EEEjLi4ELi64ELi64ELi16EEEvPT_NS1_25CatArrInputTensorMetadataIS5_T0_XT2_EXT3_EEENS1_16TensorSizeStrideIS8_Lj4EEEiS8_.private_seg_size, 0
	.set _ZN2at6native12_GLOBAL__N_135CatArrayBatchedCopy_alignedK_contigINS1_10OpaqueTypeILj16EEEjLi4ELi64ELi64ELi16EEEvPT_NS1_25CatArrInputTensorMetadataIS5_T0_XT2_EXT3_EEENS1_16TensorSizeStrideIS8_Lj4EEEiS8_.uses_vcc, 1
	.set _ZN2at6native12_GLOBAL__N_135CatArrayBatchedCopy_alignedK_contigINS1_10OpaqueTypeILj16EEEjLi4ELi64ELi64ELi16EEEvPT_NS1_25CatArrInputTensorMetadataIS5_T0_XT2_EXT3_EEENS1_16TensorSizeStrideIS8_Lj4EEEiS8_.uses_flat_scratch, 0
	.set _ZN2at6native12_GLOBAL__N_135CatArrayBatchedCopy_alignedK_contigINS1_10OpaqueTypeILj16EEEjLi4ELi64ELi64ELi16EEEvPT_NS1_25CatArrInputTensorMetadataIS5_T0_XT2_EXT3_EEENS1_16TensorSizeStrideIS8_Lj4EEEiS8_.has_dyn_sized_stack, 0
	.set _ZN2at6native12_GLOBAL__N_135CatArrayBatchedCopy_alignedK_contigINS1_10OpaqueTypeILj16EEEjLi4ELi64ELi64ELi16EEEvPT_NS1_25CatArrInputTensorMetadataIS5_T0_XT2_EXT3_EEENS1_16TensorSizeStrideIS8_Lj4EEEiS8_.has_recursion, 0
	.set _ZN2at6native12_GLOBAL__N_135CatArrayBatchedCopy_alignedK_contigINS1_10OpaqueTypeILj16EEEjLi4ELi64ELi64ELi16EEEvPT_NS1_25CatArrInputTensorMetadataIS5_T0_XT2_EXT3_EEENS1_16TensorSizeStrideIS8_Lj4EEEiS8_.has_indirect_call, 0
	.section	.AMDGPU.csdata,"",@progbits
; Kernel info:
; codeLenInByte = 1132
; TotalNumSgprs: 22
; NumVgprs: 20
; ScratchSize: 0
; MemoryBound: 0
; FloatMode: 240
; IeeeMode: 1
; LDSByteSize: 0 bytes/workgroup (compile time only)
; SGPRBlocks: 0
; VGPRBlocks: 2
; NumSGPRsForWavesPerEU: 22
; NumVGPRsForWavesPerEU: 20
; Occupancy: 16
; WaveLimiterHint : 1
; COMPUTE_PGM_RSRC2:SCRATCH_EN: 0
; COMPUTE_PGM_RSRC2:USER_SGPR: 6
; COMPUTE_PGM_RSRC2:TRAP_HANDLER: 0
; COMPUTE_PGM_RSRC2:TGID_X_EN: 1
; COMPUTE_PGM_RSRC2:TGID_Y_EN: 1
; COMPUTE_PGM_RSRC2:TGID_Z_EN: 0
; COMPUTE_PGM_RSRC2:TIDIG_COMP_CNT: 0
	.section	.text._ZN2at6native12_GLOBAL__N_135CatArrayBatchedCopy_alignedK_contigINS1_10OpaqueTypeILj16EEEjLi4ELi64ELi64ELi8EEEvPT_NS1_25CatArrInputTensorMetadataIS5_T0_XT2_EXT3_EEENS1_16TensorSizeStrideIS8_Lj4EEEiS8_,"axG",@progbits,_ZN2at6native12_GLOBAL__N_135CatArrayBatchedCopy_alignedK_contigINS1_10OpaqueTypeILj16EEEjLi4ELi64ELi64ELi8EEEvPT_NS1_25CatArrInputTensorMetadataIS5_T0_XT2_EXT3_EEENS1_16TensorSizeStrideIS8_Lj4EEEiS8_,comdat
	.globl	_ZN2at6native12_GLOBAL__N_135CatArrayBatchedCopy_alignedK_contigINS1_10OpaqueTypeILj16EEEjLi4ELi64ELi64ELi8EEEvPT_NS1_25CatArrInputTensorMetadataIS5_T0_XT2_EXT3_EEENS1_16TensorSizeStrideIS8_Lj4EEEiS8_ ; -- Begin function _ZN2at6native12_GLOBAL__N_135CatArrayBatchedCopy_alignedK_contigINS1_10OpaqueTypeILj16EEEjLi4ELi64ELi64ELi8EEEvPT_NS1_25CatArrInputTensorMetadataIS5_T0_XT2_EXT3_EEENS1_16TensorSizeStrideIS8_Lj4EEEiS8_
	.p2align	8
	.type	_ZN2at6native12_GLOBAL__N_135CatArrayBatchedCopy_alignedK_contigINS1_10OpaqueTypeILj16EEEjLi4ELi64ELi64ELi8EEEvPT_NS1_25CatArrInputTensorMetadataIS5_T0_XT2_EXT3_EEENS1_16TensorSizeStrideIS8_Lj4EEEiS8_,@function
_ZN2at6native12_GLOBAL__N_135CatArrayBatchedCopy_alignedK_contigINS1_10OpaqueTypeILj16EEEjLi4ELi64ELi64ELi8EEEvPT_NS1_25CatArrInputTensorMetadataIS5_T0_XT2_EXT3_EEENS1_16TensorSizeStrideIS8_Lj4EEEiS8_: ; @_ZN2at6native12_GLOBAL__N_135CatArrayBatchedCopy_alignedK_contigINS1_10OpaqueTypeILj16EEEjLi4ELi64ELi64ELi8EEEvPT_NS1_25CatArrInputTensorMetadataIS5_T0_XT2_EXT3_EEENS1_16TensorSizeStrideIS8_Lj4EEEiS8_
; %bb.0:
	s_mov_b32 s0, s7
	s_load_dword s7, s[4:5], 0xd7c
	s_mov_b32 s1, 0
	s_add_u32 s2, s4, 0xd70
	s_addc_u32 s3, s5, 0
	s_lshl_b64 s[16:17], s[0:1], 2
	s_waitcnt lgkmcnt(0)
	s_and_b32 s0, s7, 0xffff
	s_add_u32 s8, s4, s16
	s_addc_u32 s9, s5, s17
	v_mad_u64_u32 v[0:1], null, s6, s0, v[0:1]
	s_load_dword s18, s[8:9], 0x408
	s_add_u32 s6, s8, 8
	s_addc_u32 s7, s9, 0
	s_mov_b32 s8, exec_lo
	s_waitcnt lgkmcnt(0)
	v_cmpx_gt_u32_e64 s18, v0
	s_cbranch_execz .LBB197_6
; %bb.1:
	s_add_u32 s6, s6, s16
	s_addc_u32 s7, s7, s17
	s_sub_u32 s16, 0, s16
	s_subb_u32 s17, 0, s17
	s_add_u32 s16, s6, s16
	s_load_dwordx8 s[8:15], s[4:5], 0xd4c
	s_addc_u32 s17, s7, s17
	s_load_dword s19, s[16:17], 0x300
	s_waitcnt lgkmcnt(0)
	s_cmp_eq_u32 s15, 3
	s_cselect_b32 s10, s19, s10
	s_cmp_eq_u32 s15, 2
	v_cvt_f32_u32_e32 v1, s10
	s_cselect_b32 s9, s19, s9
	s_cmp_eq_u32 s15, 1
	v_cvt_f32_u32_e32 v2, s9
	s_cselect_b32 s8, s19, s8
	v_rcp_iflag_f32_e32 v1, v1
	v_cvt_f32_u32_e32 v3, s8
	s_load_dword s19, s[2:3], 0x0
	v_rcp_iflag_f32_e32 v2, v2
	s_sub_i32 s15, 0, s10
	s_sub_i32 s2, 0, s9
	v_rcp_iflag_f32_e32 v3, v3
	s_sub_i32 s3, 0, s8
	v_mul_f32_e32 v1, 0x4f7ffffe, v1
	v_mul_f32_e32 v2, 0x4f7ffffe, v2
	v_cvt_u32_f32_e32 v1, v1
	v_mul_f32_e32 v3, 0x4f7ffffe, v3
	v_cvt_u32_f32_e32 v4, v2
	v_mul_lo_u32 v2, s15, v1
	v_cvt_u32_f32_e32 v3, v3
	v_mul_lo_u32 v5, s2, v4
	v_mul_lo_u32 v6, s3, v3
	s_clause 0x3
	s_load_dword s16, s[16:17], 0x200
	s_load_dword s17, s[4:5], 0xd6c
	s_load_dwordx2 s[6:7], s[6:7], 0x0
	s_load_dwordx2 s[2:3], s[4:5], 0x0
	v_mul_hi_u32 v7, v1, v2
	v_mov_b32_e32 v2, 0
	s_waitcnt lgkmcnt(0)
	s_mul_i32 s5, s19, s0
	v_mul_hi_u32 v5, v4, v5
	v_mul_hi_u32 v6, v3, v6
	v_add_nc_u32_e32 v7, v1, v7
	v_add_nc_u32_e32 v8, v4, v5
	;; [unrolled: 1-line block ×4, first 2 shown]
	s_mul_i32 s4, s16, s17
.LBB197_2:                              ; =>This Inner Loop Header: Depth=1
	v_add_nc_u32_e32 v1, -1, v3
	v_add_nc_u32_e32 v3, s5, v3
	v_lshlrev_b64 v[4:5], 4, v[1:2]
	v_mul_hi_u32 v6, v1, v7
	v_add_co_u32 v4, vcc_lo, s6, v4
	v_add_co_ci_u32_e64 v5, null, s7, v5, vcc_lo
	global_load_dwordx4 v[10:13], v[4:5], off
	v_mul_hi_u32 v4, v7, v0
	v_mul_lo_u32 v14, s10, v4
	v_not_b32_e32 v4, v4
	v_mad_u64_u32 v[4:5], null, s10, v4, v[0:1]
	v_sub_nc_u32_e32 v14, v0, v14
	v_add_nc_u32_e32 v5, 1, v6
	v_add_nc_u32_e32 v0, s5, v0
	v_cmp_le_u32_e32 vcc_lo, s10, v14
	v_cndmask_b32_e32 v5, v6, v5, vcc_lo
	v_cndmask_b32_e32 v4, v14, v4, vcc_lo
	v_add_nc_u32_e32 v6, 1, v5
	v_cmp_le_u32_e32 vcc_lo, s10, v4
	v_cndmask_b32_e32 v6, v5, v6, vcc_lo
	v_mul_hi_u32 v4, v6, v8
	v_mul_lo_u32 v5, v4, s9
	v_add_nc_u32_e32 v14, 1, v4
	v_sub_nc_u32_e32 v5, v6, v5
	v_subrev_nc_u32_e32 v15, s9, v5
	v_cmp_le_u32_e32 vcc_lo, s9, v5
	v_cndmask_b32_e32 v4, v4, v14, vcc_lo
	v_cndmask_b32_e32 v5, v5, v15, vcc_lo
	v_add_nc_u32_e32 v14, 1, v4
	v_cmp_le_u32_e32 vcc_lo, s9, v5
	v_cndmask_b32_e32 v14, v4, v14, vcc_lo
	v_mul_hi_u32 v4, v14, v9
	v_mul_lo_u32 v15, v14, s9
	v_mul_lo_u32 v5, v4, s8
	v_add_nc_u32_e32 v16, 1, v4
	v_sub_nc_u32_e32 v5, v14, v5
	v_subrev_nc_u32_e32 v17, s8, v5
	v_cmp_le_u32_e32 vcc_lo, s8, v5
	v_cndmask_b32_e32 v4, v4, v16, vcc_lo
	v_cndmask_b32_e32 v5, v5, v17, vcc_lo
	v_add_nc_u32_e32 v16, 1, v4
	v_cmp_le_u32_e32 vcc_lo, s8, v5
	v_cndmask_b32_e32 v16, v4, v16, vcc_lo
	v_mad_u64_u32 v[4:5], null, s15, v6, v[1:2]
	v_sub_nc_u32_e32 v5, v6, v15
	v_cmp_lt_u32_e32 vcc_lo, s18, v3
	v_mul_lo_u32 v6, v16, s11
	v_mul_lo_u32 v5, v5, s13
	;; [unrolled: 1-line block ×4, first 2 shown]
	s_or_b32 s1, vcc_lo, s1
	v_add3_u32 v1, v6, v1, v5
	v_sub_nc_u32_e32 v4, v14, v4
	v_mul_lo_u32 v4, v4, s12
	v_add3_u32 v1, v1, v4, s4
	v_lshlrev_b64 v[4:5], 4, v[1:2]
	v_add_co_u32 v4, s0, s2, v4
	v_add_co_ci_u32_e64 v5, null, s3, v5, s0
	s_waitcnt vmcnt(0)
	global_store_dwordx4 v[4:5], v[10:13], off
	s_andn2_b32 exec_lo, exec_lo, s1
	s_cbranch_execnz .LBB197_2
; %bb.3:
	s_or_b32 exec_lo, exec_lo, s1
	v_add_nc_u32_e32 v0, -1, v3
	v_cmp_gt_u32_e32 vcc_lo, s18, v0
	s_and_b32 exec_lo, exec_lo, vcc_lo
	s_cbranch_execz .LBB197_6
; %bb.4:
	v_mov_b32_e32 v2, 0
	v_mad_u64_u32 v[3:4], null, v7, v0, 0
	s_mov_b32 s5, 0
	v_mov_b32_e32 v1, v2
	v_lshlrev_b64 v[5:6], 4, v[0:1]
	v_add_co_u32 v5, vcc_lo, s6, v5
	v_add_co_ci_u32_e64 v6, null, s7, v6, vcc_lo
.LBB197_5:                              ; =>This Inner Loop Header: Depth=1
	global_load_dwordx4 v[10:13], v[5:6], off
	v_mul_lo_u32 v1, s10, v4
	v_not_b32_e32 v14, v4
	v_add_nc_u32_e32 v16, 1, v4
	v_mad_u64_u32 v[14:15], null, s10, v14, v[0:1]
	v_sub_nc_u32_e32 v1, v0, v1
	v_cmp_le_u32_e32 vcc_lo, s10, v1
	v_cndmask_b32_e32 v15, v4, v16, vcc_lo
	v_cndmask_b32_e32 v1, v1, v14, vcc_lo
	v_add_nc_u32_e32 v14, 1, v15
	v_cmp_le_u32_e32 vcc_lo, s10, v1
	v_cndmask_b32_e32 v1, v15, v14, vcc_lo
	v_mul_hi_u32 v14, v1, v8
	v_mul_lo_u32 v15, v14, s9
	v_add_nc_u32_e32 v16, 1, v14
	v_sub_nc_u32_e32 v15, v1, v15
	v_subrev_nc_u32_e32 v17, s9, v15
	v_cmp_le_u32_e32 vcc_lo, s9, v15
	v_cndmask_b32_e32 v14, v14, v16, vcc_lo
	v_cndmask_b32_e32 v15, v15, v17, vcc_lo
	v_add_nc_u32_e32 v16, 1, v14
	v_cmp_le_u32_e32 vcc_lo, s9, v15
	v_cndmask_b32_e32 v16, v14, v16, vcc_lo
	v_mad_u64_u32 v[14:15], null, s15, v1, v[0:1]
	v_add_nc_u32_e32 v0, 1, v0
	v_add_co_u32 v3, vcc_lo, v3, v7
	v_mul_hi_u32 v17, v16, v9
	v_add_co_ci_u32_e64 v4, null, 0, v4, vcc_lo
	v_mul_lo_u32 v14, v14, s14
	v_mul_lo_u32 v18, v17, s8
	v_add_nc_u32_e32 v15, 1, v17
	v_sub_nc_u32_e32 v18, v16, v18
	v_subrev_nc_u32_e32 v19, s8, v18
	v_cmp_le_u32_e64 s0, s8, v18
	v_cndmask_b32_e64 v15, v17, v15, s0
	v_cndmask_b32_e64 v17, v18, v19, s0
	v_add_nc_u32_e32 v18, 1, v15
	v_cmp_le_u32_e64 s0, s8, v17
	v_mul_lo_u32 v17, v16, s9
	v_cndmask_b32_e64 v15, v15, v18, s0
	v_add_co_u32 v5, s0, v5, 16
	v_add_co_ci_u32_e64 v6, null, 0, v6, s0
	v_mul_lo_u32 v18, v15, s8
	v_sub_nc_u32_e32 v1, v1, v17
	v_mul_lo_u32 v15, v15, s11
	v_cmp_le_u32_e64 s0, s18, v0
	v_mul_lo_u32 v1, v1, s13
	v_sub_nc_u32_e32 v16, v16, v18
	s_or_b32 s5, s0, s5
	v_add3_u32 v14, v14, s4, v15
	v_mul_lo_u32 v16, v16, s12
	v_add3_u32 v1, v14, v1, v16
	v_lshlrev_b64 v[14:15], 4, v[1:2]
	v_add_co_u32 v14, s1, s2, v14
	v_add_co_ci_u32_e64 v15, null, s3, v15, s1
	s_waitcnt vmcnt(0)
	global_store_dwordx4 v[14:15], v[10:13], off
	s_andn2_b32 exec_lo, exec_lo, s5
	s_cbranch_execnz .LBB197_5
.LBB197_6:
	s_endpgm
	.section	.rodata,"a",@progbits
	.p2align	6, 0x0
	.amdhsa_kernel _ZN2at6native12_GLOBAL__N_135CatArrayBatchedCopy_alignedK_contigINS1_10OpaqueTypeILj16EEEjLi4ELi64ELi64ELi8EEEvPT_NS1_25CatArrInputTensorMetadataIS5_T0_XT2_EXT3_EEENS1_16TensorSizeStrideIS8_Lj4EEEiS8_
		.amdhsa_group_segment_fixed_size 0
		.amdhsa_private_segment_fixed_size 0
		.amdhsa_kernarg_size 3696
		.amdhsa_user_sgpr_count 6
		.amdhsa_user_sgpr_private_segment_buffer 1
		.amdhsa_user_sgpr_dispatch_ptr 0
		.amdhsa_user_sgpr_queue_ptr 0
		.amdhsa_user_sgpr_kernarg_segment_ptr 1
		.amdhsa_user_sgpr_dispatch_id 0
		.amdhsa_user_sgpr_flat_scratch_init 0
		.amdhsa_user_sgpr_private_segment_size 0
		.amdhsa_wavefront_size32 1
		.amdhsa_uses_dynamic_stack 0
		.amdhsa_system_sgpr_private_segment_wavefront_offset 0
		.amdhsa_system_sgpr_workgroup_id_x 1
		.amdhsa_system_sgpr_workgroup_id_y 1
		.amdhsa_system_sgpr_workgroup_id_z 0
		.amdhsa_system_sgpr_workgroup_info 0
		.amdhsa_system_vgpr_workitem_id 0
		.amdhsa_next_free_vgpr 20
		.amdhsa_next_free_sgpr 20
		.amdhsa_reserve_vcc 1
		.amdhsa_reserve_flat_scratch 0
		.amdhsa_float_round_mode_32 0
		.amdhsa_float_round_mode_16_64 0
		.amdhsa_float_denorm_mode_32 3
		.amdhsa_float_denorm_mode_16_64 3
		.amdhsa_dx10_clamp 1
		.amdhsa_ieee_mode 1
		.amdhsa_fp16_overflow 0
		.amdhsa_workgroup_processor_mode 1
		.amdhsa_memory_ordered 1
		.amdhsa_forward_progress 1
		.amdhsa_shared_vgpr_count 0
		.amdhsa_exception_fp_ieee_invalid_op 0
		.amdhsa_exception_fp_denorm_src 0
		.amdhsa_exception_fp_ieee_div_zero 0
		.amdhsa_exception_fp_ieee_overflow 0
		.amdhsa_exception_fp_ieee_underflow 0
		.amdhsa_exception_fp_ieee_inexact 0
		.amdhsa_exception_int_div_zero 0
	.end_amdhsa_kernel
	.section	.text._ZN2at6native12_GLOBAL__N_135CatArrayBatchedCopy_alignedK_contigINS1_10OpaqueTypeILj16EEEjLi4ELi64ELi64ELi8EEEvPT_NS1_25CatArrInputTensorMetadataIS5_T0_XT2_EXT3_EEENS1_16TensorSizeStrideIS8_Lj4EEEiS8_,"axG",@progbits,_ZN2at6native12_GLOBAL__N_135CatArrayBatchedCopy_alignedK_contigINS1_10OpaqueTypeILj16EEEjLi4ELi64ELi64ELi8EEEvPT_NS1_25CatArrInputTensorMetadataIS5_T0_XT2_EXT3_EEENS1_16TensorSizeStrideIS8_Lj4EEEiS8_,comdat
.Lfunc_end197:
	.size	_ZN2at6native12_GLOBAL__N_135CatArrayBatchedCopy_alignedK_contigINS1_10OpaqueTypeILj16EEEjLi4ELi64ELi64ELi8EEEvPT_NS1_25CatArrInputTensorMetadataIS5_T0_XT2_EXT3_EEENS1_16TensorSizeStrideIS8_Lj4EEEiS8_, .Lfunc_end197-_ZN2at6native12_GLOBAL__N_135CatArrayBatchedCopy_alignedK_contigINS1_10OpaqueTypeILj16EEEjLi4ELi64ELi64ELi8EEEvPT_NS1_25CatArrInputTensorMetadataIS5_T0_XT2_EXT3_EEENS1_16TensorSizeStrideIS8_Lj4EEEiS8_
                                        ; -- End function
	.set _ZN2at6native12_GLOBAL__N_135CatArrayBatchedCopy_alignedK_contigINS1_10OpaqueTypeILj16EEEjLi4ELi64ELi64ELi8EEEvPT_NS1_25CatArrInputTensorMetadataIS5_T0_XT2_EXT3_EEENS1_16TensorSizeStrideIS8_Lj4EEEiS8_.num_vgpr, 20
	.set _ZN2at6native12_GLOBAL__N_135CatArrayBatchedCopy_alignedK_contigINS1_10OpaqueTypeILj16EEEjLi4ELi64ELi64ELi8EEEvPT_NS1_25CatArrInputTensorMetadataIS5_T0_XT2_EXT3_EEENS1_16TensorSizeStrideIS8_Lj4EEEiS8_.num_agpr, 0
	.set _ZN2at6native12_GLOBAL__N_135CatArrayBatchedCopy_alignedK_contigINS1_10OpaqueTypeILj16EEEjLi4ELi64ELi64ELi8EEEvPT_NS1_25CatArrInputTensorMetadataIS5_T0_XT2_EXT3_EEENS1_16TensorSizeStrideIS8_Lj4EEEiS8_.numbered_sgpr, 20
	.set _ZN2at6native12_GLOBAL__N_135CatArrayBatchedCopy_alignedK_contigINS1_10OpaqueTypeILj16EEEjLi4ELi64ELi64ELi8EEEvPT_NS1_25CatArrInputTensorMetadataIS5_T0_XT2_EXT3_EEENS1_16TensorSizeStrideIS8_Lj4EEEiS8_.num_named_barrier, 0
	.set _ZN2at6native12_GLOBAL__N_135CatArrayBatchedCopy_alignedK_contigINS1_10OpaqueTypeILj16EEEjLi4ELi64ELi64ELi8EEEvPT_NS1_25CatArrInputTensorMetadataIS5_T0_XT2_EXT3_EEENS1_16TensorSizeStrideIS8_Lj4EEEiS8_.private_seg_size, 0
	.set _ZN2at6native12_GLOBAL__N_135CatArrayBatchedCopy_alignedK_contigINS1_10OpaqueTypeILj16EEEjLi4ELi64ELi64ELi8EEEvPT_NS1_25CatArrInputTensorMetadataIS5_T0_XT2_EXT3_EEENS1_16TensorSizeStrideIS8_Lj4EEEiS8_.uses_vcc, 1
	.set _ZN2at6native12_GLOBAL__N_135CatArrayBatchedCopy_alignedK_contigINS1_10OpaqueTypeILj16EEEjLi4ELi64ELi64ELi8EEEvPT_NS1_25CatArrInputTensorMetadataIS5_T0_XT2_EXT3_EEENS1_16TensorSizeStrideIS8_Lj4EEEiS8_.uses_flat_scratch, 0
	.set _ZN2at6native12_GLOBAL__N_135CatArrayBatchedCopy_alignedK_contigINS1_10OpaqueTypeILj16EEEjLi4ELi64ELi64ELi8EEEvPT_NS1_25CatArrInputTensorMetadataIS5_T0_XT2_EXT3_EEENS1_16TensorSizeStrideIS8_Lj4EEEiS8_.has_dyn_sized_stack, 0
	.set _ZN2at6native12_GLOBAL__N_135CatArrayBatchedCopy_alignedK_contigINS1_10OpaqueTypeILj16EEEjLi4ELi64ELi64ELi8EEEvPT_NS1_25CatArrInputTensorMetadataIS5_T0_XT2_EXT3_EEENS1_16TensorSizeStrideIS8_Lj4EEEiS8_.has_recursion, 0
	.set _ZN2at6native12_GLOBAL__N_135CatArrayBatchedCopy_alignedK_contigINS1_10OpaqueTypeILj16EEEjLi4ELi64ELi64ELi8EEEvPT_NS1_25CatArrInputTensorMetadataIS5_T0_XT2_EXT3_EEENS1_16TensorSizeStrideIS8_Lj4EEEiS8_.has_indirect_call, 0
	.section	.AMDGPU.csdata,"",@progbits
; Kernel info:
; codeLenInByte = 1132
; TotalNumSgprs: 22
; NumVgprs: 20
; ScratchSize: 0
; MemoryBound: 0
; FloatMode: 240
; IeeeMode: 1
; LDSByteSize: 0 bytes/workgroup (compile time only)
; SGPRBlocks: 0
; VGPRBlocks: 2
; NumSGPRsForWavesPerEU: 22
; NumVGPRsForWavesPerEU: 20
; Occupancy: 16
; WaveLimiterHint : 1
; COMPUTE_PGM_RSRC2:SCRATCH_EN: 0
; COMPUTE_PGM_RSRC2:USER_SGPR: 6
; COMPUTE_PGM_RSRC2:TRAP_HANDLER: 0
; COMPUTE_PGM_RSRC2:TGID_X_EN: 1
; COMPUTE_PGM_RSRC2:TGID_Y_EN: 1
; COMPUTE_PGM_RSRC2:TGID_Z_EN: 0
; COMPUTE_PGM_RSRC2:TIDIG_COMP_CNT: 0
	.section	.text._ZN2at6native12_GLOBAL__N_126CatArrayBatchedCopy_contigINS1_10OpaqueTypeILj16EEEjLi4ELi64ELi64EEEvPT_NS1_25CatArrInputTensorMetadataIS5_T0_XT2_EXT3_EEENS1_16TensorSizeStrideIS8_Lj4EEEiS8_,"axG",@progbits,_ZN2at6native12_GLOBAL__N_126CatArrayBatchedCopy_contigINS1_10OpaqueTypeILj16EEEjLi4ELi64ELi64EEEvPT_NS1_25CatArrInputTensorMetadataIS5_T0_XT2_EXT3_EEENS1_16TensorSizeStrideIS8_Lj4EEEiS8_,comdat
	.globl	_ZN2at6native12_GLOBAL__N_126CatArrayBatchedCopy_contigINS1_10OpaqueTypeILj16EEEjLi4ELi64ELi64EEEvPT_NS1_25CatArrInputTensorMetadataIS5_T0_XT2_EXT3_EEENS1_16TensorSizeStrideIS8_Lj4EEEiS8_ ; -- Begin function _ZN2at6native12_GLOBAL__N_126CatArrayBatchedCopy_contigINS1_10OpaqueTypeILj16EEEjLi4ELi64ELi64EEEvPT_NS1_25CatArrInputTensorMetadataIS5_T0_XT2_EXT3_EEENS1_16TensorSizeStrideIS8_Lj4EEEiS8_
	.p2align	8
	.type	_ZN2at6native12_GLOBAL__N_126CatArrayBatchedCopy_contigINS1_10OpaqueTypeILj16EEEjLi4ELi64ELi64EEEvPT_NS1_25CatArrInputTensorMetadataIS5_T0_XT2_EXT3_EEENS1_16TensorSizeStrideIS8_Lj4EEEiS8_,@function
_ZN2at6native12_GLOBAL__N_126CatArrayBatchedCopy_contigINS1_10OpaqueTypeILj16EEEjLi4ELi64ELi64EEEvPT_NS1_25CatArrInputTensorMetadataIS5_T0_XT2_EXT3_EEENS1_16TensorSizeStrideIS8_Lj4EEEiS8_: ; @_ZN2at6native12_GLOBAL__N_126CatArrayBatchedCopy_contigINS1_10OpaqueTypeILj16EEEjLi4ELi64ELi64EEEvPT_NS1_25CatArrInputTensorMetadataIS5_T0_XT2_EXT3_EEENS1_16TensorSizeStrideIS8_Lj4EEEiS8_
; %bb.0:
	s_mov_b32 s0, s7
	s_load_dword s7, s[4:5], 0xd7c
	s_mov_b32 s1, 0
	s_add_u32 s8, s4, 0xd70
	s_addc_u32 s9, s5, 0
	s_lshl_b64 s[2:3], s[0:1], 2
	s_mov_b32 s11, exec_lo
	s_waitcnt lgkmcnt(0)
	s_and_b32 s0, s7, 0xffff
	s_add_u32 s12, s4, s2
	s_addc_u32 s13, s5, s3
	v_mad_u64_u32 v[0:1], null, s6, s0, v[0:1]
	s_load_dword s10, s[12:13], 0x408
	s_add_u32 s6, s12, 8
	s_addc_u32 s7, s13, 0
	s_waitcnt lgkmcnt(0)
	v_cmpx_gt_u32_e64 s10, v0
	s_cbranch_execz .LBB198_3
; %bb.1:
	s_add_u32 s20, s6, s2
	s_addc_u32 s21, s7, s3
	s_sub_u32 s2, 0, s2
	s_subb_u32 s3, 0, s3
	s_load_dwordx2 s[14:15], s[4:5], 0xd68
	s_add_u32 s22, s20, s2
	s_addc_u32 s23, s21, s3
	s_clause 0x1
	s_load_dwordx4 s[16:19], s[4:5], 0xd4c
	s_load_dword s2, s[22:23], 0x300
	s_waitcnt lgkmcnt(0)
	s_cmp_eq_u32 s14, 3
	s_cselect_b32 s11, s2, s18
	s_cmp_eq_u32 s14, 2
	v_cvt_f32_u32_e32 v1, s11
	s_cselect_b32 s12, s2, s17
	s_cmp_eq_u32 s14, 1
	v_cvt_f32_u32_e32 v2, s12
	s_cselect_b32 s13, s2, s16
	v_rcp_iflag_f32_e32 v1, v1
	v_cvt_f32_u32_e32 v3, s13
	s_load_dwordx2 s[2:3], s[4:5], 0x0
	v_rcp_iflag_f32_e32 v2, v2
	s_clause 0x1
	s_load_dwordx4 s[4:7], s[4:5], 0xd58
	s_load_dword s16, s[22:23], 0x200
	s_load_dword s17, s[8:9], 0x0
	v_rcp_iflag_f32_e32 v3, v3
	s_sub_i32 s14, 0, s11
	s_sub_i32 s8, 0, s12
	;; [unrolled: 1-line block ×3, first 2 shown]
	v_mul_f32_e32 v1, 0x4f7ffffe, v1
	v_mul_f32_e32 v2, 0x4f7ffffe, v2
	v_cvt_u32_f32_e32 v1, v1
	v_mul_f32_e32 v3, 0x4f7ffffe, v3
	v_cvt_u32_f32_e32 v4, v2
	v_mul_lo_u32 v2, s14, v1
	v_cvt_u32_f32_e32 v5, v3
	v_mul_lo_u32 v3, s8, v4
	s_waitcnt lgkmcnt(0)
	s_mul_i32 s15, s16, s15
	s_mul_i32 s16, s17, s0
	v_mul_lo_u32 v6, s9, v5
	s_load_dwordx2 s[8:9], s[20:21], 0x0
	v_mul_hi_u32 v2, v1, v2
	v_mul_hi_u32 v3, v4, v3
	;; [unrolled: 1-line block ×3, first 2 shown]
	v_add_nc_u32_e32 v2, v1, v2
	v_mov_b32_e32 v1, 0
	v_add_nc_u32_e32 v3, v4, v3
	v_add_nc_u32_e32 v4, v5, v6
.LBB198_2:                              ; =>This Inner Loop Header: Depth=1
	v_lshlrev_b64 v[5:6], 4, v[0:1]
	v_mul_hi_u32 v11, v2, v0
	s_waitcnt lgkmcnt(0)
	v_add_co_u32 v5, vcc_lo, s8, v5
	v_add_co_ci_u32_e64 v6, null, s9, v6, vcc_lo
	v_mul_lo_u32 v12, s11, v11
	v_not_b32_e32 v9, v11
	v_add_nc_u32_e32 v13, 1, v11
	global_load_dwordx4 v[5:8], v[5:6], off
	v_mad_u64_u32 v[9:10], null, s11, v9, v[0:1]
	v_sub_nc_u32_e32 v10, v0, v12
	v_cmp_le_u32_e32 vcc_lo, s11, v10
	v_cndmask_b32_e32 v11, v11, v13, vcc_lo
	v_cndmask_b32_e32 v9, v10, v9, vcc_lo
	v_add_nc_u32_e32 v10, 1, v11
	v_cmp_le_u32_e32 vcc_lo, s11, v9
	v_cndmask_b32_e32 v11, v11, v10, vcc_lo
	v_mul_hi_u32 v9, v11, v3
	v_mul_lo_u32 v10, v9, s12
	v_add_nc_u32_e32 v12, 1, v9
	v_sub_nc_u32_e32 v10, v11, v10
	v_subrev_nc_u32_e32 v13, s12, v10
	v_cmp_le_u32_e32 vcc_lo, s12, v10
	v_cndmask_b32_e32 v9, v9, v12, vcc_lo
	v_cndmask_b32_e32 v10, v10, v13, vcc_lo
	v_add_nc_u32_e32 v12, 1, v9
	v_cmp_le_u32_e32 vcc_lo, s12, v10
	v_cndmask_b32_e32 v12, v9, v12, vcc_lo
	v_mul_hi_u32 v9, v12, v4
	v_mul_lo_u32 v10, v9, s13
	v_add_nc_u32_e32 v13, 1, v9
	v_sub_nc_u32_e32 v10, v12, v10
	v_subrev_nc_u32_e32 v14, s13, v10
	v_cmp_le_u32_e32 vcc_lo, s13, v10
	v_cndmask_b32_e32 v13, v9, v13, vcc_lo
	v_cndmask_b32_e32 v14, v10, v14, vcc_lo
	v_mad_u64_u32 v[9:10], null, s14, v11, v[0:1]
	v_add_nc_u32_e32 v0, s16, v0
	v_add_nc_u32_e32 v15, 1, v13
	v_cmp_le_u32_e32 vcc_lo, s13, v14
	v_mul_lo_u32 v9, v9, s7
	v_cndmask_b32_e32 v10, v13, v15, vcc_lo
	v_mul_lo_u32 v13, v12, s12
	v_cmp_le_u32_e32 vcc_lo, s10, v0
	v_mul_lo_u32 v14, v10, s13
	v_mul_lo_u32 v10, v10, s4
	s_or_b32 s1, vcc_lo, s1
	v_sub_nc_u32_e32 v11, v11, v13
	v_sub_nc_u32_e32 v12, v12, v14
	v_mul_lo_u32 v11, v11, s6
	v_add3_u32 v9, v9, s15, v10
	v_mov_b32_e32 v10, v1
	v_mul_lo_u32 v12, v12, s5
	v_add3_u32 v9, v9, v11, v12
	v_lshlrev_b64 v[9:10], 4, v[9:10]
	v_add_co_u32 v9, s0, s2, v9
	v_add_co_ci_u32_e64 v10, null, s3, v10, s0
	s_waitcnt vmcnt(0)
	global_store_dwordx4 v[9:10], v[5:8], off
	s_andn2_b32 exec_lo, exec_lo, s1
	s_cbranch_execnz .LBB198_2
.LBB198_3:
	s_endpgm
	.section	.rodata,"a",@progbits
	.p2align	6, 0x0
	.amdhsa_kernel _ZN2at6native12_GLOBAL__N_126CatArrayBatchedCopy_contigINS1_10OpaqueTypeILj16EEEjLi4ELi64ELi64EEEvPT_NS1_25CatArrInputTensorMetadataIS5_T0_XT2_EXT3_EEENS1_16TensorSizeStrideIS8_Lj4EEEiS8_
		.amdhsa_group_segment_fixed_size 0
		.amdhsa_private_segment_fixed_size 0
		.amdhsa_kernarg_size 3696
		.amdhsa_user_sgpr_count 6
		.amdhsa_user_sgpr_private_segment_buffer 1
		.amdhsa_user_sgpr_dispatch_ptr 0
		.amdhsa_user_sgpr_queue_ptr 0
		.amdhsa_user_sgpr_kernarg_segment_ptr 1
		.amdhsa_user_sgpr_dispatch_id 0
		.amdhsa_user_sgpr_flat_scratch_init 0
		.amdhsa_user_sgpr_private_segment_size 0
		.amdhsa_wavefront_size32 1
		.amdhsa_uses_dynamic_stack 0
		.amdhsa_system_sgpr_private_segment_wavefront_offset 0
		.amdhsa_system_sgpr_workgroup_id_x 1
		.amdhsa_system_sgpr_workgroup_id_y 1
		.amdhsa_system_sgpr_workgroup_id_z 0
		.amdhsa_system_sgpr_workgroup_info 0
		.amdhsa_system_vgpr_workitem_id 0
		.amdhsa_next_free_vgpr 16
		.amdhsa_next_free_sgpr 24
		.amdhsa_reserve_vcc 1
		.amdhsa_reserve_flat_scratch 0
		.amdhsa_float_round_mode_32 0
		.amdhsa_float_round_mode_16_64 0
		.amdhsa_float_denorm_mode_32 3
		.amdhsa_float_denorm_mode_16_64 3
		.amdhsa_dx10_clamp 1
		.amdhsa_ieee_mode 1
		.amdhsa_fp16_overflow 0
		.amdhsa_workgroup_processor_mode 1
		.amdhsa_memory_ordered 1
		.amdhsa_forward_progress 1
		.amdhsa_shared_vgpr_count 0
		.amdhsa_exception_fp_ieee_invalid_op 0
		.amdhsa_exception_fp_denorm_src 0
		.amdhsa_exception_fp_ieee_div_zero 0
		.amdhsa_exception_fp_ieee_overflow 0
		.amdhsa_exception_fp_ieee_underflow 0
		.amdhsa_exception_fp_ieee_inexact 0
		.amdhsa_exception_int_div_zero 0
	.end_amdhsa_kernel
	.section	.text._ZN2at6native12_GLOBAL__N_126CatArrayBatchedCopy_contigINS1_10OpaqueTypeILj16EEEjLi4ELi64ELi64EEEvPT_NS1_25CatArrInputTensorMetadataIS5_T0_XT2_EXT3_EEENS1_16TensorSizeStrideIS8_Lj4EEEiS8_,"axG",@progbits,_ZN2at6native12_GLOBAL__N_126CatArrayBatchedCopy_contigINS1_10OpaqueTypeILj16EEEjLi4ELi64ELi64EEEvPT_NS1_25CatArrInputTensorMetadataIS5_T0_XT2_EXT3_EEENS1_16TensorSizeStrideIS8_Lj4EEEiS8_,comdat
.Lfunc_end198:
	.size	_ZN2at6native12_GLOBAL__N_126CatArrayBatchedCopy_contigINS1_10OpaqueTypeILj16EEEjLi4ELi64ELi64EEEvPT_NS1_25CatArrInputTensorMetadataIS5_T0_XT2_EXT3_EEENS1_16TensorSizeStrideIS8_Lj4EEEiS8_, .Lfunc_end198-_ZN2at6native12_GLOBAL__N_126CatArrayBatchedCopy_contigINS1_10OpaqueTypeILj16EEEjLi4ELi64ELi64EEEvPT_NS1_25CatArrInputTensorMetadataIS5_T0_XT2_EXT3_EEENS1_16TensorSizeStrideIS8_Lj4EEEiS8_
                                        ; -- End function
	.set _ZN2at6native12_GLOBAL__N_126CatArrayBatchedCopy_contigINS1_10OpaqueTypeILj16EEEjLi4ELi64ELi64EEEvPT_NS1_25CatArrInputTensorMetadataIS5_T0_XT2_EXT3_EEENS1_16TensorSizeStrideIS8_Lj4EEEiS8_.num_vgpr, 16
	.set _ZN2at6native12_GLOBAL__N_126CatArrayBatchedCopy_contigINS1_10OpaqueTypeILj16EEEjLi4ELi64ELi64EEEvPT_NS1_25CatArrInputTensorMetadataIS5_T0_XT2_EXT3_EEENS1_16TensorSizeStrideIS8_Lj4EEEiS8_.num_agpr, 0
	.set _ZN2at6native12_GLOBAL__N_126CatArrayBatchedCopy_contigINS1_10OpaqueTypeILj16EEEjLi4ELi64ELi64EEEvPT_NS1_25CatArrInputTensorMetadataIS5_T0_XT2_EXT3_EEENS1_16TensorSizeStrideIS8_Lj4EEEiS8_.numbered_sgpr, 24
	.set _ZN2at6native12_GLOBAL__N_126CatArrayBatchedCopy_contigINS1_10OpaqueTypeILj16EEEjLi4ELi64ELi64EEEvPT_NS1_25CatArrInputTensorMetadataIS5_T0_XT2_EXT3_EEENS1_16TensorSizeStrideIS8_Lj4EEEiS8_.num_named_barrier, 0
	.set _ZN2at6native12_GLOBAL__N_126CatArrayBatchedCopy_contigINS1_10OpaqueTypeILj16EEEjLi4ELi64ELi64EEEvPT_NS1_25CatArrInputTensorMetadataIS5_T0_XT2_EXT3_EEENS1_16TensorSizeStrideIS8_Lj4EEEiS8_.private_seg_size, 0
	.set _ZN2at6native12_GLOBAL__N_126CatArrayBatchedCopy_contigINS1_10OpaqueTypeILj16EEEjLi4ELi64ELi64EEEvPT_NS1_25CatArrInputTensorMetadataIS5_T0_XT2_EXT3_EEENS1_16TensorSizeStrideIS8_Lj4EEEiS8_.uses_vcc, 1
	.set _ZN2at6native12_GLOBAL__N_126CatArrayBatchedCopy_contigINS1_10OpaqueTypeILj16EEEjLi4ELi64ELi64EEEvPT_NS1_25CatArrInputTensorMetadataIS5_T0_XT2_EXT3_EEENS1_16TensorSizeStrideIS8_Lj4EEEiS8_.uses_flat_scratch, 0
	.set _ZN2at6native12_GLOBAL__N_126CatArrayBatchedCopy_contigINS1_10OpaqueTypeILj16EEEjLi4ELi64ELi64EEEvPT_NS1_25CatArrInputTensorMetadataIS5_T0_XT2_EXT3_EEENS1_16TensorSizeStrideIS8_Lj4EEEiS8_.has_dyn_sized_stack, 0
	.set _ZN2at6native12_GLOBAL__N_126CatArrayBatchedCopy_contigINS1_10OpaqueTypeILj16EEEjLi4ELi64ELi64EEEvPT_NS1_25CatArrInputTensorMetadataIS5_T0_XT2_EXT3_EEENS1_16TensorSizeStrideIS8_Lj4EEEiS8_.has_recursion, 0
	.set _ZN2at6native12_GLOBAL__N_126CatArrayBatchedCopy_contigINS1_10OpaqueTypeILj16EEEjLi4ELi64ELi64EEEvPT_NS1_25CatArrInputTensorMetadataIS5_T0_XT2_EXT3_EEENS1_16TensorSizeStrideIS8_Lj4EEEiS8_.has_indirect_call, 0
	.section	.AMDGPU.csdata,"",@progbits
; Kernel info:
; codeLenInByte = 712
; TotalNumSgprs: 26
; NumVgprs: 16
; ScratchSize: 0
; MemoryBound: 0
; FloatMode: 240
; IeeeMode: 1
; LDSByteSize: 0 bytes/workgroup (compile time only)
; SGPRBlocks: 0
; VGPRBlocks: 1
; NumSGPRsForWavesPerEU: 26
; NumVGPRsForWavesPerEU: 16
; Occupancy: 16
; WaveLimiterHint : 1
; COMPUTE_PGM_RSRC2:SCRATCH_EN: 0
; COMPUTE_PGM_RSRC2:USER_SGPR: 6
; COMPUTE_PGM_RSRC2:TRAP_HANDLER: 0
; COMPUTE_PGM_RSRC2:TGID_X_EN: 1
; COMPUTE_PGM_RSRC2:TGID_Y_EN: 1
; COMPUTE_PGM_RSRC2:TGID_Z_EN: 0
; COMPUTE_PGM_RSRC2:TIDIG_COMP_CNT: 0
	.section	.text._ZN2at6native12_GLOBAL__N_119CatArrayBatchedCopyINS1_10OpaqueTypeILj16EEEjLi4ELi64ELi64EEEvPT_NS1_25CatArrInputTensorMetadataIS5_T0_XT2_EXT3_EEENS1_16TensorSizeStrideIS8_Lj4EEEiS8_,"axG",@progbits,_ZN2at6native12_GLOBAL__N_119CatArrayBatchedCopyINS1_10OpaqueTypeILj16EEEjLi4ELi64ELi64EEEvPT_NS1_25CatArrInputTensorMetadataIS5_T0_XT2_EXT3_EEENS1_16TensorSizeStrideIS8_Lj4EEEiS8_,comdat
	.globl	_ZN2at6native12_GLOBAL__N_119CatArrayBatchedCopyINS1_10OpaqueTypeILj16EEEjLi4ELi64ELi64EEEvPT_NS1_25CatArrInputTensorMetadataIS5_T0_XT2_EXT3_EEENS1_16TensorSizeStrideIS8_Lj4EEEiS8_ ; -- Begin function _ZN2at6native12_GLOBAL__N_119CatArrayBatchedCopyINS1_10OpaqueTypeILj16EEEjLi4ELi64ELi64EEEvPT_NS1_25CatArrInputTensorMetadataIS5_T0_XT2_EXT3_EEENS1_16TensorSizeStrideIS8_Lj4EEEiS8_
	.p2align	8
	.type	_ZN2at6native12_GLOBAL__N_119CatArrayBatchedCopyINS1_10OpaqueTypeILj16EEEjLi4ELi64ELi64EEEvPT_NS1_25CatArrInputTensorMetadataIS5_T0_XT2_EXT3_EEENS1_16TensorSizeStrideIS8_Lj4EEEiS8_,@function
_ZN2at6native12_GLOBAL__N_119CatArrayBatchedCopyINS1_10OpaqueTypeILj16EEEjLi4ELi64ELi64EEEvPT_NS1_25CatArrInputTensorMetadataIS5_T0_XT2_EXT3_EEENS1_16TensorSizeStrideIS8_Lj4EEEiS8_: ; @_ZN2at6native12_GLOBAL__N_119CatArrayBatchedCopyINS1_10OpaqueTypeILj16EEEjLi4ELi64ELi64EEEvPT_NS1_25CatArrInputTensorMetadataIS5_T0_XT2_EXT3_EEENS1_16TensorSizeStrideIS8_Lj4EEEiS8_
; %bb.0:
	s_mov_b32 s0, s7
	s_load_dword s7, s[4:5], 0xd7c
	s_or_b32 s10, s4, 8
	s_mov_b32 s1, 0
	s_add_u32 s16, s4, 0xd70
	s_addc_u32 s17, s5, 0
	s_lshl_b64 s[2:3], s[0:1], 2
	s_waitcnt lgkmcnt(0)
	s_and_b32 s25, s7, 0xffff
	s_add_u32 s8, s10, s2
	s_addc_u32 s9, s5, s3
	v_mad_u64_u32 v[0:1], null, s6, s25, v[0:1]
	s_load_dword s18, s[8:9], 0x400
	s_mov_b32 s6, exec_lo
	s_waitcnt lgkmcnt(0)
	v_cmpx_gt_u32_e64 s18, v0
	s_cbranch_execz .LBB199_5
; %bb.1:
	s_mul_i32 s6, s0, 28
	s_mul_hi_u32 s7, s0, 28
	s_add_u32 s6, s8, s6
	v_mov_b32_e32 v1, 0
	s_addc_u32 s7, s9, s7
	s_add_u32 s8, s10, s0
	s_addc_u32 s9, s5, 0
	s_load_dwordx2 s[14:15], s[4:5], 0xd68
	global_load_ubyte v2, v1, s[8:9] offset:1280
	s_mul_hi_u32 s10, s0, 7
	s_mul_i32 s0, s0, 7
	s_waitcnt vmcnt(0)
	v_and_b32_e32 v2, 1, v2
	v_cmp_eq_u32_e32 vcc_lo, 1, v2
	s_xor_b32 s19, vcc_lo, -1
	s_add_u32 s12, s8, s0
	s_addc_u32 s13, s9, s10
	s_sub_u32 s0, 0, s2
	s_subb_u32 s2, 0, s3
	s_add_u32 s20, s12, s0
	s_addc_u32 s21, s13, s2
	s_clause 0x5
	s_load_dwordx4 s[28:31], s[4:5], 0xd4c
	s_load_dword s0, s[20:21], 0x300
	s_load_dword s24, s[6:7], 0x54c
	s_load_dwordx2 s[22:23], s[6:7], 0x544
	s_load_dwordx4 s[8:11], s[4:5], 0xd58
	s_load_dwordx2 s[2:3], s[4:5], 0x0
	s_waitcnt lgkmcnt(0)
	s_cmp_eq_u32 s14, 3
	s_load_dword s26, s[20:21], 0x200
	s_load_dword s27, s[16:17], 0x0
	s_cselect_b32 s20, s0, s30
	s_cselect_b32 s21, s0, s24
	s_cmp_eq_u32 s14, 2
	v_cvt_f32_u32_e32 v2, s20
	s_cselect_b32 s16, s0, s29
	s_cselect_b32 s17, s0, s23
	s_cmp_eq_u32 s14, 1
	v_cvt_f32_u32_e32 v3, s21
	s_cselect_b32 s14, s0, s28
	s_cselect_b32 s22, s0, s22
	v_cvt_f32_u32_e32 v4, s16
	v_cvt_f32_u32_e32 v5, s17
	;; [unrolled: 1-line block ×4, first 2 shown]
	v_rcp_iflag_f32_e32 v2, v2
	v_rcp_iflag_f32_e32 v3, v3
	;; [unrolled: 1-line block ×6, first 2 shown]
	s_sub_i32 s23, 0, s20
	s_sub_i32 s0, 0, s16
	;; [unrolled: 1-line block ×4, first 2 shown]
	v_mul_f32_e32 v2, 0x4f7ffffe, v2
	v_mul_f32_e32 v3, 0x4f7ffffe, v3
	;; [unrolled: 1-line block ×6, first 2 shown]
	v_cvt_u32_f32_e32 v2, v2
	v_cvt_u32_f32_e32 v3, v3
	;; [unrolled: 1-line block ×6, first 2 shown]
	s_sub_i32 s5, 0, s14
	s_sub_i32 s28, 0, s22
	v_mul_lo_u32 v4, s23, v2
	v_mul_lo_u32 v5, s24, v3
	;; [unrolled: 1-line block ×6, first 2 shown]
	s_clause 0x1
	s_load_dwordx4 s[4:7], s[6:7], 0x550
	s_load_dwordx2 s[12:13], s[12:13], 0x0
	s_waitcnt lgkmcnt(0)
	s_mul_i32 s15, s26, s15
	v_mul_hi_u32 v4, v2, v4
	v_mul_hi_u32 v5, v3, v5
	;; [unrolled: 1-line block ×6, first 2 shown]
	s_mul_i32 s25, s27, s25
	v_add_nc_u32_e32 v4, v2, v4
	v_add_nc_u32_e32 v5, v3, v5
	;; [unrolled: 1-line block ×6, first 2 shown]
	s_branch .LBB199_3
.LBB199_2:                              ;   in Loop: Header=BB199_3 Depth=1
	v_lshlrev_b64 v[2:3], 4, v[2:3]
	v_mul_hi_u32 v16, v4, v0
	v_add_co_u32 v2, vcc_lo, s12, v2
	v_add_co_ci_u32_e64 v3, null, s13, v3, vcc_lo
	v_not_b32_e32 v14, v16
	global_load_dwordx4 v[10:13], v[2:3], off
	v_mad_u64_u32 v[2:3], null, s23, v16, v[0:1]
	v_mad_u64_u32 v[14:15], null, s20, v14, v[0:1]
	v_add_nc_u32_e32 v3, 1, v16
	v_cmp_le_u32_e32 vcc_lo, s20, v2
	v_cndmask_b32_e32 v3, v16, v3, vcc_lo
	v_cndmask_b32_e32 v2, v2, v14, vcc_lo
	v_add_nc_u32_e32 v14, 1, v3
	v_cmp_le_u32_e32 vcc_lo, s20, v2
	v_cndmask_b32_e32 v14, v3, v14, vcc_lo
	v_mul_hi_u32 v2, v14, v6
	v_mul_lo_u32 v3, v2, s16
	v_add_nc_u32_e32 v15, 1, v2
	v_sub_nc_u32_e32 v3, v14, v3
	v_subrev_nc_u32_e32 v16, s16, v3
	v_cmp_le_u32_e32 vcc_lo, s16, v3
	v_cndmask_b32_e32 v2, v2, v15, vcc_lo
	v_cndmask_b32_e32 v3, v3, v16, vcc_lo
	v_add_nc_u32_e32 v15, 1, v2
	v_cmp_le_u32_e32 vcc_lo, s16, v3
	v_cndmask_b32_e32 v15, v2, v15, vcc_lo
	v_mul_hi_u32 v2, v15, v8
	v_mul_lo_u32 v3, v2, s14
	v_add_nc_u32_e32 v16, 1, v2
	v_sub_nc_u32_e32 v3, v15, v3
	v_subrev_nc_u32_e32 v17, s14, v3
	v_cmp_le_u32_e32 vcc_lo, s14, v3
	v_cndmask_b32_e32 v2, v2, v16, vcc_lo
	v_cndmask_b32_e32 v3, v3, v17, vcc_lo
	v_mul_lo_u32 v17, v15, s16
	v_add_nc_u32_e32 v16, 1, v2
	v_cmp_le_u32_e32 vcc_lo, s14, v3
	v_cndmask_b32_e32 v16, v2, v16, vcc_lo
	v_mad_u64_u32 v[2:3], null, s23, v14, v[0:1]
	v_sub_nc_u32_e32 v14, v14, v17
	v_add_nc_u32_e32 v0, s25, v0
	v_mul_lo_u32 v3, v16, s14
	v_mul_lo_u32 v14, v14, s10
	;; [unrolled: 1-line block ×3, first 2 shown]
	v_cmp_le_u32_e32 vcc_lo, s18, v0
	v_sub_nc_u32_e32 v3, v15, v3
	v_mul_lo_u32 v15, v16, s8
	s_or_b32 s1, vcc_lo, s1
	v_mul_lo_u32 v3, v3, s9
	v_add3_u32 v2, v15, v2, v14
	v_add3_u32 v2, v2, v3, s15
	v_mov_b32_e32 v3, v1
	v_lshlrev_b64 v[2:3], 4, v[2:3]
	v_add_co_u32 v2, s0, s2, v2
	v_add_co_ci_u32_e64 v3, null, s3, v3, s0
	s_waitcnt vmcnt(0)
	global_store_dwordx4 v[2:3], v[10:13], off
	s_andn2_b32 exec_lo, exec_lo, s1
	s_cbranch_execz .LBB199_5
.LBB199_3:                              ; =>This Inner Loop Header: Depth=1
	v_mov_b32_e32 v3, v1
	v_mov_b32_e32 v2, v0
	s_andn2_b32 vcc_lo, exec_lo, s19
	s_cbranch_vccnz .LBB199_2
; %bb.4:                                ;   in Loop: Header=BB199_3 Depth=1
	v_mul_hi_u32 v12, v5, v0
	v_not_b32_e32 v10, v12
	v_mad_u64_u32 v[2:3], null, s24, v12, v[0:1]
	v_add_nc_u32_e32 v3, 1, v12
	v_mad_u64_u32 v[10:11], null, s21, v10, v[0:1]
	v_cmp_le_u32_e32 vcc_lo, s21, v2
	v_cndmask_b32_e32 v3, v12, v3, vcc_lo
	v_cndmask_b32_e32 v2, v2, v10, vcc_lo
	v_add_nc_u32_e32 v10, 1, v3
	v_cmp_le_u32_e32 vcc_lo, s21, v2
	v_cndmask_b32_e32 v10, v3, v10, vcc_lo
	v_mul_hi_u32 v2, v10, v7
	v_mul_lo_u32 v3, v2, s17
	v_add_nc_u32_e32 v11, 1, v2
	v_sub_nc_u32_e32 v3, v10, v3
	v_subrev_nc_u32_e32 v12, s17, v3
	v_cmp_le_u32_e32 vcc_lo, s17, v3
	v_cndmask_b32_e32 v2, v2, v11, vcc_lo
	v_cndmask_b32_e32 v3, v3, v12, vcc_lo
	v_add_nc_u32_e32 v11, 1, v2
	v_cmp_le_u32_e32 vcc_lo, s17, v3
	v_cndmask_b32_e32 v11, v2, v11, vcc_lo
	v_mul_hi_u32 v2, v11, v9
	v_mul_lo_u32 v3, v2, s22
	v_add_nc_u32_e32 v12, 1, v2
	v_sub_nc_u32_e32 v3, v11, v3
	v_subrev_nc_u32_e32 v13, s22, v3
	v_cmp_le_u32_e32 vcc_lo, s22, v3
	v_cndmask_b32_e32 v2, v2, v12, vcc_lo
	v_cndmask_b32_e32 v3, v3, v13, vcc_lo
	v_add_nc_u32_e32 v12, 1, v2
	v_cmp_le_u32_e32 vcc_lo, s22, v3
	v_cndmask_b32_e32 v12, v2, v12, vcc_lo
	v_mad_u64_u32 v[2:3], null, s24, v10, v[0:1]
	v_mul_lo_u32 v3, v11, s17
	v_mul_lo_u32 v13, v12, s22
	;; [unrolled: 1-line block ×3, first 2 shown]
	v_sub_nc_u32_e32 v3, v10, v3
	v_sub_nc_u32_e32 v10, v11, v13
	v_mul_lo_u32 v11, v3, s6
	v_mad_u64_u32 v[2:3], null, v12, s4, v[2:3]
	v_mul_lo_u32 v3, v10, s5
	v_add3_u32 v2, v2, v11, v3
	v_mov_b32_e32 v3, v1
	s_branch .LBB199_2
.LBB199_5:
	s_endpgm
	.section	.rodata,"a",@progbits
	.p2align	6, 0x0
	.amdhsa_kernel _ZN2at6native12_GLOBAL__N_119CatArrayBatchedCopyINS1_10OpaqueTypeILj16EEEjLi4ELi64ELi64EEEvPT_NS1_25CatArrInputTensorMetadataIS5_T0_XT2_EXT3_EEENS1_16TensorSizeStrideIS8_Lj4EEEiS8_
		.amdhsa_group_segment_fixed_size 0
		.amdhsa_private_segment_fixed_size 0
		.amdhsa_kernarg_size 3696
		.amdhsa_user_sgpr_count 6
		.amdhsa_user_sgpr_private_segment_buffer 1
		.amdhsa_user_sgpr_dispatch_ptr 0
		.amdhsa_user_sgpr_queue_ptr 0
		.amdhsa_user_sgpr_kernarg_segment_ptr 1
		.amdhsa_user_sgpr_dispatch_id 0
		.amdhsa_user_sgpr_flat_scratch_init 0
		.amdhsa_user_sgpr_private_segment_size 0
		.amdhsa_wavefront_size32 1
		.amdhsa_uses_dynamic_stack 0
		.amdhsa_system_sgpr_private_segment_wavefront_offset 0
		.amdhsa_system_sgpr_workgroup_id_x 1
		.amdhsa_system_sgpr_workgroup_id_y 1
		.amdhsa_system_sgpr_workgroup_id_z 0
		.amdhsa_system_sgpr_workgroup_info 0
		.amdhsa_system_vgpr_workitem_id 0
		.amdhsa_next_free_vgpr 18
		.amdhsa_next_free_sgpr 32
		.amdhsa_reserve_vcc 1
		.amdhsa_reserve_flat_scratch 0
		.amdhsa_float_round_mode_32 0
		.amdhsa_float_round_mode_16_64 0
		.amdhsa_float_denorm_mode_32 3
		.amdhsa_float_denorm_mode_16_64 3
		.amdhsa_dx10_clamp 1
		.amdhsa_ieee_mode 1
		.amdhsa_fp16_overflow 0
		.amdhsa_workgroup_processor_mode 1
		.amdhsa_memory_ordered 1
		.amdhsa_forward_progress 1
		.amdhsa_shared_vgpr_count 0
		.amdhsa_exception_fp_ieee_invalid_op 0
		.amdhsa_exception_fp_denorm_src 0
		.amdhsa_exception_fp_ieee_div_zero 0
		.amdhsa_exception_fp_ieee_overflow 0
		.amdhsa_exception_fp_ieee_underflow 0
		.amdhsa_exception_fp_ieee_inexact 0
		.amdhsa_exception_int_div_zero 0
	.end_amdhsa_kernel
	.section	.text._ZN2at6native12_GLOBAL__N_119CatArrayBatchedCopyINS1_10OpaqueTypeILj16EEEjLi4ELi64ELi64EEEvPT_NS1_25CatArrInputTensorMetadataIS5_T0_XT2_EXT3_EEENS1_16TensorSizeStrideIS8_Lj4EEEiS8_,"axG",@progbits,_ZN2at6native12_GLOBAL__N_119CatArrayBatchedCopyINS1_10OpaqueTypeILj16EEEjLi4ELi64ELi64EEEvPT_NS1_25CatArrInputTensorMetadataIS5_T0_XT2_EXT3_EEENS1_16TensorSizeStrideIS8_Lj4EEEiS8_,comdat
.Lfunc_end199:
	.size	_ZN2at6native12_GLOBAL__N_119CatArrayBatchedCopyINS1_10OpaqueTypeILj16EEEjLi4ELi64ELi64EEEvPT_NS1_25CatArrInputTensorMetadataIS5_T0_XT2_EXT3_EEENS1_16TensorSizeStrideIS8_Lj4EEEiS8_, .Lfunc_end199-_ZN2at6native12_GLOBAL__N_119CatArrayBatchedCopyINS1_10OpaqueTypeILj16EEEjLi4ELi64ELi64EEEvPT_NS1_25CatArrInputTensorMetadataIS5_T0_XT2_EXT3_EEENS1_16TensorSizeStrideIS8_Lj4EEEiS8_
                                        ; -- End function
	.set _ZN2at6native12_GLOBAL__N_119CatArrayBatchedCopyINS1_10OpaqueTypeILj16EEEjLi4ELi64ELi64EEEvPT_NS1_25CatArrInputTensorMetadataIS5_T0_XT2_EXT3_EEENS1_16TensorSizeStrideIS8_Lj4EEEiS8_.num_vgpr, 18
	.set _ZN2at6native12_GLOBAL__N_119CatArrayBatchedCopyINS1_10OpaqueTypeILj16EEEjLi4ELi64ELi64EEEvPT_NS1_25CatArrInputTensorMetadataIS5_T0_XT2_EXT3_EEENS1_16TensorSizeStrideIS8_Lj4EEEiS8_.num_agpr, 0
	.set _ZN2at6native12_GLOBAL__N_119CatArrayBatchedCopyINS1_10OpaqueTypeILj16EEEjLi4ELi64ELi64EEEvPT_NS1_25CatArrInputTensorMetadataIS5_T0_XT2_EXT3_EEENS1_16TensorSizeStrideIS8_Lj4EEEiS8_.numbered_sgpr, 32
	.set _ZN2at6native12_GLOBAL__N_119CatArrayBatchedCopyINS1_10OpaqueTypeILj16EEEjLi4ELi64ELi64EEEvPT_NS1_25CatArrInputTensorMetadataIS5_T0_XT2_EXT3_EEENS1_16TensorSizeStrideIS8_Lj4EEEiS8_.num_named_barrier, 0
	.set _ZN2at6native12_GLOBAL__N_119CatArrayBatchedCopyINS1_10OpaqueTypeILj16EEEjLi4ELi64ELi64EEEvPT_NS1_25CatArrInputTensorMetadataIS5_T0_XT2_EXT3_EEENS1_16TensorSizeStrideIS8_Lj4EEEiS8_.private_seg_size, 0
	.set _ZN2at6native12_GLOBAL__N_119CatArrayBatchedCopyINS1_10OpaqueTypeILj16EEEjLi4ELi64ELi64EEEvPT_NS1_25CatArrInputTensorMetadataIS5_T0_XT2_EXT3_EEENS1_16TensorSizeStrideIS8_Lj4EEEiS8_.uses_vcc, 1
	.set _ZN2at6native12_GLOBAL__N_119CatArrayBatchedCopyINS1_10OpaqueTypeILj16EEEjLi4ELi64ELi64EEEvPT_NS1_25CatArrInputTensorMetadataIS5_T0_XT2_EXT3_EEENS1_16TensorSizeStrideIS8_Lj4EEEiS8_.uses_flat_scratch, 0
	.set _ZN2at6native12_GLOBAL__N_119CatArrayBatchedCopyINS1_10OpaqueTypeILj16EEEjLi4ELi64ELi64EEEvPT_NS1_25CatArrInputTensorMetadataIS5_T0_XT2_EXT3_EEENS1_16TensorSizeStrideIS8_Lj4EEEiS8_.has_dyn_sized_stack, 0
	.set _ZN2at6native12_GLOBAL__N_119CatArrayBatchedCopyINS1_10OpaqueTypeILj16EEEjLi4ELi64ELi64EEEvPT_NS1_25CatArrInputTensorMetadataIS5_T0_XT2_EXT3_EEENS1_16TensorSizeStrideIS8_Lj4EEEiS8_.has_recursion, 0
	.set _ZN2at6native12_GLOBAL__N_119CatArrayBatchedCopyINS1_10OpaqueTypeILj16EEEjLi4ELi64ELi64EEEvPT_NS1_25CatArrInputTensorMetadataIS5_T0_XT2_EXT3_EEENS1_16TensorSizeStrideIS8_Lj4EEEiS8_.has_indirect_call, 0
	.section	.AMDGPU.csdata,"",@progbits
; Kernel info:
; codeLenInByte = 1184
; TotalNumSgprs: 34
; NumVgprs: 18
; ScratchSize: 0
; MemoryBound: 0
; FloatMode: 240
; IeeeMode: 1
; LDSByteSize: 0 bytes/workgroup (compile time only)
; SGPRBlocks: 0
; VGPRBlocks: 2
; NumSGPRsForWavesPerEU: 34
; NumVGPRsForWavesPerEU: 18
; Occupancy: 16
; WaveLimiterHint : 1
; COMPUTE_PGM_RSRC2:SCRATCH_EN: 0
; COMPUTE_PGM_RSRC2:USER_SGPR: 6
; COMPUTE_PGM_RSRC2:TRAP_HANDLER: 0
; COMPUTE_PGM_RSRC2:TGID_X_EN: 1
; COMPUTE_PGM_RSRC2:TGID_Y_EN: 1
; COMPUTE_PGM_RSRC2:TGID_Z_EN: 0
; COMPUTE_PGM_RSRC2:TIDIG_COMP_CNT: 0
	.section	.AMDGPU.gpr_maximums,"",@progbits
	.set amdgpu.max_num_vgpr, 0
	.set amdgpu.max_num_agpr, 0
	.set amdgpu.max_num_sgpr, 0
	.section	.AMDGPU.csdata,"",@progbits
	.type	__hip_cuid_4bb578981187ba97,@object ; @__hip_cuid_4bb578981187ba97
	.section	.bss,"aw",@nobits
	.globl	__hip_cuid_4bb578981187ba97
__hip_cuid_4bb578981187ba97:
	.byte	0                               ; 0x0
	.size	__hip_cuid_4bb578981187ba97, 1

	.ident	"AMD clang version 22.0.0git (https://github.com/RadeonOpenCompute/llvm-project roc-7.2.4 26084 f58b06dce1f9c15707c5f808fd002e18c2accf7e)"
	.section	".note.GNU-stack","",@progbits
	.addrsig
	.addrsig_sym __hip_cuid_4bb578981187ba97
	.amdgpu_metadata
---
amdhsa.kernels:
  - .args:
      - .address_space:  global
        .offset:         0
        .size:           8
        .value_kind:     global_buffer
      - .offset:         8
        .size:           2720
        .value_kind:     by_value
      - .offset:         2728
        .size:           32
        .value_kind:     by_value
      - .offset:         2760
        .size:           4
        .value_kind:     by_value
      - .offset:         2764
        .size:           4
        .value_kind:     by_value
      - .offset:         2768
        .size:           4
        .value_kind:     hidden_block_count_x
      - .offset:         2772
        .size:           4
        .value_kind:     hidden_block_count_y
      - .offset:         2776
        .size:           4
        .value_kind:     hidden_block_count_z
      - .offset:         2780
        .size:           2
        .value_kind:     hidden_group_size_x
      - .offset:         2782
        .size:           2
        .value_kind:     hidden_group_size_y
      - .offset:         2784
        .size:           2
        .value_kind:     hidden_group_size_z
      - .offset:         2786
        .size:           2
        .value_kind:     hidden_remainder_x
      - .offset:         2788
        .size:           2
        .value_kind:     hidden_remainder_y
      - .offset:         2790
        .size:           2
        .value_kind:     hidden_remainder_z
      - .offset:         2808
        .size:           8
        .value_kind:     hidden_global_offset_x
      - .offset:         2816
        .size:           8
        .value_kind:     hidden_global_offset_y
      - .offset:         2824
        .size:           8
        .value_kind:     hidden_global_offset_z
      - .offset:         2832
        .size:           2
        .value_kind:     hidden_grid_dims
    .group_segment_fixed_size: 0
    .kernarg_segment_align: 8
    .kernarg_segment_size: 3024
    .language:       OpenCL C
    .language_version:
      - 2
      - 0
    .max_flat_workgroup_size: 1024
    .name:           _ZN2at6native12_GLOBAL__N_130CatArrayBatchedCopy_vectorizedINS1_10OpaqueTypeILj1EEEjLi1ELi128ELi1ELi16ELi16EEEvPcNS1_25CatArrInputTensorMetadataIT_T0_XT2_EXT3_EEENS1_16TensorSizeStrideIS8_Lj4EEEiS8_
    .private_segment_fixed_size: 0
    .sgpr_count:     16
    .sgpr_spill_count: 0
    .symbol:         _ZN2at6native12_GLOBAL__N_130CatArrayBatchedCopy_vectorizedINS1_10OpaqueTypeILj1EEEjLi1ELi128ELi1ELi16ELi16EEEvPcNS1_25CatArrInputTensorMetadataIT_T0_XT2_EXT3_EEENS1_16TensorSizeStrideIS8_Lj4EEEiS8_.kd
    .uniform_work_group_size: 1
    .uses_dynamic_stack: false
    .vgpr_count:     10
    .vgpr_spill_count: 0
    .wavefront_size: 32
    .workgroup_processor_mode: 1
  - .args:
      - .address_space:  global
        .offset:         0
        .size:           8
        .value_kind:     global_buffer
      - .offset:         8
        .size:           2720
        .value_kind:     by_value
      - .offset:         2728
        .size:           32
        .value_kind:     by_value
      - .offset:         2760
        .size:           4
        .value_kind:     by_value
      - .offset:         2764
        .size:           4
        .value_kind:     by_value
      - .offset:         2768
        .size:           4
        .value_kind:     hidden_block_count_x
      - .offset:         2772
        .size:           4
        .value_kind:     hidden_block_count_y
      - .offset:         2776
        .size:           4
        .value_kind:     hidden_block_count_z
      - .offset:         2780
        .size:           2
        .value_kind:     hidden_group_size_x
      - .offset:         2782
        .size:           2
        .value_kind:     hidden_group_size_y
      - .offset:         2784
        .size:           2
        .value_kind:     hidden_group_size_z
      - .offset:         2786
        .size:           2
        .value_kind:     hidden_remainder_x
      - .offset:         2788
        .size:           2
        .value_kind:     hidden_remainder_y
      - .offset:         2790
        .size:           2
        .value_kind:     hidden_remainder_z
      - .offset:         2808
        .size:           8
        .value_kind:     hidden_global_offset_x
      - .offset:         2816
        .size:           8
        .value_kind:     hidden_global_offset_y
      - .offset:         2824
        .size:           8
        .value_kind:     hidden_global_offset_z
      - .offset:         2832
        .size:           2
        .value_kind:     hidden_grid_dims
    .group_segment_fixed_size: 0
    .kernarg_segment_align: 8
    .kernarg_segment_size: 3024
    .language:       OpenCL C
    .language_version:
      - 2
      - 0
    .max_flat_workgroup_size: 1024
    .name:           _ZN2at6native12_GLOBAL__N_135CatArrayBatchedCopy_alignedK_contigINS1_10OpaqueTypeILj1EEEjLi1ELi128ELi1ELi16EEEvPT_NS1_25CatArrInputTensorMetadataIS5_T0_XT2_EXT3_EEENS1_16TensorSizeStrideIS8_Lj4EEEiS8_
    .private_segment_fixed_size: 0
    .sgpr_count:     14
    .sgpr_spill_count: 0
    .symbol:         _ZN2at6native12_GLOBAL__N_135CatArrayBatchedCopy_alignedK_contigINS1_10OpaqueTypeILj1EEEjLi1ELi128ELi1ELi16EEEvPT_NS1_25CatArrInputTensorMetadataIS5_T0_XT2_EXT3_EEENS1_16TensorSizeStrideIS8_Lj4EEEiS8_.kd
    .uniform_work_group_size: 1
    .uses_dynamic_stack: false
    .vgpr_count:     45
    .vgpr_spill_count: 0
    .wavefront_size: 32
    .workgroup_processor_mode: 1
  - .args:
      - .address_space:  global
        .offset:         0
        .size:           8
        .value_kind:     global_buffer
      - .offset:         8
        .size:           2720
        .value_kind:     by_value
      - .offset:         2728
        .size:           32
        .value_kind:     by_value
      - .offset:         2760
        .size:           4
        .value_kind:     by_value
      - .offset:         2764
        .size:           4
        .value_kind:     by_value
      - .offset:         2768
        .size:           4
        .value_kind:     hidden_block_count_x
      - .offset:         2772
        .size:           4
        .value_kind:     hidden_block_count_y
      - .offset:         2776
        .size:           4
        .value_kind:     hidden_block_count_z
      - .offset:         2780
        .size:           2
        .value_kind:     hidden_group_size_x
      - .offset:         2782
        .size:           2
        .value_kind:     hidden_group_size_y
      - .offset:         2784
        .size:           2
        .value_kind:     hidden_group_size_z
      - .offset:         2786
        .size:           2
        .value_kind:     hidden_remainder_x
      - .offset:         2788
        .size:           2
        .value_kind:     hidden_remainder_y
      - .offset:         2790
        .size:           2
        .value_kind:     hidden_remainder_z
      - .offset:         2808
        .size:           8
        .value_kind:     hidden_global_offset_x
      - .offset:         2816
        .size:           8
        .value_kind:     hidden_global_offset_y
      - .offset:         2824
        .size:           8
        .value_kind:     hidden_global_offset_z
      - .offset:         2832
        .size:           2
        .value_kind:     hidden_grid_dims
    .group_segment_fixed_size: 0
    .kernarg_segment_align: 8
    .kernarg_segment_size: 3024
    .language:       OpenCL C
    .language_version:
      - 2
      - 0
    .max_flat_workgroup_size: 1024
    .name:           _ZN2at6native12_GLOBAL__N_135CatArrayBatchedCopy_alignedK_contigINS1_10OpaqueTypeILj1EEEjLi1ELi128ELi1ELi8EEEvPT_NS1_25CatArrInputTensorMetadataIS5_T0_XT2_EXT3_EEENS1_16TensorSizeStrideIS8_Lj4EEEiS8_
    .private_segment_fixed_size: 0
    .sgpr_count:     14
    .sgpr_spill_count: 0
    .symbol:         _ZN2at6native12_GLOBAL__N_135CatArrayBatchedCopy_alignedK_contigINS1_10OpaqueTypeILj1EEEjLi1ELi128ELi1ELi8EEEvPT_NS1_25CatArrInputTensorMetadataIS5_T0_XT2_EXT3_EEENS1_16TensorSizeStrideIS8_Lj4EEEiS8_.kd
    .uniform_work_group_size: 1
    .uses_dynamic_stack: false
    .vgpr_count:     23
    .vgpr_spill_count: 0
    .wavefront_size: 32
    .workgroup_processor_mode: 1
  - .args:
      - .address_space:  global
        .offset:         0
        .size:           8
        .value_kind:     global_buffer
      - .offset:         8
        .size:           2720
        .value_kind:     by_value
      - .offset:         2728
        .size:           32
        .value_kind:     by_value
      - .offset:         2760
        .size:           4
        .value_kind:     by_value
      - .offset:         2764
        .size:           4
        .value_kind:     by_value
      - .offset:         2768
        .size:           4
        .value_kind:     hidden_block_count_x
      - .offset:         2772
        .size:           4
        .value_kind:     hidden_block_count_y
      - .offset:         2776
        .size:           4
        .value_kind:     hidden_block_count_z
      - .offset:         2780
        .size:           2
        .value_kind:     hidden_group_size_x
      - .offset:         2782
        .size:           2
        .value_kind:     hidden_group_size_y
      - .offset:         2784
        .size:           2
        .value_kind:     hidden_group_size_z
      - .offset:         2786
        .size:           2
        .value_kind:     hidden_remainder_x
      - .offset:         2788
        .size:           2
        .value_kind:     hidden_remainder_y
      - .offset:         2790
        .size:           2
        .value_kind:     hidden_remainder_z
      - .offset:         2808
        .size:           8
        .value_kind:     hidden_global_offset_x
      - .offset:         2816
        .size:           8
        .value_kind:     hidden_global_offset_y
      - .offset:         2824
        .size:           8
        .value_kind:     hidden_global_offset_z
      - .offset:         2832
        .size:           2
        .value_kind:     hidden_grid_dims
    .group_segment_fixed_size: 0
    .kernarg_segment_align: 8
    .kernarg_segment_size: 3024
    .language:       OpenCL C
    .language_version:
      - 2
      - 0
    .max_flat_workgroup_size: 1024
    .name:           _ZN2at6native12_GLOBAL__N_126CatArrayBatchedCopy_contigINS1_10OpaqueTypeILj1EEEjLi1ELi128ELi1EEEvPT_NS1_25CatArrInputTensorMetadataIS5_T0_XT2_EXT3_EEENS1_16TensorSizeStrideIS8_Lj4EEEiS8_
    .private_segment_fixed_size: 0
    .sgpr_count:     16
    .sgpr_spill_count: 0
    .symbol:         _ZN2at6native12_GLOBAL__N_126CatArrayBatchedCopy_contigINS1_10OpaqueTypeILj1EEEjLi1ELi128ELi1EEEvPT_NS1_25CatArrInputTensorMetadataIS5_T0_XT2_EXT3_EEENS1_16TensorSizeStrideIS8_Lj4EEEiS8_.kd
    .uniform_work_group_size: 1
    .uses_dynamic_stack: false
    .vgpr_count:     3
    .vgpr_spill_count: 0
    .wavefront_size: 32
    .workgroup_processor_mode: 1
  - .args:
      - .address_space:  global
        .offset:         0
        .size:           8
        .value_kind:     global_buffer
      - .offset:         8
        .size:           2720
        .value_kind:     by_value
      - .offset:         2728
        .size:           32
        .value_kind:     by_value
      - .offset:         2760
        .size:           4
        .value_kind:     by_value
      - .offset:         2764
        .size:           4
        .value_kind:     by_value
      - .offset:         2768
        .size:           4
        .value_kind:     hidden_block_count_x
      - .offset:         2772
        .size:           4
        .value_kind:     hidden_block_count_y
      - .offset:         2776
        .size:           4
        .value_kind:     hidden_block_count_z
      - .offset:         2780
        .size:           2
        .value_kind:     hidden_group_size_x
      - .offset:         2782
        .size:           2
        .value_kind:     hidden_group_size_y
      - .offset:         2784
        .size:           2
        .value_kind:     hidden_group_size_z
      - .offset:         2786
        .size:           2
        .value_kind:     hidden_remainder_x
      - .offset:         2788
        .size:           2
        .value_kind:     hidden_remainder_y
      - .offset:         2790
        .size:           2
        .value_kind:     hidden_remainder_z
      - .offset:         2808
        .size:           8
        .value_kind:     hidden_global_offset_x
      - .offset:         2816
        .size:           8
        .value_kind:     hidden_global_offset_y
      - .offset:         2824
        .size:           8
        .value_kind:     hidden_global_offset_z
      - .offset:         2832
        .size:           2
        .value_kind:     hidden_grid_dims
    .group_segment_fixed_size: 0
    .kernarg_segment_align: 8
    .kernarg_segment_size: 3024
    .language:       OpenCL C
    .language_version:
      - 2
      - 0
    .max_flat_workgroup_size: 1024
    .name:           _ZN2at6native12_GLOBAL__N_119CatArrayBatchedCopyINS1_10OpaqueTypeILj1EEEjLi1ELi128ELi1EEEvPT_NS1_25CatArrInputTensorMetadataIS5_T0_XT2_EXT3_EEENS1_16TensorSizeStrideIS8_Lj4EEEiS8_
    .private_segment_fixed_size: 0
    .sgpr_count:     20
    .sgpr_spill_count: 0
    .symbol:         _ZN2at6native12_GLOBAL__N_119CatArrayBatchedCopyINS1_10OpaqueTypeILj1EEEjLi1ELi128ELi1EEEvPT_NS1_25CatArrInputTensorMetadataIS5_T0_XT2_EXT3_EEENS1_16TensorSizeStrideIS8_Lj4EEEiS8_.kd
    .uniform_work_group_size: 1
    .uses_dynamic_stack: false
    .vgpr_count:     4
    .vgpr_spill_count: 0
    .wavefront_size: 32
    .workgroup_processor_mode: 1
  - .args:
      - .address_space:  global
        .offset:         0
        .size:           8
        .value_kind:     global_buffer
      - .offset:         8
        .size:           2720
        .value_kind:     by_value
      - .offset:         2728
        .size:           32
        .value_kind:     by_value
      - .offset:         2760
        .size:           4
        .value_kind:     by_value
      - .offset:         2764
        .size:           4
        .value_kind:     by_value
      - .offset:         2768
        .size:           4
        .value_kind:     hidden_block_count_x
      - .offset:         2772
        .size:           4
        .value_kind:     hidden_block_count_y
      - .offset:         2776
        .size:           4
        .value_kind:     hidden_block_count_z
      - .offset:         2780
        .size:           2
        .value_kind:     hidden_group_size_x
      - .offset:         2782
        .size:           2
        .value_kind:     hidden_group_size_y
      - .offset:         2784
        .size:           2
        .value_kind:     hidden_group_size_z
      - .offset:         2786
        .size:           2
        .value_kind:     hidden_remainder_x
      - .offset:         2788
        .size:           2
        .value_kind:     hidden_remainder_y
      - .offset:         2790
        .size:           2
        .value_kind:     hidden_remainder_z
      - .offset:         2808
        .size:           8
        .value_kind:     hidden_global_offset_x
      - .offset:         2816
        .size:           8
        .value_kind:     hidden_global_offset_y
      - .offset:         2824
        .size:           8
        .value_kind:     hidden_global_offset_z
      - .offset:         2832
        .size:           2
        .value_kind:     hidden_grid_dims
    .group_segment_fixed_size: 0
    .kernarg_segment_align: 8
    .kernarg_segment_size: 3024
    .language:       OpenCL C
    .language_version:
      - 2
      - 0
    .max_flat_workgroup_size: 1024
    .name:           _ZN2at6native12_GLOBAL__N_130CatArrayBatchedCopy_vectorizedINS1_10OpaqueTypeILj1EEEjLi2ELi128ELi1ELi16ELi16EEEvPcNS1_25CatArrInputTensorMetadataIT_T0_XT2_EXT3_EEENS1_16TensorSizeStrideIS8_Lj4EEEiS8_
    .private_segment_fixed_size: 0
    .sgpr_count:     18
    .sgpr_spill_count: 0
    .symbol:         _ZN2at6native12_GLOBAL__N_130CatArrayBatchedCopy_vectorizedINS1_10OpaqueTypeILj1EEEjLi2ELi128ELi1ELi16ELi16EEEvPcNS1_25CatArrInputTensorMetadataIT_T0_XT2_EXT3_EEENS1_16TensorSizeStrideIS8_Lj4EEEiS8_.kd
    .uniform_work_group_size: 1
    .uses_dynamic_stack: false
    .vgpr_count:     12
    .vgpr_spill_count: 0
    .wavefront_size: 32
    .workgroup_processor_mode: 1
  - .args:
      - .address_space:  global
        .offset:         0
        .size:           8
        .value_kind:     global_buffer
      - .offset:         8
        .size:           2720
        .value_kind:     by_value
      - .offset:         2728
        .size:           32
        .value_kind:     by_value
      - .offset:         2760
        .size:           4
        .value_kind:     by_value
      - .offset:         2764
        .size:           4
        .value_kind:     by_value
      - .offset:         2768
        .size:           4
        .value_kind:     hidden_block_count_x
      - .offset:         2772
        .size:           4
        .value_kind:     hidden_block_count_y
      - .offset:         2776
        .size:           4
        .value_kind:     hidden_block_count_z
      - .offset:         2780
        .size:           2
        .value_kind:     hidden_group_size_x
      - .offset:         2782
        .size:           2
        .value_kind:     hidden_group_size_y
      - .offset:         2784
        .size:           2
        .value_kind:     hidden_group_size_z
      - .offset:         2786
        .size:           2
        .value_kind:     hidden_remainder_x
      - .offset:         2788
        .size:           2
        .value_kind:     hidden_remainder_y
      - .offset:         2790
        .size:           2
        .value_kind:     hidden_remainder_z
      - .offset:         2808
        .size:           8
        .value_kind:     hidden_global_offset_x
      - .offset:         2816
        .size:           8
        .value_kind:     hidden_global_offset_y
      - .offset:         2824
        .size:           8
        .value_kind:     hidden_global_offset_z
      - .offset:         2832
        .size:           2
        .value_kind:     hidden_grid_dims
    .group_segment_fixed_size: 0
    .kernarg_segment_align: 8
    .kernarg_segment_size: 3024
    .language:       OpenCL C
    .language_version:
      - 2
      - 0
    .max_flat_workgroup_size: 1024
    .name:           _ZN2at6native12_GLOBAL__N_135CatArrayBatchedCopy_alignedK_contigINS1_10OpaqueTypeILj1EEEjLi2ELi128ELi1ELi16EEEvPT_NS1_25CatArrInputTensorMetadataIS5_T0_XT2_EXT3_EEENS1_16TensorSizeStrideIS8_Lj4EEEiS8_
    .private_segment_fixed_size: 0
    .sgpr_count:     34
    .sgpr_spill_count: 0
    .symbol:         _ZN2at6native12_GLOBAL__N_135CatArrayBatchedCopy_alignedK_contigINS1_10OpaqueTypeILj1EEEjLi2ELi128ELi1ELi16EEEvPT_NS1_25CatArrInputTensorMetadataIS5_T0_XT2_EXT3_EEENS1_16TensorSizeStrideIS8_Lj4EEEiS8_.kd
    .uniform_work_group_size: 1
    .uses_dynamic_stack: false
    .vgpr_count:     65
    .vgpr_spill_count: 0
    .wavefront_size: 32
    .workgroup_processor_mode: 1
  - .args:
      - .address_space:  global
        .offset:         0
        .size:           8
        .value_kind:     global_buffer
      - .offset:         8
        .size:           2720
        .value_kind:     by_value
      - .offset:         2728
        .size:           32
        .value_kind:     by_value
      - .offset:         2760
        .size:           4
        .value_kind:     by_value
      - .offset:         2764
        .size:           4
        .value_kind:     by_value
      - .offset:         2768
        .size:           4
        .value_kind:     hidden_block_count_x
      - .offset:         2772
        .size:           4
        .value_kind:     hidden_block_count_y
      - .offset:         2776
        .size:           4
        .value_kind:     hidden_block_count_z
      - .offset:         2780
        .size:           2
        .value_kind:     hidden_group_size_x
      - .offset:         2782
        .size:           2
        .value_kind:     hidden_group_size_y
      - .offset:         2784
        .size:           2
        .value_kind:     hidden_group_size_z
      - .offset:         2786
        .size:           2
        .value_kind:     hidden_remainder_x
      - .offset:         2788
        .size:           2
        .value_kind:     hidden_remainder_y
      - .offset:         2790
        .size:           2
        .value_kind:     hidden_remainder_z
      - .offset:         2808
        .size:           8
        .value_kind:     hidden_global_offset_x
      - .offset:         2816
        .size:           8
        .value_kind:     hidden_global_offset_y
      - .offset:         2824
        .size:           8
        .value_kind:     hidden_global_offset_z
      - .offset:         2832
        .size:           2
        .value_kind:     hidden_grid_dims
    .group_segment_fixed_size: 0
    .kernarg_segment_align: 8
    .kernarg_segment_size: 3024
    .language:       OpenCL C
    .language_version:
      - 2
      - 0
    .max_flat_workgroup_size: 1024
    .name:           _ZN2at6native12_GLOBAL__N_135CatArrayBatchedCopy_alignedK_contigINS1_10OpaqueTypeILj1EEEjLi2ELi128ELi1ELi8EEEvPT_NS1_25CatArrInputTensorMetadataIS5_T0_XT2_EXT3_EEENS1_16TensorSizeStrideIS8_Lj4EEEiS8_
    .private_segment_fixed_size: 0
    .sgpr_count:     25
    .sgpr_spill_count: 0
    .symbol:         _ZN2at6native12_GLOBAL__N_135CatArrayBatchedCopy_alignedK_contigINS1_10OpaqueTypeILj1EEEjLi2ELi128ELi1ELi8EEEvPT_NS1_25CatArrInputTensorMetadataIS5_T0_XT2_EXT3_EEENS1_16TensorSizeStrideIS8_Lj4EEEiS8_.kd
    .uniform_work_group_size: 1
    .uses_dynamic_stack: false
    .vgpr_count:     48
    .vgpr_spill_count: 0
    .wavefront_size: 32
    .workgroup_processor_mode: 1
  - .args:
      - .address_space:  global
        .offset:         0
        .size:           8
        .value_kind:     global_buffer
      - .offset:         8
        .size:           2720
        .value_kind:     by_value
      - .offset:         2728
        .size:           32
        .value_kind:     by_value
      - .offset:         2760
        .size:           4
        .value_kind:     by_value
      - .offset:         2764
        .size:           4
        .value_kind:     by_value
      - .offset:         2768
        .size:           4
        .value_kind:     hidden_block_count_x
      - .offset:         2772
        .size:           4
        .value_kind:     hidden_block_count_y
      - .offset:         2776
        .size:           4
        .value_kind:     hidden_block_count_z
      - .offset:         2780
        .size:           2
        .value_kind:     hidden_group_size_x
      - .offset:         2782
        .size:           2
        .value_kind:     hidden_group_size_y
      - .offset:         2784
        .size:           2
        .value_kind:     hidden_group_size_z
      - .offset:         2786
        .size:           2
        .value_kind:     hidden_remainder_x
      - .offset:         2788
        .size:           2
        .value_kind:     hidden_remainder_y
      - .offset:         2790
        .size:           2
        .value_kind:     hidden_remainder_z
      - .offset:         2808
        .size:           8
        .value_kind:     hidden_global_offset_x
      - .offset:         2816
        .size:           8
        .value_kind:     hidden_global_offset_y
      - .offset:         2824
        .size:           8
        .value_kind:     hidden_global_offset_z
      - .offset:         2832
        .size:           2
        .value_kind:     hidden_grid_dims
    .group_segment_fixed_size: 0
    .kernarg_segment_align: 8
    .kernarg_segment_size: 3024
    .language:       OpenCL C
    .language_version:
      - 2
      - 0
    .max_flat_workgroup_size: 1024
    .name:           _ZN2at6native12_GLOBAL__N_126CatArrayBatchedCopy_contigINS1_10OpaqueTypeILj1EEEjLi2ELi128ELi1EEEvPT_NS1_25CatArrInputTensorMetadataIS5_T0_XT2_EXT3_EEENS1_16TensorSizeStrideIS8_Lj4EEEiS8_
    .private_segment_fixed_size: 0
    .sgpr_count:     19
    .sgpr_spill_count: 0
    .symbol:         _ZN2at6native12_GLOBAL__N_126CatArrayBatchedCopy_contigINS1_10OpaqueTypeILj1EEEjLi2ELi128ELi1EEEvPT_NS1_25CatArrInputTensorMetadataIS5_T0_XT2_EXT3_EEENS1_16TensorSizeStrideIS8_Lj4EEEiS8_.kd
    .uniform_work_group_size: 1
    .uses_dynamic_stack: false
    .vgpr_count:     8
    .vgpr_spill_count: 0
    .wavefront_size: 32
    .workgroup_processor_mode: 1
  - .args:
      - .address_space:  global
        .offset:         0
        .size:           8
        .value_kind:     global_buffer
      - .offset:         8
        .size:           2720
        .value_kind:     by_value
      - .offset:         2728
        .size:           32
        .value_kind:     by_value
      - .offset:         2760
        .size:           4
        .value_kind:     by_value
      - .offset:         2764
        .size:           4
        .value_kind:     by_value
      - .offset:         2768
        .size:           4
        .value_kind:     hidden_block_count_x
      - .offset:         2772
        .size:           4
        .value_kind:     hidden_block_count_y
      - .offset:         2776
        .size:           4
        .value_kind:     hidden_block_count_z
      - .offset:         2780
        .size:           2
        .value_kind:     hidden_group_size_x
      - .offset:         2782
        .size:           2
        .value_kind:     hidden_group_size_y
      - .offset:         2784
        .size:           2
        .value_kind:     hidden_group_size_z
      - .offset:         2786
        .size:           2
        .value_kind:     hidden_remainder_x
      - .offset:         2788
        .size:           2
        .value_kind:     hidden_remainder_y
      - .offset:         2790
        .size:           2
        .value_kind:     hidden_remainder_z
      - .offset:         2808
        .size:           8
        .value_kind:     hidden_global_offset_x
      - .offset:         2816
        .size:           8
        .value_kind:     hidden_global_offset_y
      - .offset:         2824
        .size:           8
        .value_kind:     hidden_global_offset_z
      - .offset:         2832
        .size:           2
        .value_kind:     hidden_grid_dims
    .group_segment_fixed_size: 0
    .kernarg_segment_align: 8
    .kernarg_segment_size: 3024
    .language:       OpenCL C
    .language_version:
      - 2
      - 0
    .max_flat_workgroup_size: 1024
    .name:           _ZN2at6native12_GLOBAL__N_119CatArrayBatchedCopyINS1_10OpaqueTypeILj1EEEjLi2ELi128ELi1EEEvPT_NS1_25CatArrInputTensorMetadataIS5_T0_XT2_EXT3_EEENS1_16TensorSizeStrideIS8_Lj4EEEiS8_
    .private_segment_fixed_size: 0
    .sgpr_count:     23
    .sgpr_spill_count: 0
    .symbol:         _ZN2at6native12_GLOBAL__N_119CatArrayBatchedCopyINS1_10OpaqueTypeILj1EEEjLi2ELi128ELi1EEEvPT_NS1_25CatArrInputTensorMetadataIS5_T0_XT2_EXT3_EEENS1_16TensorSizeStrideIS8_Lj4EEEiS8_.kd
    .uniform_work_group_size: 1
    .uses_dynamic_stack: false
    .vgpr_count:     10
    .vgpr_spill_count: 0
    .wavefront_size: 32
    .workgroup_processor_mode: 1
  - .args:
      - .address_space:  global
        .offset:         0
        .size:           8
        .value_kind:     global_buffer
      - .offset:         8
        .size:           2720
        .value_kind:     by_value
      - .offset:         2728
        .size:           32
        .value_kind:     by_value
      - .offset:         2760
        .size:           4
        .value_kind:     by_value
      - .offset:         2764
        .size:           4
        .value_kind:     by_value
      - .offset:         2768
        .size:           4
        .value_kind:     hidden_block_count_x
      - .offset:         2772
        .size:           4
        .value_kind:     hidden_block_count_y
      - .offset:         2776
        .size:           4
        .value_kind:     hidden_block_count_z
      - .offset:         2780
        .size:           2
        .value_kind:     hidden_group_size_x
      - .offset:         2782
        .size:           2
        .value_kind:     hidden_group_size_y
      - .offset:         2784
        .size:           2
        .value_kind:     hidden_group_size_z
      - .offset:         2786
        .size:           2
        .value_kind:     hidden_remainder_x
      - .offset:         2788
        .size:           2
        .value_kind:     hidden_remainder_y
      - .offset:         2790
        .size:           2
        .value_kind:     hidden_remainder_z
      - .offset:         2808
        .size:           8
        .value_kind:     hidden_global_offset_x
      - .offset:         2816
        .size:           8
        .value_kind:     hidden_global_offset_y
      - .offset:         2824
        .size:           8
        .value_kind:     hidden_global_offset_z
      - .offset:         2832
        .size:           2
        .value_kind:     hidden_grid_dims
    .group_segment_fixed_size: 0
    .kernarg_segment_align: 8
    .kernarg_segment_size: 3024
    .language:       OpenCL C
    .language_version:
      - 2
      - 0
    .max_flat_workgroup_size: 1024
    .name:           _ZN2at6native12_GLOBAL__N_130CatArrayBatchedCopy_vectorizedINS1_10OpaqueTypeILj1EEEjLi3ELi128ELi1ELi16ELi16EEEvPcNS1_25CatArrInputTensorMetadataIT_T0_XT2_EXT3_EEENS1_16TensorSizeStrideIS8_Lj4EEEiS8_
    .private_segment_fixed_size: 0
    .sgpr_count:     22
    .sgpr_spill_count: 0
    .symbol:         _ZN2at6native12_GLOBAL__N_130CatArrayBatchedCopy_vectorizedINS1_10OpaqueTypeILj1EEEjLi3ELi128ELi1ELi16ELi16EEEvPcNS1_25CatArrInputTensorMetadataIT_T0_XT2_EXT3_EEENS1_16TensorSizeStrideIS8_Lj4EEEiS8_.kd
    .uniform_work_group_size: 1
    .uses_dynamic_stack: false
    .vgpr_count:     13
    .vgpr_spill_count: 0
    .wavefront_size: 32
    .workgroup_processor_mode: 1
  - .args:
      - .address_space:  global
        .offset:         0
        .size:           8
        .value_kind:     global_buffer
      - .offset:         8
        .size:           2720
        .value_kind:     by_value
      - .offset:         2728
        .size:           32
        .value_kind:     by_value
      - .offset:         2760
        .size:           4
        .value_kind:     by_value
      - .offset:         2764
        .size:           4
        .value_kind:     by_value
      - .offset:         2768
        .size:           4
        .value_kind:     hidden_block_count_x
      - .offset:         2772
        .size:           4
        .value_kind:     hidden_block_count_y
      - .offset:         2776
        .size:           4
        .value_kind:     hidden_block_count_z
      - .offset:         2780
        .size:           2
        .value_kind:     hidden_group_size_x
      - .offset:         2782
        .size:           2
        .value_kind:     hidden_group_size_y
      - .offset:         2784
        .size:           2
        .value_kind:     hidden_group_size_z
      - .offset:         2786
        .size:           2
        .value_kind:     hidden_remainder_x
      - .offset:         2788
        .size:           2
        .value_kind:     hidden_remainder_y
      - .offset:         2790
        .size:           2
        .value_kind:     hidden_remainder_z
      - .offset:         2808
        .size:           8
        .value_kind:     hidden_global_offset_x
      - .offset:         2816
        .size:           8
        .value_kind:     hidden_global_offset_y
      - .offset:         2824
        .size:           8
        .value_kind:     hidden_global_offset_z
      - .offset:         2832
        .size:           2
        .value_kind:     hidden_grid_dims
    .group_segment_fixed_size: 0
    .kernarg_segment_align: 8
    .kernarg_segment_size: 3024
    .language:       OpenCL C
    .language_version:
      - 2
      - 0
    .max_flat_workgroup_size: 1024
    .name:           _ZN2at6native12_GLOBAL__N_135CatArrayBatchedCopy_alignedK_contigINS1_10OpaqueTypeILj1EEEjLi3ELi128ELi1ELi16EEEvPT_NS1_25CatArrInputTensorMetadataIS5_T0_XT2_EXT3_EEENS1_16TensorSizeStrideIS8_Lj4EEEiS8_
    .private_segment_fixed_size: 0
    .sgpr_count:     28
    .sgpr_spill_count: 0
    .symbol:         _ZN2at6native12_GLOBAL__N_135CatArrayBatchedCopy_alignedK_contigINS1_10OpaqueTypeILj1EEEjLi3ELi128ELi1ELi16EEEvPT_NS1_25CatArrInputTensorMetadataIS5_T0_XT2_EXT3_EEENS1_16TensorSizeStrideIS8_Lj4EEEiS8_.kd
    .uniform_work_group_size: 1
    .uses_dynamic_stack: false
    .vgpr_count:     52
    .vgpr_spill_count: 0
    .wavefront_size: 32
    .workgroup_processor_mode: 1
  - .args:
      - .address_space:  global
        .offset:         0
        .size:           8
        .value_kind:     global_buffer
      - .offset:         8
        .size:           2720
        .value_kind:     by_value
      - .offset:         2728
        .size:           32
        .value_kind:     by_value
      - .offset:         2760
        .size:           4
        .value_kind:     by_value
      - .offset:         2764
        .size:           4
        .value_kind:     by_value
      - .offset:         2768
        .size:           4
        .value_kind:     hidden_block_count_x
      - .offset:         2772
        .size:           4
        .value_kind:     hidden_block_count_y
      - .offset:         2776
        .size:           4
        .value_kind:     hidden_block_count_z
      - .offset:         2780
        .size:           2
        .value_kind:     hidden_group_size_x
      - .offset:         2782
        .size:           2
        .value_kind:     hidden_group_size_y
      - .offset:         2784
        .size:           2
        .value_kind:     hidden_group_size_z
      - .offset:         2786
        .size:           2
        .value_kind:     hidden_remainder_x
      - .offset:         2788
        .size:           2
        .value_kind:     hidden_remainder_y
      - .offset:         2790
        .size:           2
        .value_kind:     hidden_remainder_z
      - .offset:         2808
        .size:           8
        .value_kind:     hidden_global_offset_x
      - .offset:         2816
        .size:           8
        .value_kind:     hidden_global_offset_y
      - .offset:         2824
        .size:           8
        .value_kind:     hidden_global_offset_z
      - .offset:         2832
        .size:           2
        .value_kind:     hidden_grid_dims
    .group_segment_fixed_size: 0
    .kernarg_segment_align: 8
    .kernarg_segment_size: 3024
    .language:       OpenCL C
    .language_version:
      - 2
      - 0
    .max_flat_workgroup_size: 1024
    .name:           _ZN2at6native12_GLOBAL__N_135CatArrayBatchedCopy_alignedK_contigINS1_10OpaqueTypeILj1EEEjLi3ELi128ELi1ELi8EEEvPT_NS1_25CatArrInputTensorMetadataIS5_T0_XT2_EXT3_EEENS1_16TensorSizeStrideIS8_Lj4EEEiS8_
    .private_segment_fixed_size: 0
    .sgpr_count:     28
    .sgpr_spill_count: 0
    .symbol:         _ZN2at6native12_GLOBAL__N_135CatArrayBatchedCopy_alignedK_contigINS1_10OpaqueTypeILj1EEEjLi3ELi128ELi1ELi8EEEvPT_NS1_25CatArrInputTensorMetadataIS5_T0_XT2_EXT3_EEENS1_16TensorSizeStrideIS8_Lj4EEEiS8_.kd
    .uniform_work_group_size: 1
    .uses_dynamic_stack: false
    .vgpr_count:     52
    .vgpr_spill_count: 0
    .wavefront_size: 32
    .workgroup_processor_mode: 1
  - .args:
      - .address_space:  global
        .offset:         0
        .size:           8
        .value_kind:     global_buffer
      - .offset:         8
        .size:           2720
        .value_kind:     by_value
      - .offset:         2728
        .size:           32
        .value_kind:     by_value
      - .offset:         2760
        .size:           4
        .value_kind:     by_value
      - .offset:         2764
        .size:           4
        .value_kind:     by_value
      - .offset:         2768
        .size:           4
        .value_kind:     hidden_block_count_x
      - .offset:         2772
        .size:           4
        .value_kind:     hidden_block_count_y
      - .offset:         2776
        .size:           4
        .value_kind:     hidden_block_count_z
      - .offset:         2780
        .size:           2
        .value_kind:     hidden_group_size_x
      - .offset:         2782
        .size:           2
        .value_kind:     hidden_group_size_y
      - .offset:         2784
        .size:           2
        .value_kind:     hidden_group_size_z
      - .offset:         2786
        .size:           2
        .value_kind:     hidden_remainder_x
      - .offset:         2788
        .size:           2
        .value_kind:     hidden_remainder_y
      - .offset:         2790
        .size:           2
        .value_kind:     hidden_remainder_z
      - .offset:         2808
        .size:           8
        .value_kind:     hidden_global_offset_x
      - .offset:         2816
        .size:           8
        .value_kind:     hidden_global_offset_y
      - .offset:         2824
        .size:           8
        .value_kind:     hidden_global_offset_z
      - .offset:         2832
        .size:           2
        .value_kind:     hidden_grid_dims
    .group_segment_fixed_size: 0
    .kernarg_segment_align: 8
    .kernarg_segment_size: 3024
    .language:       OpenCL C
    .language_version:
      - 2
      - 0
    .max_flat_workgroup_size: 1024
    .name:           _ZN2at6native12_GLOBAL__N_126CatArrayBatchedCopy_contigINS1_10OpaqueTypeILj1EEEjLi3ELi128ELi1EEEvPT_NS1_25CatArrInputTensorMetadataIS5_T0_XT2_EXT3_EEENS1_16TensorSizeStrideIS8_Lj4EEEiS8_
    .private_segment_fixed_size: 0
    .sgpr_count:     24
    .sgpr_spill_count: 0
    .symbol:         _ZN2at6native12_GLOBAL__N_126CatArrayBatchedCopy_contigINS1_10OpaqueTypeILj1EEEjLi3ELi128ELi1EEEvPT_NS1_25CatArrInputTensorMetadataIS5_T0_XT2_EXT3_EEENS1_16TensorSizeStrideIS8_Lj4EEEiS8_.kd
    .uniform_work_group_size: 1
    .uses_dynamic_stack: false
    .vgpr_count:     9
    .vgpr_spill_count: 0
    .wavefront_size: 32
    .workgroup_processor_mode: 1
  - .args:
      - .address_space:  global
        .offset:         0
        .size:           8
        .value_kind:     global_buffer
      - .offset:         8
        .size:           2720
        .value_kind:     by_value
      - .offset:         2728
        .size:           32
        .value_kind:     by_value
      - .offset:         2760
        .size:           4
        .value_kind:     by_value
      - .offset:         2764
        .size:           4
        .value_kind:     by_value
      - .offset:         2768
        .size:           4
        .value_kind:     hidden_block_count_x
      - .offset:         2772
        .size:           4
        .value_kind:     hidden_block_count_y
      - .offset:         2776
        .size:           4
        .value_kind:     hidden_block_count_z
      - .offset:         2780
        .size:           2
        .value_kind:     hidden_group_size_x
      - .offset:         2782
        .size:           2
        .value_kind:     hidden_group_size_y
      - .offset:         2784
        .size:           2
        .value_kind:     hidden_group_size_z
      - .offset:         2786
        .size:           2
        .value_kind:     hidden_remainder_x
      - .offset:         2788
        .size:           2
        .value_kind:     hidden_remainder_y
      - .offset:         2790
        .size:           2
        .value_kind:     hidden_remainder_z
      - .offset:         2808
        .size:           8
        .value_kind:     hidden_global_offset_x
      - .offset:         2816
        .size:           8
        .value_kind:     hidden_global_offset_y
      - .offset:         2824
        .size:           8
        .value_kind:     hidden_global_offset_z
      - .offset:         2832
        .size:           2
        .value_kind:     hidden_grid_dims
    .group_segment_fixed_size: 0
    .kernarg_segment_align: 8
    .kernarg_segment_size: 3024
    .language:       OpenCL C
    .language_version:
      - 2
      - 0
    .max_flat_workgroup_size: 1024
    .name:           _ZN2at6native12_GLOBAL__N_119CatArrayBatchedCopyINS1_10OpaqueTypeILj1EEEjLi3ELi128ELi1EEEvPT_NS1_25CatArrInputTensorMetadataIS5_T0_XT2_EXT3_EEENS1_16TensorSizeStrideIS8_Lj4EEEiS8_
    .private_segment_fixed_size: 0
    .sgpr_count:     30
    .sgpr_spill_count: 0
    .symbol:         _ZN2at6native12_GLOBAL__N_119CatArrayBatchedCopyINS1_10OpaqueTypeILj1EEEjLi3ELi128ELi1EEEvPT_NS1_25CatArrInputTensorMetadataIS5_T0_XT2_EXT3_EEENS1_16TensorSizeStrideIS8_Lj4EEEiS8_.kd
    .uniform_work_group_size: 1
    .uses_dynamic_stack: false
    .vgpr_count:     12
    .vgpr_spill_count: 0
    .wavefront_size: 32
    .workgroup_processor_mode: 1
  - .args:
      - .address_space:  global
        .offset:         0
        .size:           8
        .value_kind:     global_buffer
      - .offset:         8
        .size:           2720
        .value_kind:     by_value
      - .offset:         2728
        .size:           32
        .value_kind:     by_value
      - .offset:         2760
        .size:           4
        .value_kind:     by_value
      - .offset:         2764
        .size:           4
        .value_kind:     by_value
      - .offset:         2768
        .size:           4
        .value_kind:     hidden_block_count_x
      - .offset:         2772
        .size:           4
        .value_kind:     hidden_block_count_y
      - .offset:         2776
        .size:           4
        .value_kind:     hidden_block_count_z
      - .offset:         2780
        .size:           2
        .value_kind:     hidden_group_size_x
      - .offset:         2782
        .size:           2
        .value_kind:     hidden_group_size_y
      - .offset:         2784
        .size:           2
        .value_kind:     hidden_group_size_z
      - .offset:         2786
        .size:           2
        .value_kind:     hidden_remainder_x
      - .offset:         2788
        .size:           2
        .value_kind:     hidden_remainder_y
      - .offset:         2790
        .size:           2
        .value_kind:     hidden_remainder_z
      - .offset:         2808
        .size:           8
        .value_kind:     hidden_global_offset_x
      - .offset:         2816
        .size:           8
        .value_kind:     hidden_global_offset_y
      - .offset:         2824
        .size:           8
        .value_kind:     hidden_global_offset_z
      - .offset:         2832
        .size:           2
        .value_kind:     hidden_grid_dims
    .group_segment_fixed_size: 0
    .kernarg_segment_align: 8
    .kernarg_segment_size: 3024
    .language:       OpenCL C
    .language_version:
      - 2
      - 0
    .max_flat_workgroup_size: 1024
    .name:           _ZN2at6native12_GLOBAL__N_130CatArrayBatchedCopy_vectorizedINS1_10OpaqueTypeILj1EEEjLi4ELi128ELi1ELi16ELi16EEEvPcNS1_25CatArrInputTensorMetadataIT_T0_XT2_EXT3_EEENS1_16TensorSizeStrideIS8_Lj4EEEiS8_
    .private_segment_fixed_size: 0
    .sgpr_count:     22
    .sgpr_spill_count: 0
    .symbol:         _ZN2at6native12_GLOBAL__N_130CatArrayBatchedCopy_vectorizedINS1_10OpaqueTypeILj1EEEjLi4ELi128ELi1ELi16ELi16EEEvPcNS1_25CatArrInputTensorMetadataIT_T0_XT2_EXT3_EEENS1_16TensorSizeStrideIS8_Lj4EEEiS8_.kd
    .uniform_work_group_size: 1
    .uses_dynamic_stack: false
    .vgpr_count:     16
    .vgpr_spill_count: 0
    .wavefront_size: 32
    .workgroup_processor_mode: 1
  - .args:
      - .address_space:  global
        .offset:         0
        .size:           8
        .value_kind:     global_buffer
      - .offset:         8
        .size:           2720
        .value_kind:     by_value
      - .offset:         2728
        .size:           32
        .value_kind:     by_value
      - .offset:         2760
        .size:           4
        .value_kind:     by_value
      - .offset:         2764
        .size:           4
        .value_kind:     by_value
      - .offset:         2768
        .size:           4
        .value_kind:     hidden_block_count_x
      - .offset:         2772
        .size:           4
        .value_kind:     hidden_block_count_y
      - .offset:         2776
        .size:           4
        .value_kind:     hidden_block_count_z
      - .offset:         2780
        .size:           2
        .value_kind:     hidden_group_size_x
      - .offset:         2782
        .size:           2
        .value_kind:     hidden_group_size_y
      - .offset:         2784
        .size:           2
        .value_kind:     hidden_group_size_z
      - .offset:         2786
        .size:           2
        .value_kind:     hidden_remainder_x
      - .offset:         2788
        .size:           2
        .value_kind:     hidden_remainder_y
      - .offset:         2790
        .size:           2
        .value_kind:     hidden_remainder_z
      - .offset:         2808
        .size:           8
        .value_kind:     hidden_global_offset_x
      - .offset:         2816
        .size:           8
        .value_kind:     hidden_global_offset_y
      - .offset:         2824
        .size:           8
        .value_kind:     hidden_global_offset_z
      - .offset:         2832
        .size:           2
        .value_kind:     hidden_grid_dims
    .group_segment_fixed_size: 0
    .kernarg_segment_align: 8
    .kernarg_segment_size: 3024
    .language:       OpenCL C
    .language_version:
      - 2
      - 0
    .max_flat_workgroup_size: 1024
    .name:           _ZN2at6native12_GLOBAL__N_135CatArrayBatchedCopy_alignedK_contigINS1_10OpaqueTypeILj1EEEjLi4ELi128ELi1ELi16EEEvPT_NS1_25CatArrInputTensorMetadataIS5_T0_XT2_EXT3_EEENS1_16TensorSizeStrideIS8_Lj4EEEiS8_
    .private_segment_fixed_size: 0
    .sgpr_count:     27
    .sgpr_spill_count: 0
    .symbol:         _ZN2at6native12_GLOBAL__N_135CatArrayBatchedCopy_alignedK_contigINS1_10OpaqueTypeILj1EEEjLi4ELi128ELi1ELi16EEEvPT_NS1_25CatArrInputTensorMetadataIS5_T0_XT2_EXT3_EEENS1_16TensorSizeStrideIS8_Lj4EEEiS8_.kd
    .uniform_work_group_size: 1
    .uses_dynamic_stack: false
    .vgpr_count:     50
    .vgpr_spill_count: 0
    .wavefront_size: 32
    .workgroup_processor_mode: 1
  - .args:
      - .address_space:  global
        .offset:         0
        .size:           8
        .value_kind:     global_buffer
      - .offset:         8
        .size:           2720
        .value_kind:     by_value
      - .offset:         2728
        .size:           32
        .value_kind:     by_value
      - .offset:         2760
        .size:           4
        .value_kind:     by_value
      - .offset:         2764
        .size:           4
        .value_kind:     by_value
      - .offset:         2768
        .size:           4
        .value_kind:     hidden_block_count_x
      - .offset:         2772
        .size:           4
        .value_kind:     hidden_block_count_y
      - .offset:         2776
        .size:           4
        .value_kind:     hidden_block_count_z
      - .offset:         2780
        .size:           2
        .value_kind:     hidden_group_size_x
      - .offset:         2782
        .size:           2
        .value_kind:     hidden_group_size_y
      - .offset:         2784
        .size:           2
        .value_kind:     hidden_group_size_z
      - .offset:         2786
        .size:           2
        .value_kind:     hidden_remainder_x
      - .offset:         2788
        .size:           2
        .value_kind:     hidden_remainder_y
      - .offset:         2790
        .size:           2
        .value_kind:     hidden_remainder_z
      - .offset:         2808
        .size:           8
        .value_kind:     hidden_global_offset_x
      - .offset:         2816
        .size:           8
        .value_kind:     hidden_global_offset_y
      - .offset:         2824
        .size:           8
        .value_kind:     hidden_global_offset_z
      - .offset:         2832
        .size:           2
        .value_kind:     hidden_grid_dims
    .group_segment_fixed_size: 0
    .kernarg_segment_align: 8
    .kernarg_segment_size: 3024
    .language:       OpenCL C
    .language_version:
      - 2
      - 0
    .max_flat_workgroup_size: 1024
    .name:           _ZN2at6native12_GLOBAL__N_135CatArrayBatchedCopy_alignedK_contigINS1_10OpaqueTypeILj1EEEjLi4ELi128ELi1ELi8EEEvPT_NS1_25CatArrInputTensorMetadataIS5_T0_XT2_EXT3_EEENS1_16TensorSizeStrideIS8_Lj4EEEiS8_
    .private_segment_fixed_size: 0
    .sgpr_count:     27
    .sgpr_spill_count: 0
    .symbol:         _ZN2at6native12_GLOBAL__N_135CatArrayBatchedCopy_alignedK_contigINS1_10OpaqueTypeILj1EEEjLi4ELi128ELi1ELi8EEEvPT_NS1_25CatArrInputTensorMetadataIS5_T0_XT2_EXT3_EEENS1_16TensorSizeStrideIS8_Lj4EEEiS8_.kd
    .uniform_work_group_size: 1
    .uses_dynamic_stack: false
    .vgpr_count:     31
    .vgpr_spill_count: 0
    .wavefront_size: 32
    .workgroup_processor_mode: 1
  - .args:
      - .address_space:  global
        .offset:         0
        .size:           8
        .value_kind:     global_buffer
      - .offset:         8
        .size:           2720
        .value_kind:     by_value
      - .offset:         2728
        .size:           32
        .value_kind:     by_value
      - .offset:         2760
        .size:           4
        .value_kind:     by_value
      - .offset:         2764
        .size:           4
        .value_kind:     by_value
      - .offset:         2768
        .size:           4
        .value_kind:     hidden_block_count_x
      - .offset:         2772
        .size:           4
        .value_kind:     hidden_block_count_y
      - .offset:         2776
        .size:           4
        .value_kind:     hidden_block_count_z
      - .offset:         2780
        .size:           2
        .value_kind:     hidden_group_size_x
      - .offset:         2782
        .size:           2
        .value_kind:     hidden_group_size_y
      - .offset:         2784
        .size:           2
        .value_kind:     hidden_group_size_z
      - .offset:         2786
        .size:           2
        .value_kind:     hidden_remainder_x
      - .offset:         2788
        .size:           2
        .value_kind:     hidden_remainder_y
      - .offset:         2790
        .size:           2
        .value_kind:     hidden_remainder_z
      - .offset:         2808
        .size:           8
        .value_kind:     hidden_global_offset_x
      - .offset:         2816
        .size:           8
        .value_kind:     hidden_global_offset_y
      - .offset:         2824
        .size:           8
        .value_kind:     hidden_global_offset_z
      - .offset:         2832
        .size:           2
        .value_kind:     hidden_grid_dims
    .group_segment_fixed_size: 0
    .kernarg_segment_align: 8
    .kernarg_segment_size: 3024
    .language:       OpenCL C
    .language_version:
      - 2
      - 0
    .max_flat_workgroup_size: 1024
    .name:           _ZN2at6native12_GLOBAL__N_126CatArrayBatchedCopy_contigINS1_10OpaqueTypeILj1EEEjLi4ELi128ELi1EEEvPT_NS1_25CatArrInputTensorMetadataIS5_T0_XT2_EXT3_EEENS1_16TensorSizeStrideIS8_Lj4EEEiS8_
    .private_segment_fixed_size: 0
    .sgpr_count:     24
    .sgpr_spill_count: 0
    .symbol:         _ZN2at6native12_GLOBAL__N_126CatArrayBatchedCopy_contigINS1_10OpaqueTypeILj1EEEjLi4ELi128ELi1EEEvPT_NS1_25CatArrInputTensorMetadataIS5_T0_XT2_EXT3_EEENS1_16TensorSizeStrideIS8_Lj4EEEiS8_.kd
    .uniform_work_group_size: 1
    .uses_dynamic_stack: false
    .vgpr_count:     11
    .vgpr_spill_count: 0
    .wavefront_size: 32
    .workgroup_processor_mode: 1
  - .args:
      - .address_space:  global
        .offset:         0
        .size:           8
        .value_kind:     global_buffer
      - .offset:         8
        .size:           2720
        .value_kind:     by_value
      - .offset:         2728
        .size:           32
        .value_kind:     by_value
      - .offset:         2760
        .size:           4
        .value_kind:     by_value
      - .offset:         2764
        .size:           4
        .value_kind:     by_value
      - .offset:         2768
        .size:           4
        .value_kind:     hidden_block_count_x
      - .offset:         2772
        .size:           4
        .value_kind:     hidden_block_count_y
      - .offset:         2776
        .size:           4
        .value_kind:     hidden_block_count_z
      - .offset:         2780
        .size:           2
        .value_kind:     hidden_group_size_x
      - .offset:         2782
        .size:           2
        .value_kind:     hidden_group_size_y
      - .offset:         2784
        .size:           2
        .value_kind:     hidden_group_size_z
      - .offset:         2786
        .size:           2
        .value_kind:     hidden_remainder_x
      - .offset:         2788
        .size:           2
        .value_kind:     hidden_remainder_y
      - .offset:         2790
        .size:           2
        .value_kind:     hidden_remainder_z
      - .offset:         2808
        .size:           8
        .value_kind:     hidden_global_offset_x
      - .offset:         2816
        .size:           8
        .value_kind:     hidden_global_offset_y
      - .offset:         2824
        .size:           8
        .value_kind:     hidden_global_offset_z
      - .offset:         2832
        .size:           2
        .value_kind:     hidden_grid_dims
    .group_segment_fixed_size: 0
    .kernarg_segment_align: 8
    .kernarg_segment_size: 3024
    .language:       OpenCL C
    .language_version:
      - 2
      - 0
    .max_flat_workgroup_size: 1024
    .name:           _ZN2at6native12_GLOBAL__N_119CatArrayBatchedCopyINS1_10OpaqueTypeILj1EEEjLi4ELi128ELi1EEEvPT_NS1_25CatArrInputTensorMetadataIS5_T0_XT2_EXT3_EEENS1_16TensorSizeStrideIS8_Lj4EEEiS8_
    .private_segment_fixed_size: 0
    .sgpr_count:     42
    .sgpr_spill_count: 0
    .symbol:         _ZN2at6native12_GLOBAL__N_119CatArrayBatchedCopyINS1_10OpaqueTypeILj1EEEjLi4ELi128ELi1EEEvPT_NS1_25CatArrInputTensorMetadataIS5_T0_XT2_EXT3_EEENS1_16TensorSizeStrideIS8_Lj4EEEiS8_.kd
    .uniform_work_group_size: 1
    .uses_dynamic_stack: false
    .vgpr_count:     17
    .vgpr_spill_count: 0
    .wavefront_size: 32
    .workgroup_processor_mode: 1
  - .args:
      - .address_space:  global
        .offset:         0
        .size:           8
        .value_kind:     global_buffer
      - .offset:         8
        .size:           2720
        .value_kind:     by_value
      - .offset:         2728
        .size:           32
        .value_kind:     by_value
      - .offset:         2760
        .size:           4
        .value_kind:     by_value
      - .offset:         2764
        .size:           4
        .value_kind:     by_value
      - .offset:         2768
        .size:           4
        .value_kind:     hidden_block_count_x
      - .offset:         2772
        .size:           4
        .value_kind:     hidden_block_count_y
      - .offset:         2776
        .size:           4
        .value_kind:     hidden_block_count_z
      - .offset:         2780
        .size:           2
        .value_kind:     hidden_group_size_x
      - .offset:         2782
        .size:           2
        .value_kind:     hidden_group_size_y
      - .offset:         2784
        .size:           2
        .value_kind:     hidden_group_size_z
      - .offset:         2786
        .size:           2
        .value_kind:     hidden_remainder_x
      - .offset:         2788
        .size:           2
        .value_kind:     hidden_remainder_y
      - .offset:         2790
        .size:           2
        .value_kind:     hidden_remainder_z
      - .offset:         2808
        .size:           8
        .value_kind:     hidden_global_offset_x
      - .offset:         2816
        .size:           8
        .value_kind:     hidden_global_offset_y
      - .offset:         2824
        .size:           8
        .value_kind:     hidden_global_offset_z
      - .offset:         2832
        .size:           2
        .value_kind:     hidden_grid_dims
    .group_segment_fixed_size: 0
    .kernarg_segment_align: 8
    .kernarg_segment_size: 3024
    .language:       OpenCL C
    .language_version:
      - 2
      - 0
    .max_flat_workgroup_size: 1024
    .name:           _ZN2at6native12_GLOBAL__N_130CatArrayBatchedCopy_vectorizedINS1_10OpaqueTypeILj2EEEjLi1ELi128ELi1ELi16ELi8EEEvPcNS1_25CatArrInputTensorMetadataIT_T0_XT2_EXT3_EEENS1_16TensorSizeStrideIS8_Lj4EEEiS8_
    .private_segment_fixed_size: 0
    .sgpr_count:     16
    .sgpr_spill_count: 0
    .symbol:         _ZN2at6native12_GLOBAL__N_130CatArrayBatchedCopy_vectorizedINS1_10OpaqueTypeILj2EEEjLi1ELi128ELi1ELi16ELi8EEEvPcNS1_25CatArrInputTensorMetadataIT_T0_XT2_EXT3_EEENS1_16TensorSizeStrideIS8_Lj4EEEiS8_.kd
    .uniform_work_group_size: 1
    .uses_dynamic_stack: false
    .vgpr_count:     10
    .vgpr_spill_count: 0
    .wavefront_size: 32
    .workgroup_processor_mode: 1
  - .args:
      - .address_space:  global
        .offset:         0
        .size:           8
        .value_kind:     global_buffer
      - .offset:         8
        .size:           2720
        .value_kind:     by_value
      - .offset:         2728
        .size:           32
        .value_kind:     by_value
      - .offset:         2760
        .size:           4
        .value_kind:     by_value
      - .offset:         2764
        .size:           4
        .value_kind:     by_value
      - .offset:         2768
        .size:           4
        .value_kind:     hidden_block_count_x
      - .offset:         2772
        .size:           4
        .value_kind:     hidden_block_count_y
      - .offset:         2776
        .size:           4
        .value_kind:     hidden_block_count_z
      - .offset:         2780
        .size:           2
        .value_kind:     hidden_group_size_x
      - .offset:         2782
        .size:           2
        .value_kind:     hidden_group_size_y
      - .offset:         2784
        .size:           2
        .value_kind:     hidden_group_size_z
      - .offset:         2786
        .size:           2
        .value_kind:     hidden_remainder_x
      - .offset:         2788
        .size:           2
        .value_kind:     hidden_remainder_y
      - .offset:         2790
        .size:           2
        .value_kind:     hidden_remainder_z
      - .offset:         2808
        .size:           8
        .value_kind:     hidden_global_offset_x
      - .offset:         2816
        .size:           8
        .value_kind:     hidden_global_offset_y
      - .offset:         2824
        .size:           8
        .value_kind:     hidden_global_offset_z
      - .offset:         2832
        .size:           2
        .value_kind:     hidden_grid_dims
    .group_segment_fixed_size: 0
    .kernarg_segment_align: 8
    .kernarg_segment_size: 3024
    .language:       OpenCL C
    .language_version:
      - 2
      - 0
    .max_flat_workgroup_size: 1024
    .name:           _ZN2at6native12_GLOBAL__N_135CatArrayBatchedCopy_alignedK_contigINS1_10OpaqueTypeILj2EEEjLi1ELi128ELi1ELi16EEEvPT_NS1_25CatArrInputTensorMetadataIS5_T0_XT2_EXT3_EEENS1_16TensorSizeStrideIS8_Lj4EEEiS8_
    .private_segment_fixed_size: 0
    .sgpr_count:     16
    .sgpr_spill_count: 0
    .symbol:         _ZN2at6native12_GLOBAL__N_135CatArrayBatchedCopy_alignedK_contigINS1_10OpaqueTypeILj2EEEjLi1ELi128ELi1ELi16EEEvPT_NS1_25CatArrInputTensorMetadataIS5_T0_XT2_EXT3_EEENS1_16TensorSizeStrideIS8_Lj4EEEiS8_.kd
    .uniform_work_group_size: 1
    .uses_dynamic_stack: false
    .vgpr_count:     31
    .vgpr_spill_count: 0
    .wavefront_size: 32
    .workgroup_processor_mode: 1
  - .args:
      - .address_space:  global
        .offset:         0
        .size:           8
        .value_kind:     global_buffer
      - .offset:         8
        .size:           2720
        .value_kind:     by_value
      - .offset:         2728
        .size:           32
        .value_kind:     by_value
      - .offset:         2760
        .size:           4
        .value_kind:     by_value
      - .offset:         2764
        .size:           4
        .value_kind:     by_value
      - .offset:         2768
        .size:           4
        .value_kind:     hidden_block_count_x
      - .offset:         2772
        .size:           4
        .value_kind:     hidden_block_count_y
      - .offset:         2776
        .size:           4
        .value_kind:     hidden_block_count_z
      - .offset:         2780
        .size:           2
        .value_kind:     hidden_group_size_x
      - .offset:         2782
        .size:           2
        .value_kind:     hidden_group_size_y
      - .offset:         2784
        .size:           2
        .value_kind:     hidden_group_size_z
      - .offset:         2786
        .size:           2
        .value_kind:     hidden_remainder_x
      - .offset:         2788
        .size:           2
        .value_kind:     hidden_remainder_y
      - .offset:         2790
        .size:           2
        .value_kind:     hidden_remainder_z
      - .offset:         2808
        .size:           8
        .value_kind:     hidden_global_offset_x
      - .offset:         2816
        .size:           8
        .value_kind:     hidden_global_offset_y
      - .offset:         2824
        .size:           8
        .value_kind:     hidden_global_offset_z
      - .offset:         2832
        .size:           2
        .value_kind:     hidden_grid_dims
    .group_segment_fixed_size: 0
    .kernarg_segment_align: 8
    .kernarg_segment_size: 3024
    .language:       OpenCL C
    .language_version:
      - 2
      - 0
    .max_flat_workgroup_size: 1024
    .name:           _ZN2at6native12_GLOBAL__N_135CatArrayBatchedCopy_alignedK_contigINS1_10OpaqueTypeILj2EEEjLi1ELi128ELi1ELi8EEEvPT_NS1_25CatArrInputTensorMetadataIS5_T0_XT2_EXT3_EEENS1_16TensorSizeStrideIS8_Lj4EEEiS8_
    .private_segment_fixed_size: 0
    .sgpr_count:     16
    .sgpr_spill_count: 0
    .symbol:         _ZN2at6native12_GLOBAL__N_135CatArrayBatchedCopy_alignedK_contigINS1_10OpaqueTypeILj2EEEjLi1ELi128ELi1ELi8EEEvPT_NS1_25CatArrInputTensorMetadataIS5_T0_XT2_EXT3_EEENS1_16TensorSizeStrideIS8_Lj4EEEiS8_.kd
    .uniform_work_group_size: 1
    .uses_dynamic_stack: false
    .vgpr_count:     17
    .vgpr_spill_count: 0
    .wavefront_size: 32
    .workgroup_processor_mode: 1
  - .args:
      - .address_space:  global
        .offset:         0
        .size:           8
        .value_kind:     global_buffer
      - .offset:         8
        .size:           2720
        .value_kind:     by_value
      - .offset:         2728
        .size:           32
        .value_kind:     by_value
      - .offset:         2760
        .size:           4
        .value_kind:     by_value
      - .offset:         2764
        .size:           4
        .value_kind:     by_value
      - .offset:         2768
        .size:           4
        .value_kind:     hidden_block_count_x
      - .offset:         2772
        .size:           4
        .value_kind:     hidden_block_count_y
      - .offset:         2776
        .size:           4
        .value_kind:     hidden_block_count_z
      - .offset:         2780
        .size:           2
        .value_kind:     hidden_group_size_x
      - .offset:         2782
        .size:           2
        .value_kind:     hidden_group_size_y
      - .offset:         2784
        .size:           2
        .value_kind:     hidden_group_size_z
      - .offset:         2786
        .size:           2
        .value_kind:     hidden_remainder_x
      - .offset:         2788
        .size:           2
        .value_kind:     hidden_remainder_y
      - .offset:         2790
        .size:           2
        .value_kind:     hidden_remainder_z
      - .offset:         2808
        .size:           8
        .value_kind:     hidden_global_offset_x
      - .offset:         2816
        .size:           8
        .value_kind:     hidden_global_offset_y
      - .offset:         2824
        .size:           8
        .value_kind:     hidden_global_offset_z
      - .offset:         2832
        .size:           2
        .value_kind:     hidden_grid_dims
    .group_segment_fixed_size: 0
    .kernarg_segment_align: 8
    .kernarg_segment_size: 3024
    .language:       OpenCL C
    .language_version:
      - 2
      - 0
    .max_flat_workgroup_size: 1024
    .name:           _ZN2at6native12_GLOBAL__N_126CatArrayBatchedCopy_contigINS1_10OpaqueTypeILj2EEEjLi1ELi128ELi1EEEvPT_NS1_25CatArrInputTensorMetadataIS5_T0_XT2_EXT3_EEENS1_16TensorSizeStrideIS8_Lj4EEEiS8_
    .private_segment_fixed_size: 0
    .sgpr_count:     17
    .sgpr_spill_count: 0
    .symbol:         _ZN2at6native12_GLOBAL__N_126CatArrayBatchedCopy_contigINS1_10OpaqueTypeILj2EEEjLi1ELi128ELi1EEEvPT_NS1_25CatArrInputTensorMetadataIS5_T0_XT2_EXT3_EEENS1_16TensorSizeStrideIS8_Lj4EEEiS8_.kd
    .uniform_work_group_size: 1
    .uses_dynamic_stack: false
    .vgpr_count:     6
    .vgpr_spill_count: 0
    .wavefront_size: 32
    .workgroup_processor_mode: 1
  - .args:
      - .address_space:  global
        .offset:         0
        .size:           8
        .value_kind:     global_buffer
      - .offset:         8
        .size:           2720
        .value_kind:     by_value
      - .offset:         2728
        .size:           32
        .value_kind:     by_value
      - .offset:         2760
        .size:           4
        .value_kind:     by_value
      - .offset:         2764
        .size:           4
        .value_kind:     by_value
      - .offset:         2768
        .size:           4
        .value_kind:     hidden_block_count_x
      - .offset:         2772
        .size:           4
        .value_kind:     hidden_block_count_y
      - .offset:         2776
        .size:           4
        .value_kind:     hidden_block_count_z
      - .offset:         2780
        .size:           2
        .value_kind:     hidden_group_size_x
      - .offset:         2782
        .size:           2
        .value_kind:     hidden_group_size_y
      - .offset:         2784
        .size:           2
        .value_kind:     hidden_group_size_z
      - .offset:         2786
        .size:           2
        .value_kind:     hidden_remainder_x
      - .offset:         2788
        .size:           2
        .value_kind:     hidden_remainder_y
      - .offset:         2790
        .size:           2
        .value_kind:     hidden_remainder_z
      - .offset:         2808
        .size:           8
        .value_kind:     hidden_global_offset_x
      - .offset:         2816
        .size:           8
        .value_kind:     hidden_global_offset_y
      - .offset:         2824
        .size:           8
        .value_kind:     hidden_global_offset_z
      - .offset:         2832
        .size:           2
        .value_kind:     hidden_grid_dims
    .group_segment_fixed_size: 0
    .kernarg_segment_align: 8
    .kernarg_segment_size: 3024
    .language:       OpenCL C
    .language_version:
      - 2
      - 0
    .max_flat_workgroup_size: 1024
    .name:           _ZN2at6native12_GLOBAL__N_119CatArrayBatchedCopyINS1_10OpaqueTypeILj2EEEjLi1ELi128ELi1EEEvPT_NS1_25CatArrInputTensorMetadataIS5_T0_XT2_EXT3_EEENS1_16TensorSizeStrideIS8_Lj4EEEiS8_
    .private_segment_fixed_size: 0
    .sgpr_count:     20
    .sgpr_spill_count: 0
    .symbol:         _ZN2at6native12_GLOBAL__N_119CatArrayBatchedCopyINS1_10OpaqueTypeILj2EEEjLi1ELi128ELi1EEEvPT_NS1_25CatArrInputTensorMetadataIS5_T0_XT2_EXT3_EEENS1_16TensorSizeStrideIS8_Lj4EEEiS8_.kd
    .uniform_work_group_size: 1
    .uses_dynamic_stack: false
    .vgpr_count:     7
    .vgpr_spill_count: 0
    .wavefront_size: 32
    .workgroup_processor_mode: 1
  - .args:
      - .address_space:  global
        .offset:         0
        .size:           8
        .value_kind:     global_buffer
      - .offset:         8
        .size:           2720
        .value_kind:     by_value
      - .offset:         2728
        .size:           32
        .value_kind:     by_value
      - .offset:         2760
        .size:           4
        .value_kind:     by_value
      - .offset:         2764
        .size:           4
        .value_kind:     by_value
      - .offset:         2768
        .size:           4
        .value_kind:     hidden_block_count_x
      - .offset:         2772
        .size:           4
        .value_kind:     hidden_block_count_y
      - .offset:         2776
        .size:           4
        .value_kind:     hidden_block_count_z
      - .offset:         2780
        .size:           2
        .value_kind:     hidden_group_size_x
      - .offset:         2782
        .size:           2
        .value_kind:     hidden_group_size_y
      - .offset:         2784
        .size:           2
        .value_kind:     hidden_group_size_z
      - .offset:         2786
        .size:           2
        .value_kind:     hidden_remainder_x
      - .offset:         2788
        .size:           2
        .value_kind:     hidden_remainder_y
      - .offset:         2790
        .size:           2
        .value_kind:     hidden_remainder_z
      - .offset:         2808
        .size:           8
        .value_kind:     hidden_global_offset_x
      - .offset:         2816
        .size:           8
        .value_kind:     hidden_global_offset_y
      - .offset:         2824
        .size:           8
        .value_kind:     hidden_global_offset_z
      - .offset:         2832
        .size:           2
        .value_kind:     hidden_grid_dims
    .group_segment_fixed_size: 0
    .kernarg_segment_align: 8
    .kernarg_segment_size: 3024
    .language:       OpenCL C
    .language_version:
      - 2
      - 0
    .max_flat_workgroup_size: 1024
    .name:           _ZN2at6native12_GLOBAL__N_130CatArrayBatchedCopy_vectorizedINS1_10OpaqueTypeILj2EEEjLi2ELi128ELi1ELi16ELi8EEEvPcNS1_25CatArrInputTensorMetadataIT_T0_XT2_EXT3_EEENS1_16TensorSizeStrideIS8_Lj4EEEiS8_
    .private_segment_fixed_size: 0
    .sgpr_count:     20
    .sgpr_spill_count: 0
    .symbol:         _ZN2at6native12_GLOBAL__N_130CatArrayBatchedCopy_vectorizedINS1_10OpaqueTypeILj2EEEjLi2ELi128ELi1ELi16ELi8EEEvPcNS1_25CatArrInputTensorMetadataIT_T0_XT2_EXT3_EEENS1_16TensorSizeStrideIS8_Lj4EEEiS8_.kd
    .uniform_work_group_size: 1
    .uses_dynamic_stack: false
    .vgpr_count:     12
    .vgpr_spill_count: 0
    .wavefront_size: 32
    .workgroup_processor_mode: 1
  - .args:
      - .address_space:  global
        .offset:         0
        .size:           8
        .value_kind:     global_buffer
      - .offset:         8
        .size:           2720
        .value_kind:     by_value
      - .offset:         2728
        .size:           32
        .value_kind:     by_value
      - .offset:         2760
        .size:           4
        .value_kind:     by_value
      - .offset:         2764
        .size:           4
        .value_kind:     by_value
      - .offset:         2768
        .size:           4
        .value_kind:     hidden_block_count_x
      - .offset:         2772
        .size:           4
        .value_kind:     hidden_block_count_y
      - .offset:         2776
        .size:           4
        .value_kind:     hidden_block_count_z
      - .offset:         2780
        .size:           2
        .value_kind:     hidden_group_size_x
      - .offset:         2782
        .size:           2
        .value_kind:     hidden_group_size_y
      - .offset:         2784
        .size:           2
        .value_kind:     hidden_group_size_z
      - .offset:         2786
        .size:           2
        .value_kind:     hidden_remainder_x
      - .offset:         2788
        .size:           2
        .value_kind:     hidden_remainder_y
      - .offset:         2790
        .size:           2
        .value_kind:     hidden_remainder_z
      - .offset:         2808
        .size:           8
        .value_kind:     hidden_global_offset_x
      - .offset:         2816
        .size:           8
        .value_kind:     hidden_global_offset_y
      - .offset:         2824
        .size:           8
        .value_kind:     hidden_global_offset_z
      - .offset:         2832
        .size:           2
        .value_kind:     hidden_grid_dims
    .group_segment_fixed_size: 0
    .kernarg_segment_align: 8
    .kernarg_segment_size: 3024
    .language:       OpenCL C
    .language_version:
      - 2
      - 0
    .max_flat_workgroup_size: 1024
    .name:           _ZN2at6native12_GLOBAL__N_135CatArrayBatchedCopy_alignedK_contigINS1_10OpaqueTypeILj2EEEjLi2ELi128ELi1ELi16EEEvPT_NS1_25CatArrInputTensorMetadataIS5_T0_XT2_EXT3_EEENS1_16TensorSizeStrideIS8_Lj4EEEiS8_
    .private_segment_fixed_size: 0
    .sgpr_count:     25
    .sgpr_spill_count: 0
    .symbol:         _ZN2at6native12_GLOBAL__N_135CatArrayBatchedCopy_alignedK_contigINS1_10OpaqueTypeILj2EEEjLi2ELi128ELi1ELi16EEEvPT_NS1_25CatArrInputTensorMetadataIS5_T0_XT2_EXT3_EEENS1_16TensorSizeStrideIS8_Lj4EEEiS8_.kd
    .uniform_work_group_size: 1
    .uses_dynamic_stack: false
    .vgpr_count:     47
    .vgpr_spill_count: 0
    .wavefront_size: 32
    .workgroup_processor_mode: 1
  - .args:
      - .address_space:  global
        .offset:         0
        .size:           8
        .value_kind:     global_buffer
      - .offset:         8
        .size:           2720
        .value_kind:     by_value
      - .offset:         2728
        .size:           32
        .value_kind:     by_value
      - .offset:         2760
        .size:           4
        .value_kind:     by_value
      - .offset:         2764
        .size:           4
        .value_kind:     by_value
      - .offset:         2768
        .size:           4
        .value_kind:     hidden_block_count_x
      - .offset:         2772
        .size:           4
        .value_kind:     hidden_block_count_y
      - .offset:         2776
        .size:           4
        .value_kind:     hidden_block_count_z
      - .offset:         2780
        .size:           2
        .value_kind:     hidden_group_size_x
      - .offset:         2782
        .size:           2
        .value_kind:     hidden_group_size_y
      - .offset:         2784
        .size:           2
        .value_kind:     hidden_group_size_z
      - .offset:         2786
        .size:           2
        .value_kind:     hidden_remainder_x
      - .offset:         2788
        .size:           2
        .value_kind:     hidden_remainder_y
      - .offset:         2790
        .size:           2
        .value_kind:     hidden_remainder_z
      - .offset:         2808
        .size:           8
        .value_kind:     hidden_global_offset_x
      - .offset:         2816
        .size:           8
        .value_kind:     hidden_global_offset_y
      - .offset:         2824
        .size:           8
        .value_kind:     hidden_global_offset_z
      - .offset:         2832
        .size:           2
        .value_kind:     hidden_grid_dims
    .group_segment_fixed_size: 0
    .kernarg_segment_align: 8
    .kernarg_segment_size: 3024
    .language:       OpenCL C
    .language_version:
      - 2
      - 0
    .max_flat_workgroup_size: 1024
    .name:           _ZN2at6native12_GLOBAL__N_135CatArrayBatchedCopy_alignedK_contigINS1_10OpaqueTypeILj2EEEjLi2ELi128ELi1ELi8EEEvPT_NS1_25CatArrInputTensorMetadataIS5_T0_XT2_EXT3_EEENS1_16TensorSizeStrideIS8_Lj4EEEiS8_
    .private_segment_fixed_size: 0
    .sgpr_count:     22
    .sgpr_spill_count: 0
    .symbol:         _ZN2at6native12_GLOBAL__N_135CatArrayBatchedCopy_alignedK_contigINS1_10OpaqueTypeILj2EEEjLi2ELi128ELi1ELi8EEEvPT_NS1_25CatArrInputTensorMetadataIS5_T0_XT2_EXT3_EEENS1_16TensorSizeStrideIS8_Lj4EEEiS8_.kd
    .uniform_work_group_size: 1
    .uses_dynamic_stack: false
    .vgpr_count:     31
    .vgpr_spill_count: 0
    .wavefront_size: 32
    .workgroup_processor_mode: 1
  - .args:
      - .address_space:  global
        .offset:         0
        .size:           8
        .value_kind:     global_buffer
      - .offset:         8
        .size:           2720
        .value_kind:     by_value
      - .offset:         2728
        .size:           32
        .value_kind:     by_value
      - .offset:         2760
        .size:           4
        .value_kind:     by_value
      - .offset:         2764
        .size:           4
        .value_kind:     by_value
      - .offset:         2768
        .size:           4
        .value_kind:     hidden_block_count_x
      - .offset:         2772
        .size:           4
        .value_kind:     hidden_block_count_y
      - .offset:         2776
        .size:           4
        .value_kind:     hidden_block_count_z
      - .offset:         2780
        .size:           2
        .value_kind:     hidden_group_size_x
      - .offset:         2782
        .size:           2
        .value_kind:     hidden_group_size_y
      - .offset:         2784
        .size:           2
        .value_kind:     hidden_group_size_z
      - .offset:         2786
        .size:           2
        .value_kind:     hidden_remainder_x
      - .offset:         2788
        .size:           2
        .value_kind:     hidden_remainder_y
      - .offset:         2790
        .size:           2
        .value_kind:     hidden_remainder_z
      - .offset:         2808
        .size:           8
        .value_kind:     hidden_global_offset_x
      - .offset:         2816
        .size:           8
        .value_kind:     hidden_global_offset_y
      - .offset:         2824
        .size:           8
        .value_kind:     hidden_global_offset_z
      - .offset:         2832
        .size:           2
        .value_kind:     hidden_grid_dims
    .group_segment_fixed_size: 0
    .kernarg_segment_align: 8
    .kernarg_segment_size: 3024
    .language:       OpenCL C
    .language_version:
      - 2
      - 0
    .max_flat_workgroup_size: 1024
    .name:           _ZN2at6native12_GLOBAL__N_126CatArrayBatchedCopy_contigINS1_10OpaqueTypeILj2EEEjLi2ELi128ELi1EEEvPT_NS1_25CatArrInputTensorMetadataIS5_T0_XT2_EXT3_EEENS1_16TensorSizeStrideIS8_Lj4EEEiS8_
    .private_segment_fixed_size: 0
    .sgpr_count:     19
    .sgpr_spill_count: 0
    .symbol:         _ZN2at6native12_GLOBAL__N_126CatArrayBatchedCopy_contigINS1_10OpaqueTypeILj2EEEjLi2ELi128ELi1EEEvPT_NS1_25CatArrInputTensorMetadataIS5_T0_XT2_EXT3_EEENS1_16TensorSizeStrideIS8_Lj4EEEiS8_.kd
    .uniform_work_group_size: 1
    .uses_dynamic_stack: false
    .vgpr_count:     9
    .vgpr_spill_count: 0
    .wavefront_size: 32
    .workgroup_processor_mode: 1
  - .args:
      - .address_space:  global
        .offset:         0
        .size:           8
        .value_kind:     global_buffer
      - .offset:         8
        .size:           2720
        .value_kind:     by_value
      - .offset:         2728
        .size:           32
        .value_kind:     by_value
      - .offset:         2760
        .size:           4
        .value_kind:     by_value
      - .offset:         2764
        .size:           4
        .value_kind:     by_value
      - .offset:         2768
        .size:           4
        .value_kind:     hidden_block_count_x
      - .offset:         2772
        .size:           4
        .value_kind:     hidden_block_count_y
      - .offset:         2776
        .size:           4
        .value_kind:     hidden_block_count_z
      - .offset:         2780
        .size:           2
        .value_kind:     hidden_group_size_x
      - .offset:         2782
        .size:           2
        .value_kind:     hidden_group_size_y
      - .offset:         2784
        .size:           2
        .value_kind:     hidden_group_size_z
      - .offset:         2786
        .size:           2
        .value_kind:     hidden_remainder_x
      - .offset:         2788
        .size:           2
        .value_kind:     hidden_remainder_y
      - .offset:         2790
        .size:           2
        .value_kind:     hidden_remainder_z
      - .offset:         2808
        .size:           8
        .value_kind:     hidden_global_offset_x
      - .offset:         2816
        .size:           8
        .value_kind:     hidden_global_offset_y
      - .offset:         2824
        .size:           8
        .value_kind:     hidden_global_offset_z
      - .offset:         2832
        .size:           2
        .value_kind:     hidden_grid_dims
    .group_segment_fixed_size: 0
    .kernarg_segment_align: 8
    .kernarg_segment_size: 3024
    .language:       OpenCL C
    .language_version:
      - 2
      - 0
    .max_flat_workgroup_size: 1024
    .name:           _ZN2at6native12_GLOBAL__N_119CatArrayBatchedCopyINS1_10OpaqueTypeILj2EEEjLi2ELi128ELi1EEEvPT_NS1_25CatArrInputTensorMetadataIS5_T0_XT2_EXT3_EEENS1_16TensorSizeStrideIS8_Lj4EEEiS8_
    .private_segment_fixed_size: 0
    .sgpr_count:     24
    .sgpr_spill_count: 0
    .symbol:         _ZN2at6native12_GLOBAL__N_119CatArrayBatchedCopyINS1_10OpaqueTypeILj2EEEjLi2ELi128ELi1EEEvPT_NS1_25CatArrInputTensorMetadataIS5_T0_XT2_EXT3_EEENS1_16TensorSizeStrideIS8_Lj4EEEiS8_.kd
    .uniform_work_group_size: 1
    .uses_dynamic_stack: false
    .vgpr_count:     10
    .vgpr_spill_count: 0
    .wavefront_size: 32
    .workgroup_processor_mode: 1
  - .args:
      - .address_space:  global
        .offset:         0
        .size:           8
        .value_kind:     global_buffer
      - .offset:         8
        .size:           2720
        .value_kind:     by_value
      - .offset:         2728
        .size:           32
        .value_kind:     by_value
      - .offset:         2760
        .size:           4
        .value_kind:     by_value
      - .offset:         2764
        .size:           4
        .value_kind:     by_value
      - .offset:         2768
        .size:           4
        .value_kind:     hidden_block_count_x
      - .offset:         2772
        .size:           4
        .value_kind:     hidden_block_count_y
      - .offset:         2776
        .size:           4
        .value_kind:     hidden_block_count_z
      - .offset:         2780
        .size:           2
        .value_kind:     hidden_group_size_x
      - .offset:         2782
        .size:           2
        .value_kind:     hidden_group_size_y
      - .offset:         2784
        .size:           2
        .value_kind:     hidden_group_size_z
      - .offset:         2786
        .size:           2
        .value_kind:     hidden_remainder_x
      - .offset:         2788
        .size:           2
        .value_kind:     hidden_remainder_y
      - .offset:         2790
        .size:           2
        .value_kind:     hidden_remainder_z
      - .offset:         2808
        .size:           8
        .value_kind:     hidden_global_offset_x
      - .offset:         2816
        .size:           8
        .value_kind:     hidden_global_offset_y
      - .offset:         2824
        .size:           8
        .value_kind:     hidden_global_offset_z
      - .offset:         2832
        .size:           2
        .value_kind:     hidden_grid_dims
    .group_segment_fixed_size: 0
    .kernarg_segment_align: 8
    .kernarg_segment_size: 3024
    .language:       OpenCL C
    .language_version:
      - 2
      - 0
    .max_flat_workgroup_size: 1024
    .name:           _ZN2at6native12_GLOBAL__N_130CatArrayBatchedCopy_vectorizedINS1_10OpaqueTypeILj2EEEjLi3ELi128ELi1ELi16ELi8EEEvPcNS1_25CatArrInputTensorMetadataIT_T0_XT2_EXT3_EEENS1_16TensorSizeStrideIS8_Lj4EEEiS8_
    .private_segment_fixed_size: 0
    .sgpr_count:     26
    .sgpr_spill_count: 0
    .symbol:         _ZN2at6native12_GLOBAL__N_130CatArrayBatchedCopy_vectorizedINS1_10OpaqueTypeILj2EEEjLi3ELi128ELi1ELi16ELi8EEEvPcNS1_25CatArrInputTensorMetadataIT_T0_XT2_EXT3_EEENS1_16TensorSizeStrideIS8_Lj4EEEiS8_.kd
    .uniform_work_group_size: 1
    .uses_dynamic_stack: false
    .vgpr_count:     13
    .vgpr_spill_count: 0
    .wavefront_size: 32
    .workgroup_processor_mode: 1
  - .args:
      - .address_space:  global
        .offset:         0
        .size:           8
        .value_kind:     global_buffer
      - .offset:         8
        .size:           2720
        .value_kind:     by_value
      - .offset:         2728
        .size:           32
        .value_kind:     by_value
      - .offset:         2760
        .size:           4
        .value_kind:     by_value
      - .offset:         2764
        .size:           4
        .value_kind:     by_value
      - .offset:         2768
        .size:           4
        .value_kind:     hidden_block_count_x
      - .offset:         2772
        .size:           4
        .value_kind:     hidden_block_count_y
      - .offset:         2776
        .size:           4
        .value_kind:     hidden_block_count_z
      - .offset:         2780
        .size:           2
        .value_kind:     hidden_group_size_x
      - .offset:         2782
        .size:           2
        .value_kind:     hidden_group_size_y
      - .offset:         2784
        .size:           2
        .value_kind:     hidden_group_size_z
      - .offset:         2786
        .size:           2
        .value_kind:     hidden_remainder_x
      - .offset:         2788
        .size:           2
        .value_kind:     hidden_remainder_y
      - .offset:         2790
        .size:           2
        .value_kind:     hidden_remainder_z
      - .offset:         2808
        .size:           8
        .value_kind:     hidden_global_offset_x
      - .offset:         2816
        .size:           8
        .value_kind:     hidden_global_offset_y
      - .offset:         2824
        .size:           8
        .value_kind:     hidden_global_offset_z
      - .offset:         2832
        .size:           2
        .value_kind:     hidden_grid_dims
    .group_segment_fixed_size: 0
    .kernarg_segment_align: 8
    .kernarg_segment_size: 3024
    .language:       OpenCL C
    .language_version:
      - 2
      - 0
    .max_flat_workgroup_size: 1024
    .name:           _ZN2at6native12_GLOBAL__N_135CatArrayBatchedCopy_alignedK_contigINS1_10OpaqueTypeILj2EEEjLi3ELi128ELi1ELi16EEEvPT_NS1_25CatArrInputTensorMetadataIS5_T0_XT2_EXT3_EEENS1_16TensorSizeStrideIS8_Lj4EEEiS8_
    .private_segment_fixed_size: 0
    .sgpr_count:     29
    .sgpr_spill_count: 0
    .symbol:         _ZN2at6native12_GLOBAL__N_135CatArrayBatchedCopy_alignedK_contigINS1_10OpaqueTypeILj2EEEjLi3ELi128ELi1ELi16EEEvPT_NS1_25CatArrInputTensorMetadataIS5_T0_XT2_EXT3_EEENS1_16TensorSizeStrideIS8_Lj4EEEiS8_.kd
    .uniform_work_group_size: 1
    .uses_dynamic_stack: false
    .vgpr_count:     52
    .vgpr_spill_count: 0
    .wavefront_size: 32
    .workgroup_processor_mode: 1
  - .args:
      - .address_space:  global
        .offset:         0
        .size:           8
        .value_kind:     global_buffer
      - .offset:         8
        .size:           2720
        .value_kind:     by_value
      - .offset:         2728
        .size:           32
        .value_kind:     by_value
      - .offset:         2760
        .size:           4
        .value_kind:     by_value
      - .offset:         2764
        .size:           4
        .value_kind:     by_value
      - .offset:         2768
        .size:           4
        .value_kind:     hidden_block_count_x
      - .offset:         2772
        .size:           4
        .value_kind:     hidden_block_count_y
      - .offset:         2776
        .size:           4
        .value_kind:     hidden_block_count_z
      - .offset:         2780
        .size:           2
        .value_kind:     hidden_group_size_x
      - .offset:         2782
        .size:           2
        .value_kind:     hidden_group_size_y
      - .offset:         2784
        .size:           2
        .value_kind:     hidden_group_size_z
      - .offset:         2786
        .size:           2
        .value_kind:     hidden_remainder_x
      - .offset:         2788
        .size:           2
        .value_kind:     hidden_remainder_y
      - .offset:         2790
        .size:           2
        .value_kind:     hidden_remainder_z
      - .offset:         2808
        .size:           8
        .value_kind:     hidden_global_offset_x
      - .offset:         2816
        .size:           8
        .value_kind:     hidden_global_offset_y
      - .offset:         2824
        .size:           8
        .value_kind:     hidden_global_offset_z
      - .offset:         2832
        .size:           2
        .value_kind:     hidden_grid_dims
    .group_segment_fixed_size: 0
    .kernarg_segment_align: 8
    .kernarg_segment_size: 3024
    .language:       OpenCL C
    .language_version:
      - 2
      - 0
    .max_flat_workgroup_size: 1024
    .name:           _ZN2at6native12_GLOBAL__N_135CatArrayBatchedCopy_alignedK_contigINS1_10OpaqueTypeILj2EEEjLi3ELi128ELi1ELi8EEEvPT_NS1_25CatArrInputTensorMetadataIS5_T0_XT2_EXT3_EEENS1_16TensorSizeStrideIS8_Lj4EEEiS8_
    .private_segment_fixed_size: 0
    .sgpr_count:     25
    .sgpr_spill_count: 0
    .symbol:         _ZN2at6native12_GLOBAL__N_135CatArrayBatchedCopy_alignedK_contigINS1_10OpaqueTypeILj2EEEjLi3ELi128ELi1ELi8EEEvPT_NS1_25CatArrInputTensorMetadataIS5_T0_XT2_EXT3_EEENS1_16TensorSizeStrideIS8_Lj4EEEiS8_.kd
    .uniform_work_group_size: 1
    .uses_dynamic_stack: false
    .vgpr_count:     34
    .vgpr_spill_count: 0
    .wavefront_size: 32
    .workgroup_processor_mode: 1
  - .args:
      - .address_space:  global
        .offset:         0
        .size:           8
        .value_kind:     global_buffer
      - .offset:         8
        .size:           2720
        .value_kind:     by_value
      - .offset:         2728
        .size:           32
        .value_kind:     by_value
      - .offset:         2760
        .size:           4
        .value_kind:     by_value
      - .offset:         2764
        .size:           4
        .value_kind:     by_value
      - .offset:         2768
        .size:           4
        .value_kind:     hidden_block_count_x
      - .offset:         2772
        .size:           4
        .value_kind:     hidden_block_count_y
      - .offset:         2776
        .size:           4
        .value_kind:     hidden_block_count_z
      - .offset:         2780
        .size:           2
        .value_kind:     hidden_group_size_x
      - .offset:         2782
        .size:           2
        .value_kind:     hidden_group_size_y
      - .offset:         2784
        .size:           2
        .value_kind:     hidden_group_size_z
      - .offset:         2786
        .size:           2
        .value_kind:     hidden_remainder_x
      - .offset:         2788
        .size:           2
        .value_kind:     hidden_remainder_y
      - .offset:         2790
        .size:           2
        .value_kind:     hidden_remainder_z
      - .offset:         2808
        .size:           8
        .value_kind:     hidden_global_offset_x
      - .offset:         2816
        .size:           8
        .value_kind:     hidden_global_offset_y
      - .offset:         2824
        .size:           8
        .value_kind:     hidden_global_offset_z
      - .offset:         2832
        .size:           2
        .value_kind:     hidden_grid_dims
    .group_segment_fixed_size: 0
    .kernarg_segment_align: 8
    .kernarg_segment_size: 3024
    .language:       OpenCL C
    .language_version:
      - 2
      - 0
    .max_flat_workgroup_size: 1024
    .name:           _ZN2at6native12_GLOBAL__N_126CatArrayBatchedCopy_contigINS1_10OpaqueTypeILj2EEEjLi3ELi128ELi1EEEvPT_NS1_25CatArrInputTensorMetadataIS5_T0_XT2_EXT3_EEENS1_16TensorSizeStrideIS8_Lj4EEEiS8_
    .private_segment_fixed_size: 0
    .sgpr_count:     24
    .sgpr_spill_count: 0
    .symbol:         _ZN2at6native12_GLOBAL__N_126CatArrayBatchedCopy_contigINS1_10OpaqueTypeILj2EEEjLi3ELi128ELi1EEEvPT_NS1_25CatArrInputTensorMetadataIS5_T0_XT2_EXT3_EEENS1_16TensorSizeStrideIS8_Lj4EEEiS8_.kd
    .uniform_work_group_size: 1
    .uses_dynamic_stack: false
    .vgpr_count:     11
    .vgpr_spill_count: 0
    .wavefront_size: 32
    .workgroup_processor_mode: 1
  - .args:
      - .address_space:  global
        .offset:         0
        .size:           8
        .value_kind:     global_buffer
      - .offset:         8
        .size:           2720
        .value_kind:     by_value
      - .offset:         2728
        .size:           32
        .value_kind:     by_value
      - .offset:         2760
        .size:           4
        .value_kind:     by_value
      - .offset:         2764
        .size:           4
        .value_kind:     by_value
      - .offset:         2768
        .size:           4
        .value_kind:     hidden_block_count_x
      - .offset:         2772
        .size:           4
        .value_kind:     hidden_block_count_y
      - .offset:         2776
        .size:           4
        .value_kind:     hidden_block_count_z
      - .offset:         2780
        .size:           2
        .value_kind:     hidden_group_size_x
      - .offset:         2782
        .size:           2
        .value_kind:     hidden_group_size_y
      - .offset:         2784
        .size:           2
        .value_kind:     hidden_group_size_z
      - .offset:         2786
        .size:           2
        .value_kind:     hidden_remainder_x
      - .offset:         2788
        .size:           2
        .value_kind:     hidden_remainder_y
      - .offset:         2790
        .size:           2
        .value_kind:     hidden_remainder_z
      - .offset:         2808
        .size:           8
        .value_kind:     hidden_global_offset_x
      - .offset:         2816
        .size:           8
        .value_kind:     hidden_global_offset_y
      - .offset:         2824
        .size:           8
        .value_kind:     hidden_global_offset_z
      - .offset:         2832
        .size:           2
        .value_kind:     hidden_grid_dims
    .group_segment_fixed_size: 0
    .kernarg_segment_align: 8
    .kernarg_segment_size: 3024
    .language:       OpenCL C
    .language_version:
      - 2
      - 0
    .max_flat_workgroup_size: 1024
    .name:           _ZN2at6native12_GLOBAL__N_119CatArrayBatchedCopyINS1_10OpaqueTypeILj2EEEjLi3ELi128ELi1EEEvPT_NS1_25CatArrInputTensorMetadataIS5_T0_XT2_EXT3_EEENS1_16TensorSizeStrideIS8_Lj4EEEiS8_
    .private_segment_fixed_size: 0
    .sgpr_count:     30
    .sgpr_spill_count: 0
    .symbol:         _ZN2at6native12_GLOBAL__N_119CatArrayBatchedCopyINS1_10OpaqueTypeILj2EEEjLi3ELi128ELi1EEEvPT_NS1_25CatArrInputTensorMetadataIS5_T0_XT2_EXT3_EEENS1_16TensorSizeStrideIS8_Lj4EEEiS8_.kd
    .uniform_work_group_size: 1
    .uses_dynamic_stack: false
    .vgpr_count:     12
    .vgpr_spill_count: 0
    .wavefront_size: 32
    .workgroup_processor_mode: 1
  - .args:
      - .address_space:  global
        .offset:         0
        .size:           8
        .value_kind:     global_buffer
      - .offset:         8
        .size:           2720
        .value_kind:     by_value
      - .offset:         2728
        .size:           32
        .value_kind:     by_value
      - .offset:         2760
        .size:           4
        .value_kind:     by_value
      - .offset:         2764
        .size:           4
        .value_kind:     by_value
      - .offset:         2768
        .size:           4
        .value_kind:     hidden_block_count_x
      - .offset:         2772
        .size:           4
        .value_kind:     hidden_block_count_y
      - .offset:         2776
        .size:           4
        .value_kind:     hidden_block_count_z
      - .offset:         2780
        .size:           2
        .value_kind:     hidden_group_size_x
      - .offset:         2782
        .size:           2
        .value_kind:     hidden_group_size_y
      - .offset:         2784
        .size:           2
        .value_kind:     hidden_group_size_z
      - .offset:         2786
        .size:           2
        .value_kind:     hidden_remainder_x
      - .offset:         2788
        .size:           2
        .value_kind:     hidden_remainder_y
      - .offset:         2790
        .size:           2
        .value_kind:     hidden_remainder_z
      - .offset:         2808
        .size:           8
        .value_kind:     hidden_global_offset_x
      - .offset:         2816
        .size:           8
        .value_kind:     hidden_global_offset_y
      - .offset:         2824
        .size:           8
        .value_kind:     hidden_global_offset_z
      - .offset:         2832
        .size:           2
        .value_kind:     hidden_grid_dims
    .group_segment_fixed_size: 0
    .kernarg_segment_align: 8
    .kernarg_segment_size: 3024
    .language:       OpenCL C
    .language_version:
      - 2
      - 0
    .max_flat_workgroup_size: 1024
    .name:           _ZN2at6native12_GLOBAL__N_130CatArrayBatchedCopy_vectorizedINS1_10OpaqueTypeILj2EEEjLi4ELi128ELi1ELi16ELi8EEEvPcNS1_25CatArrInputTensorMetadataIT_T0_XT2_EXT3_EEENS1_16TensorSizeStrideIS8_Lj4EEEiS8_
    .private_segment_fixed_size: 0
    .sgpr_count:     26
    .sgpr_spill_count: 0
    .symbol:         _ZN2at6native12_GLOBAL__N_130CatArrayBatchedCopy_vectorizedINS1_10OpaqueTypeILj2EEEjLi4ELi128ELi1ELi16ELi8EEEvPcNS1_25CatArrInputTensorMetadataIT_T0_XT2_EXT3_EEENS1_16TensorSizeStrideIS8_Lj4EEEiS8_.kd
    .uniform_work_group_size: 1
    .uses_dynamic_stack: false
    .vgpr_count:     16
    .vgpr_spill_count: 0
    .wavefront_size: 32
    .workgroup_processor_mode: 1
  - .args:
      - .address_space:  global
        .offset:         0
        .size:           8
        .value_kind:     global_buffer
      - .offset:         8
        .size:           2720
        .value_kind:     by_value
      - .offset:         2728
        .size:           32
        .value_kind:     by_value
      - .offset:         2760
        .size:           4
        .value_kind:     by_value
      - .offset:         2764
        .size:           4
        .value_kind:     by_value
      - .offset:         2768
        .size:           4
        .value_kind:     hidden_block_count_x
      - .offset:         2772
        .size:           4
        .value_kind:     hidden_block_count_y
      - .offset:         2776
        .size:           4
        .value_kind:     hidden_block_count_z
      - .offset:         2780
        .size:           2
        .value_kind:     hidden_group_size_x
      - .offset:         2782
        .size:           2
        .value_kind:     hidden_group_size_y
      - .offset:         2784
        .size:           2
        .value_kind:     hidden_group_size_z
      - .offset:         2786
        .size:           2
        .value_kind:     hidden_remainder_x
      - .offset:         2788
        .size:           2
        .value_kind:     hidden_remainder_y
      - .offset:         2790
        .size:           2
        .value_kind:     hidden_remainder_z
      - .offset:         2808
        .size:           8
        .value_kind:     hidden_global_offset_x
      - .offset:         2816
        .size:           8
        .value_kind:     hidden_global_offset_y
      - .offset:         2824
        .size:           8
        .value_kind:     hidden_global_offset_z
      - .offset:         2832
        .size:           2
        .value_kind:     hidden_grid_dims
    .group_segment_fixed_size: 0
    .kernarg_segment_align: 8
    .kernarg_segment_size: 3024
    .language:       OpenCL C
    .language_version:
      - 2
      - 0
    .max_flat_workgroup_size: 1024
    .name:           _ZN2at6native12_GLOBAL__N_135CatArrayBatchedCopy_alignedK_contigINS1_10OpaqueTypeILj2EEEjLi4ELi128ELi1ELi16EEEvPT_NS1_25CatArrInputTensorMetadataIS5_T0_XT2_EXT3_EEENS1_16TensorSizeStrideIS8_Lj4EEEiS8_
    .private_segment_fixed_size: 0
    .sgpr_count:     27
    .sgpr_spill_count: 0
    .symbol:         _ZN2at6native12_GLOBAL__N_135CatArrayBatchedCopy_alignedK_contigINS1_10OpaqueTypeILj2EEEjLi4ELi128ELi1ELi16EEEvPT_NS1_25CatArrInputTensorMetadataIS5_T0_XT2_EXT3_EEENS1_16TensorSizeStrideIS8_Lj4EEEiS8_.kd
    .uniform_work_group_size: 1
    .uses_dynamic_stack: false
    .vgpr_count:     36
    .vgpr_spill_count: 0
    .wavefront_size: 32
    .workgroup_processor_mode: 1
  - .args:
      - .address_space:  global
        .offset:         0
        .size:           8
        .value_kind:     global_buffer
      - .offset:         8
        .size:           2720
        .value_kind:     by_value
      - .offset:         2728
        .size:           32
        .value_kind:     by_value
      - .offset:         2760
        .size:           4
        .value_kind:     by_value
      - .offset:         2764
        .size:           4
        .value_kind:     by_value
      - .offset:         2768
        .size:           4
        .value_kind:     hidden_block_count_x
      - .offset:         2772
        .size:           4
        .value_kind:     hidden_block_count_y
      - .offset:         2776
        .size:           4
        .value_kind:     hidden_block_count_z
      - .offset:         2780
        .size:           2
        .value_kind:     hidden_group_size_x
      - .offset:         2782
        .size:           2
        .value_kind:     hidden_group_size_y
      - .offset:         2784
        .size:           2
        .value_kind:     hidden_group_size_z
      - .offset:         2786
        .size:           2
        .value_kind:     hidden_remainder_x
      - .offset:         2788
        .size:           2
        .value_kind:     hidden_remainder_y
      - .offset:         2790
        .size:           2
        .value_kind:     hidden_remainder_z
      - .offset:         2808
        .size:           8
        .value_kind:     hidden_global_offset_x
      - .offset:         2816
        .size:           8
        .value_kind:     hidden_global_offset_y
      - .offset:         2824
        .size:           8
        .value_kind:     hidden_global_offset_z
      - .offset:         2832
        .size:           2
        .value_kind:     hidden_grid_dims
    .group_segment_fixed_size: 0
    .kernarg_segment_align: 8
    .kernarg_segment_size: 3024
    .language:       OpenCL C
    .language_version:
      - 2
      - 0
    .max_flat_workgroup_size: 1024
    .name:           _ZN2at6native12_GLOBAL__N_135CatArrayBatchedCopy_alignedK_contigINS1_10OpaqueTypeILj2EEEjLi4ELi128ELi1ELi8EEEvPT_NS1_25CatArrInputTensorMetadataIS5_T0_XT2_EXT3_EEENS1_16TensorSizeStrideIS8_Lj4EEEiS8_
    .private_segment_fixed_size: 0
    .sgpr_count:     28
    .sgpr_spill_count: 0
    .symbol:         _ZN2at6native12_GLOBAL__N_135CatArrayBatchedCopy_alignedK_contigINS1_10OpaqueTypeILj2EEEjLi4ELi128ELi1ELi8EEEvPT_NS1_25CatArrInputTensorMetadataIS5_T0_XT2_EXT3_EEENS1_16TensorSizeStrideIS8_Lj4EEEiS8_.kd
    .uniform_work_group_size: 1
    .uses_dynamic_stack: false
    .vgpr_count:     38
    .vgpr_spill_count: 0
    .wavefront_size: 32
    .workgroup_processor_mode: 1
  - .args:
      - .address_space:  global
        .offset:         0
        .size:           8
        .value_kind:     global_buffer
      - .offset:         8
        .size:           2720
        .value_kind:     by_value
      - .offset:         2728
        .size:           32
        .value_kind:     by_value
      - .offset:         2760
        .size:           4
        .value_kind:     by_value
      - .offset:         2764
        .size:           4
        .value_kind:     by_value
      - .offset:         2768
        .size:           4
        .value_kind:     hidden_block_count_x
      - .offset:         2772
        .size:           4
        .value_kind:     hidden_block_count_y
      - .offset:         2776
        .size:           4
        .value_kind:     hidden_block_count_z
      - .offset:         2780
        .size:           2
        .value_kind:     hidden_group_size_x
      - .offset:         2782
        .size:           2
        .value_kind:     hidden_group_size_y
      - .offset:         2784
        .size:           2
        .value_kind:     hidden_group_size_z
      - .offset:         2786
        .size:           2
        .value_kind:     hidden_remainder_x
      - .offset:         2788
        .size:           2
        .value_kind:     hidden_remainder_y
      - .offset:         2790
        .size:           2
        .value_kind:     hidden_remainder_z
      - .offset:         2808
        .size:           8
        .value_kind:     hidden_global_offset_x
      - .offset:         2816
        .size:           8
        .value_kind:     hidden_global_offset_y
      - .offset:         2824
        .size:           8
        .value_kind:     hidden_global_offset_z
      - .offset:         2832
        .size:           2
        .value_kind:     hidden_grid_dims
    .group_segment_fixed_size: 0
    .kernarg_segment_align: 8
    .kernarg_segment_size: 3024
    .language:       OpenCL C
    .language_version:
      - 2
      - 0
    .max_flat_workgroup_size: 1024
    .name:           _ZN2at6native12_GLOBAL__N_126CatArrayBatchedCopy_contigINS1_10OpaqueTypeILj2EEEjLi4ELi128ELi1EEEvPT_NS1_25CatArrInputTensorMetadataIS5_T0_XT2_EXT3_EEENS1_16TensorSizeStrideIS8_Lj4EEEiS8_
    .private_segment_fixed_size: 0
    .sgpr_count:     26
    .sgpr_spill_count: 0
    .symbol:         _ZN2at6native12_GLOBAL__N_126CatArrayBatchedCopy_contigINS1_10OpaqueTypeILj2EEEjLi4ELi128ELi1EEEvPT_NS1_25CatArrInputTensorMetadataIS5_T0_XT2_EXT3_EEENS1_16TensorSizeStrideIS8_Lj4EEEiS8_.kd
    .uniform_work_group_size: 1
    .uses_dynamic_stack: false
    .vgpr_count:     13
    .vgpr_spill_count: 0
    .wavefront_size: 32
    .workgroup_processor_mode: 1
  - .args:
      - .address_space:  global
        .offset:         0
        .size:           8
        .value_kind:     global_buffer
      - .offset:         8
        .size:           2720
        .value_kind:     by_value
      - .offset:         2728
        .size:           32
        .value_kind:     by_value
      - .offset:         2760
        .size:           4
        .value_kind:     by_value
      - .offset:         2764
        .size:           4
        .value_kind:     by_value
      - .offset:         2768
        .size:           4
        .value_kind:     hidden_block_count_x
      - .offset:         2772
        .size:           4
        .value_kind:     hidden_block_count_y
      - .offset:         2776
        .size:           4
        .value_kind:     hidden_block_count_z
      - .offset:         2780
        .size:           2
        .value_kind:     hidden_group_size_x
      - .offset:         2782
        .size:           2
        .value_kind:     hidden_group_size_y
      - .offset:         2784
        .size:           2
        .value_kind:     hidden_group_size_z
      - .offset:         2786
        .size:           2
        .value_kind:     hidden_remainder_x
      - .offset:         2788
        .size:           2
        .value_kind:     hidden_remainder_y
      - .offset:         2790
        .size:           2
        .value_kind:     hidden_remainder_z
      - .offset:         2808
        .size:           8
        .value_kind:     hidden_global_offset_x
      - .offset:         2816
        .size:           8
        .value_kind:     hidden_global_offset_y
      - .offset:         2824
        .size:           8
        .value_kind:     hidden_global_offset_z
      - .offset:         2832
        .size:           2
        .value_kind:     hidden_grid_dims
    .group_segment_fixed_size: 0
    .kernarg_segment_align: 8
    .kernarg_segment_size: 3024
    .language:       OpenCL C
    .language_version:
      - 2
      - 0
    .max_flat_workgroup_size: 1024
    .name:           _ZN2at6native12_GLOBAL__N_119CatArrayBatchedCopyINS1_10OpaqueTypeILj2EEEjLi4ELi128ELi1EEEvPT_NS1_25CatArrInputTensorMetadataIS5_T0_XT2_EXT3_EEENS1_16TensorSizeStrideIS8_Lj4EEEiS8_
    .private_segment_fixed_size: 0
    .sgpr_count:     42
    .sgpr_spill_count: 0
    .symbol:         _ZN2at6native12_GLOBAL__N_119CatArrayBatchedCopyINS1_10OpaqueTypeILj2EEEjLi4ELi128ELi1EEEvPT_NS1_25CatArrInputTensorMetadataIS5_T0_XT2_EXT3_EEENS1_16TensorSizeStrideIS8_Lj4EEEiS8_.kd
    .uniform_work_group_size: 1
    .uses_dynamic_stack: false
    .vgpr_count:     17
    .vgpr_spill_count: 0
    .wavefront_size: 32
    .workgroup_processor_mode: 1
  - .args:
      - .address_space:  global
        .offset:         0
        .size:           8
        .value_kind:     global_buffer
      - .offset:         8
        .size:           2720
        .value_kind:     by_value
      - .offset:         2728
        .size:           32
        .value_kind:     by_value
      - .offset:         2760
        .size:           4
        .value_kind:     by_value
      - .offset:         2764
        .size:           4
        .value_kind:     by_value
      - .offset:         2768
        .size:           4
        .value_kind:     hidden_block_count_x
      - .offset:         2772
        .size:           4
        .value_kind:     hidden_block_count_y
      - .offset:         2776
        .size:           4
        .value_kind:     hidden_block_count_z
      - .offset:         2780
        .size:           2
        .value_kind:     hidden_group_size_x
      - .offset:         2782
        .size:           2
        .value_kind:     hidden_group_size_y
      - .offset:         2784
        .size:           2
        .value_kind:     hidden_group_size_z
      - .offset:         2786
        .size:           2
        .value_kind:     hidden_remainder_x
      - .offset:         2788
        .size:           2
        .value_kind:     hidden_remainder_y
      - .offset:         2790
        .size:           2
        .value_kind:     hidden_remainder_z
      - .offset:         2808
        .size:           8
        .value_kind:     hidden_global_offset_x
      - .offset:         2816
        .size:           8
        .value_kind:     hidden_global_offset_y
      - .offset:         2824
        .size:           8
        .value_kind:     hidden_global_offset_z
      - .offset:         2832
        .size:           2
        .value_kind:     hidden_grid_dims
    .group_segment_fixed_size: 0
    .kernarg_segment_align: 8
    .kernarg_segment_size: 3024
    .language:       OpenCL C
    .language_version:
      - 2
      - 0
    .max_flat_workgroup_size: 1024
    .name:           _ZN2at6native12_GLOBAL__N_130CatArrayBatchedCopy_vectorizedINS1_10OpaqueTypeILj4EEEjLi1ELi128ELi1ELi16ELi4EEEvPcNS1_25CatArrInputTensorMetadataIT_T0_XT2_EXT3_EEENS1_16TensorSizeStrideIS8_Lj4EEEiS8_
    .private_segment_fixed_size: 0
    .sgpr_count:     16
    .sgpr_spill_count: 0
    .symbol:         _ZN2at6native12_GLOBAL__N_130CatArrayBatchedCopy_vectorizedINS1_10OpaqueTypeILj4EEEjLi1ELi128ELi1ELi16ELi4EEEvPcNS1_25CatArrInputTensorMetadataIT_T0_XT2_EXT3_EEENS1_16TensorSizeStrideIS8_Lj4EEEiS8_.kd
    .uniform_work_group_size: 1
    .uses_dynamic_stack: false
    .vgpr_count:     10
    .vgpr_spill_count: 0
    .wavefront_size: 32
    .workgroup_processor_mode: 1
  - .args:
      - .address_space:  global
        .offset:         0
        .size:           8
        .value_kind:     global_buffer
      - .offset:         8
        .size:           2720
        .value_kind:     by_value
      - .offset:         2728
        .size:           32
        .value_kind:     by_value
      - .offset:         2760
        .size:           4
        .value_kind:     by_value
      - .offset:         2764
        .size:           4
        .value_kind:     by_value
      - .offset:         2768
        .size:           4
        .value_kind:     hidden_block_count_x
      - .offset:         2772
        .size:           4
        .value_kind:     hidden_block_count_y
      - .offset:         2776
        .size:           4
        .value_kind:     hidden_block_count_z
      - .offset:         2780
        .size:           2
        .value_kind:     hidden_group_size_x
      - .offset:         2782
        .size:           2
        .value_kind:     hidden_group_size_y
      - .offset:         2784
        .size:           2
        .value_kind:     hidden_group_size_z
      - .offset:         2786
        .size:           2
        .value_kind:     hidden_remainder_x
      - .offset:         2788
        .size:           2
        .value_kind:     hidden_remainder_y
      - .offset:         2790
        .size:           2
        .value_kind:     hidden_remainder_z
      - .offset:         2808
        .size:           8
        .value_kind:     hidden_global_offset_x
      - .offset:         2816
        .size:           8
        .value_kind:     hidden_global_offset_y
      - .offset:         2824
        .size:           8
        .value_kind:     hidden_global_offset_z
      - .offset:         2832
        .size:           2
        .value_kind:     hidden_grid_dims
    .group_segment_fixed_size: 0
    .kernarg_segment_align: 8
    .kernarg_segment_size: 3024
    .language:       OpenCL C
    .language_version:
      - 2
      - 0
    .max_flat_workgroup_size: 1024
    .name:           _ZN2at6native12_GLOBAL__N_135CatArrayBatchedCopy_alignedK_contigINS1_10OpaqueTypeILj4EEEjLi1ELi128ELi1ELi16EEEvPT_NS1_25CatArrInputTensorMetadataIS5_T0_XT2_EXT3_EEENS1_16TensorSizeStrideIS8_Lj4EEEiS8_
    .private_segment_fixed_size: 0
    .sgpr_count:     16
    .sgpr_spill_count: 0
    .symbol:         _ZN2at6native12_GLOBAL__N_135CatArrayBatchedCopy_alignedK_contigINS1_10OpaqueTypeILj4EEEjLi1ELi128ELi1ELi16EEEvPT_NS1_25CatArrInputTensorMetadataIS5_T0_XT2_EXT3_EEENS1_16TensorSizeStrideIS8_Lj4EEEiS8_.kd
    .uniform_work_group_size: 1
    .uses_dynamic_stack: false
    .vgpr_count:     19
    .vgpr_spill_count: 0
    .wavefront_size: 32
    .workgroup_processor_mode: 1
  - .args:
      - .address_space:  global
        .offset:         0
        .size:           8
        .value_kind:     global_buffer
      - .offset:         8
        .size:           2720
        .value_kind:     by_value
      - .offset:         2728
        .size:           32
        .value_kind:     by_value
      - .offset:         2760
        .size:           4
        .value_kind:     by_value
      - .offset:         2764
        .size:           4
        .value_kind:     by_value
      - .offset:         2768
        .size:           4
        .value_kind:     hidden_block_count_x
      - .offset:         2772
        .size:           4
        .value_kind:     hidden_block_count_y
      - .offset:         2776
        .size:           4
        .value_kind:     hidden_block_count_z
      - .offset:         2780
        .size:           2
        .value_kind:     hidden_group_size_x
      - .offset:         2782
        .size:           2
        .value_kind:     hidden_group_size_y
      - .offset:         2784
        .size:           2
        .value_kind:     hidden_group_size_z
      - .offset:         2786
        .size:           2
        .value_kind:     hidden_remainder_x
      - .offset:         2788
        .size:           2
        .value_kind:     hidden_remainder_y
      - .offset:         2790
        .size:           2
        .value_kind:     hidden_remainder_z
      - .offset:         2808
        .size:           8
        .value_kind:     hidden_global_offset_x
      - .offset:         2816
        .size:           8
        .value_kind:     hidden_global_offset_y
      - .offset:         2824
        .size:           8
        .value_kind:     hidden_global_offset_z
      - .offset:         2832
        .size:           2
        .value_kind:     hidden_grid_dims
    .group_segment_fixed_size: 0
    .kernarg_segment_align: 8
    .kernarg_segment_size: 3024
    .language:       OpenCL C
    .language_version:
      - 2
      - 0
    .max_flat_workgroup_size: 1024
    .name:           _ZN2at6native12_GLOBAL__N_135CatArrayBatchedCopy_alignedK_contigINS1_10OpaqueTypeILj4EEEjLi1ELi128ELi1ELi8EEEvPT_NS1_25CatArrInputTensorMetadataIS5_T0_XT2_EXT3_EEENS1_16TensorSizeStrideIS8_Lj4EEEiS8_
    .private_segment_fixed_size: 0
    .sgpr_count:     16
    .sgpr_spill_count: 0
    .symbol:         _ZN2at6native12_GLOBAL__N_135CatArrayBatchedCopy_alignedK_contigINS1_10OpaqueTypeILj4EEEjLi1ELi128ELi1ELi8EEEvPT_NS1_25CatArrInputTensorMetadataIS5_T0_XT2_EXT3_EEENS1_16TensorSizeStrideIS8_Lj4EEEiS8_.kd
    .uniform_work_group_size: 1
    .uses_dynamic_stack: false
    .vgpr_count:     11
    .vgpr_spill_count: 0
    .wavefront_size: 32
    .workgroup_processor_mode: 1
  - .args:
      - .address_space:  global
        .offset:         0
        .size:           8
        .value_kind:     global_buffer
      - .offset:         8
        .size:           2720
        .value_kind:     by_value
      - .offset:         2728
        .size:           32
        .value_kind:     by_value
      - .offset:         2760
        .size:           4
        .value_kind:     by_value
      - .offset:         2764
        .size:           4
        .value_kind:     by_value
      - .offset:         2768
        .size:           4
        .value_kind:     hidden_block_count_x
      - .offset:         2772
        .size:           4
        .value_kind:     hidden_block_count_y
      - .offset:         2776
        .size:           4
        .value_kind:     hidden_block_count_z
      - .offset:         2780
        .size:           2
        .value_kind:     hidden_group_size_x
      - .offset:         2782
        .size:           2
        .value_kind:     hidden_group_size_y
      - .offset:         2784
        .size:           2
        .value_kind:     hidden_group_size_z
      - .offset:         2786
        .size:           2
        .value_kind:     hidden_remainder_x
      - .offset:         2788
        .size:           2
        .value_kind:     hidden_remainder_y
      - .offset:         2790
        .size:           2
        .value_kind:     hidden_remainder_z
      - .offset:         2808
        .size:           8
        .value_kind:     hidden_global_offset_x
      - .offset:         2816
        .size:           8
        .value_kind:     hidden_global_offset_y
      - .offset:         2824
        .size:           8
        .value_kind:     hidden_global_offset_z
      - .offset:         2832
        .size:           2
        .value_kind:     hidden_grid_dims
    .group_segment_fixed_size: 0
    .kernarg_segment_align: 8
    .kernarg_segment_size: 3024
    .language:       OpenCL C
    .language_version:
      - 2
      - 0
    .max_flat_workgroup_size: 1024
    .name:           _ZN2at6native12_GLOBAL__N_126CatArrayBatchedCopy_contigINS1_10OpaqueTypeILj4EEEjLi1ELi128ELi1EEEvPT_NS1_25CatArrInputTensorMetadataIS5_T0_XT2_EXT3_EEENS1_16TensorSizeStrideIS8_Lj4EEEiS8_
    .private_segment_fixed_size: 0
    .sgpr_count:     17
    .sgpr_spill_count: 0
    .symbol:         _ZN2at6native12_GLOBAL__N_126CatArrayBatchedCopy_contigINS1_10OpaqueTypeILj4EEEjLi1ELi128ELi1EEEvPT_NS1_25CatArrInputTensorMetadataIS5_T0_XT2_EXT3_EEENS1_16TensorSizeStrideIS8_Lj4EEEiS8_.kd
    .uniform_work_group_size: 1
    .uses_dynamic_stack: false
    .vgpr_count:     6
    .vgpr_spill_count: 0
    .wavefront_size: 32
    .workgroup_processor_mode: 1
  - .args:
      - .address_space:  global
        .offset:         0
        .size:           8
        .value_kind:     global_buffer
      - .offset:         8
        .size:           2720
        .value_kind:     by_value
      - .offset:         2728
        .size:           32
        .value_kind:     by_value
      - .offset:         2760
        .size:           4
        .value_kind:     by_value
      - .offset:         2764
        .size:           4
        .value_kind:     by_value
      - .offset:         2768
        .size:           4
        .value_kind:     hidden_block_count_x
      - .offset:         2772
        .size:           4
        .value_kind:     hidden_block_count_y
      - .offset:         2776
        .size:           4
        .value_kind:     hidden_block_count_z
      - .offset:         2780
        .size:           2
        .value_kind:     hidden_group_size_x
      - .offset:         2782
        .size:           2
        .value_kind:     hidden_group_size_y
      - .offset:         2784
        .size:           2
        .value_kind:     hidden_group_size_z
      - .offset:         2786
        .size:           2
        .value_kind:     hidden_remainder_x
      - .offset:         2788
        .size:           2
        .value_kind:     hidden_remainder_y
      - .offset:         2790
        .size:           2
        .value_kind:     hidden_remainder_z
      - .offset:         2808
        .size:           8
        .value_kind:     hidden_global_offset_x
      - .offset:         2816
        .size:           8
        .value_kind:     hidden_global_offset_y
      - .offset:         2824
        .size:           8
        .value_kind:     hidden_global_offset_z
      - .offset:         2832
        .size:           2
        .value_kind:     hidden_grid_dims
    .group_segment_fixed_size: 0
    .kernarg_segment_align: 8
    .kernarg_segment_size: 3024
    .language:       OpenCL C
    .language_version:
      - 2
      - 0
    .max_flat_workgroup_size: 1024
    .name:           _ZN2at6native12_GLOBAL__N_119CatArrayBatchedCopyINS1_10OpaqueTypeILj4EEEjLi1ELi128ELi1EEEvPT_NS1_25CatArrInputTensorMetadataIS5_T0_XT2_EXT3_EEENS1_16TensorSizeStrideIS8_Lj4EEEiS8_
    .private_segment_fixed_size: 0
    .sgpr_count:     20
    .sgpr_spill_count: 0
    .symbol:         _ZN2at6native12_GLOBAL__N_119CatArrayBatchedCopyINS1_10OpaqueTypeILj4EEEjLi1ELi128ELi1EEEvPT_NS1_25CatArrInputTensorMetadataIS5_T0_XT2_EXT3_EEENS1_16TensorSizeStrideIS8_Lj4EEEiS8_.kd
    .uniform_work_group_size: 1
    .uses_dynamic_stack: false
    .vgpr_count:     7
    .vgpr_spill_count: 0
    .wavefront_size: 32
    .workgroup_processor_mode: 1
  - .args:
      - .address_space:  global
        .offset:         0
        .size:           8
        .value_kind:     global_buffer
      - .offset:         8
        .size:           2720
        .value_kind:     by_value
      - .offset:         2728
        .size:           32
        .value_kind:     by_value
      - .offset:         2760
        .size:           4
        .value_kind:     by_value
      - .offset:         2764
        .size:           4
        .value_kind:     by_value
      - .offset:         2768
        .size:           4
        .value_kind:     hidden_block_count_x
      - .offset:         2772
        .size:           4
        .value_kind:     hidden_block_count_y
      - .offset:         2776
        .size:           4
        .value_kind:     hidden_block_count_z
      - .offset:         2780
        .size:           2
        .value_kind:     hidden_group_size_x
      - .offset:         2782
        .size:           2
        .value_kind:     hidden_group_size_y
      - .offset:         2784
        .size:           2
        .value_kind:     hidden_group_size_z
      - .offset:         2786
        .size:           2
        .value_kind:     hidden_remainder_x
      - .offset:         2788
        .size:           2
        .value_kind:     hidden_remainder_y
      - .offset:         2790
        .size:           2
        .value_kind:     hidden_remainder_z
      - .offset:         2808
        .size:           8
        .value_kind:     hidden_global_offset_x
      - .offset:         2816
        .size:           8
        .value_kind:     hidden_global_offset_y
      - .offset:         2824
        .size:           8
        .value_kind:     hidden_global_offset_z
      - .offset:         2832
        .size:           2
        .value_kind:     hidden_grid_dims
    .group_segment_fixed_size: 0
    .kernarg_segment_align: 8
    .kernarg_segment_size: 3024
    .language:       OpenCL C
    .language_version:
      - 2
      - 0
    .max_flat_workgroup_size: 1024
    .name:           _ZN2at6native12_GLOBAL__N_130CatArrayBatchedCopy_vectorizedINS1_10OpaqueTypeILj4EEEjLi2ELi128ELi1ELi16ELi4EEEvPcNS1_25CatArrInputTensorMetadataIT_T0_XT2_EXT3_EEENS1_16TensorSizeStrideIS8_Lj4EEEiS8_
    .private_segment_fixed_size: 0
    .sgpr_count:     20
    .sgpr_spill_count: 0
    .symbol:         _ZN2at6native12_GLOBAL__N_130CatArrayBatchedCopy_vectorizedINS1_10OpaqueTypeILj4EEEjLi2ELi128ELi1ELi16ELi4EEEvPcNS1_25CatArrInputTensorMetadataIT_T0_XT2_EXT3_EEENS1_16TensorSizeStrideIS8_Lj4EEEiS8_.kd
    .uniform_work_group_size: 1
    .uses_dynamic_stack: false
    .vgpr_count:     12
    .vgpr_spill_count: 0
    .wavefront_size: 32
    .workgroup_processor_mode: 1
  - .args:
      - .address_space:  global
        .offset:         0
        .size:           8
        .value_kind:     global_buffer
      - .offset:         8
        .size:           2720
        .value_kind:     by_value
      - .offset:         2728
        .size:           32
        .value_kind:     by_value
      - .offset:         2760
        .size:           4
        .value_kind:     by_value
      - .offset:         2764
        .size:           4
        .value_kind:     by_value
      - .offset:         2768
        .size:           4
        .value_kind:     hidden_block_count_x
      - .offset:         2772
        .size:           4
        .value_kind:     hidden_block_count_y
      - .offset:         2776
        .size:           4
        .value_kind:     hidden_block_count_z
      - .offset:         2780
        .size:           2
        .value_kind:     hidden_group_size_x
      - .offset:         2782
        .size:           2
        .value_kind:     hidden_group_size_y
      - .offset:         2784
        .size:           2
        .value_kind:     hidden_group_size_z
      - .offset:         2786
        .size:           2
        .value_kind:     hidden_remainder_x
      - .offset:         2788
        .size:           2
        .value_kind:     hidden_remainder_y
      - .offset:         2790
        .size:           2
        .value_kind:     hidden_remainder_z
      - .offset:         2808
        .size:           8
        .value_kind:     hidden_global_offset_x
      - .offset:         2816
        .size:           8
        .value_kind:     hidden_global_offset_y
      - .offset:         2824
        .size:           8
        .value_kind:     hidden_global_offset_z
      - .offset:         2832
        .size:           2
        .value_kind:     hidden_grid_dims
    .group_segment_fixed_size: 0
    .kernarg_segment_align: 8
    .kernarg_segment_size: 3024
    .language:       OpenCL C
    .language_version:
      - 2
      - 0
    .max_flat_workgroup_size: 1024
    .name:           _ZN2at6native12_GLOBAL__N_135CatArrayBatchedCopy_alignedK_contigINS1_10OpaqueTypeILj4EEEjLi2ELi128ELi1ELi16EEEvPT_NS1_25CatArrInputTensorMetadataIS5_T0_XT2_EXT3_EEENS1_16TensorSizeStrideIS8_Lj4EEEiS8_
    .private_segment_fixed_size: 0
    .sgpr_count:     22
    .sgpr_spill_count: 0
    .symbol:         _ZN2at6native12_GLOBAL__N_135CatArrayBatchedCopy_alignedK_contigINS1_10OpaqueTypeILj4EEEjLi2ELi128ELi1ELi16EEEvPT_NS1_25CatArrInputTensorMetadataIS5_T0_XT2_EXT3_EEENS1_16TensorSizeStrideIS8_Lj4EEEiS8_.kd
    .uniform_work_group_size: 1
    .uses_dynamic_stack: false
    .vgpr_count:     33
    .vgpr_spill_count: 0
    .wavefront_size: 32
    .workgroup_processor_mode: 1
  - .args:
      - .address_space:  global
        .offset:         0
        .size:           8
        .value_kind:     global_buffer
      - .offset:         8
        .size:           2720
        .value_kind:     by_value
      - .offset:         2728
        .size:           32
        .value_kind:     by_value
      - .offset:         2760
        .size:           4
        .value_kind:     by_value
      - .offset:         2764
        .size:           4
        .value_kind:     by_value
      - .offset:         2768
        .size:           4
        .value_kind:     hidden_block_count_x
      - .offset:         2772
        .size:           4
        .value_kind:     hidden_block_count_y
      - .offset:         2776
        .size:           4
        .value_kind:     hidden_block_count_z
      - .offset:         2780
        .size:           2
        .value_kind:     hidden_group_size_x
      - .offset:         2782
        .size:           2
        .value_kind:     hidden_group_size_y
      - .offset:         2784
        .size:           2
        .value_kind:     hidden_group_size_z
      - .offset:         2786
        .size:           2
        .value_kind:     hidden_remainder_x
      - .offset:         2788
        .size:           2
        .value_kind:     hidden_remainder_y
      - .offset:         2790
        .size:           2
        .value_kind:     hidden_remainder_z
      - .offset:         2808
        .size:           8
        .value_kind:     hidden_global_offset_x
      - .offset:         2816
        .size:           8
        .value_kind:     hidden_global_offset_y
      - .offset:         2824
        .size:           8
        .value_kind:     hidden_global_offset_z
      - .offset:         2832
        .size:           2
        .value_kind:     hidden_grid_dims
    .group_segment_fixed_size: 0
    .kernarg_segment_align: 8
    .kernarg_segment_size: 3024
    .language:       OpenCL C
    .language_version:
      - 2
      - 0
    .max_flat_workgroup_size: 1024
    .name:           _ZN2at6native12_GLOBAL__N_135CatArrayBatchedCopy_alignedK_contigINS1_10OpaqueTypeILj4EEEjLi2ELi128ELi1ELi8EEEvPT_NS1_25CatArrInputTensorMetadataIS5_T0_XT2_EXT3_EEENS1_16TensorSizeStrideIS8_Lj4EEEiS8_
    .private_segment_fixed_size: 0
    .sgpr_count:     20
    .sgpr_spill_count: 0
    .symbol:         _ZN2at6native12_GLOBAL__N_135CatArrayBatchedCopy_alignedK_contigINS1_10OpaqueTypeILj4EEEjLi2ELi128ELi1ELi8EEEvPT_NS1_25CatArrInputTensorMetadataIS5_T0_XT2_EXT3_EEENS1_16TensorSizeStrideIS8_Lj4EEEiS8_.kd
    .uniform_work_group_size: 1
    .uses_dynamic_stack: false
    .vgpr_count:     18
    .vgpr_spill_count: 0
    .wavefront_size: 32
    .workgroup_processor_mode: 1
  - .args:
      - .address_space:  global
        .offset:         0
        .size:           8
        .value_kind:     global_buffer
      - .offset:         8
        .size:           2720
        .value_kind:     by_value
      - .offset:         2728
        .size:           32
        .value_kind:     by_value
      - .offset:         2760
        .size:           4
        .value_kind:     by_value
      - .offset:         2764
        .size:           4
        .value_kind:     by_value
      - .offset:         2768
        .size:           4
        .value_kind:     hidden_block_count_x
      - .offset:         2772
        .size:           4
        .value_kind:     hidden_block_count_y
      - .offset:         2776
        .size:           4
        .value_kind:     hidden_block_count_z
      - .offset:         2780
        .size:           2
        .value_kind:     hidden_group_size_x
      - .offset:         2782
        .size:           2
        .value_kind:     hidden_group_size_y
      - .offset:         2784
        .size:           2
        .value_kind:     hidden_group_size_z
      - .offset:         2786
        .size:           2
        .value_kind:     hidden_remainder_x
      - .offset:         2788
        .size:           2
        .value_kind:     hidden_remainder_y
      - .offset:         2790
        .size:           2
        .value_kind:     hidden_remainder_z
      - .offset:         2808
        .size:           8
        .value_kind:     hidden_global_offset_x
      - .offset:         2816
        .size:           8
        .value_kind:     hidden_global_offset_y
      - .offset:         2824
        .size:           8
        .value_kind:     hidden_global_offset_z
      - .offset:         2832
        .size:           2
        .value_kind:     hidden_grid_dims
    .group_segment_fixed_size: 0
    .kernarg_segment_align: 8
    .kernarg_segment_size: 3024
    .language:       OpenCL C
    .language_version:
      - 2
      - 0
    .max_flat_workgroup_size: 1024
    .name:           _ZN2at6native12_GLOBAL__N_126CatArrayBatchedCopy_contigINS1_10OpaqueTypeILj4EEEjLi2ELi128ELi1EEEvPT_NS1_25CatArrInputTensorMetadataIS5_T0_XT2_EXT3_EEENS1_16TensorSizeStrideIS8_Lj4EEEiS8_
    .private_segment_fixed_size: 0
    .sgpr_count:     19
    .sgpr_spill_count: 0
    .symbol:         _ZN2at6native12_GLOBAL__N_126CatArrayBatchedCopy_contigINS1_10OpaqueTypeILj4EEEjLi2ELi128ELi1EEEvPT_NS1_25CatArrInputTensorMetadataIS5_T0_XT2_EXT3_EEENS1_16TensorSizeStrideIS8_Lj4EEEiS8_.kd
    .uniform_work_group_size: 1
    .uses_dynamic_stack: false
    .vgpr_count:     9
    .vgpr_spill_count: 0
    .wavefront_size: 32
    .workgroup_processor_mode: 1
  - .args:
      - .address_space:  global
        .offset:         0
        .size:           8
        .value_kind:     global_buffer
      - .offset:         8
        .size:           2720
        .value_kind:     by_value
      - .offset:         2728
        .size:           32
        .value_kind:     by_value
      - .offset:         2760
        .size:           4
        .value_kind:     by_value
      - .offset:         2764
        .size:           4
        .value_kind:     by_value
      - .offset:         2768
        .size:           4
        .value_kind:     hidden_block_count_x
      - .offset:         2772
        .size:           4
        .value_kind:     hidden_block_count_y
      - .offset:         2776
        .size:           4
        .value_kind:     hidden_block_count_z
      - .offset:         2780
        .size:           2
        .value_kind:     hidden_group_size_x
      - .offset:         2782
        .size:           2
        .value_kind:     hidden_group_size_y
      - .offset:         2784
        .size:           2
        .value_kind:     hidden_group_size_z
      - .offset:         2786
        .size:           2
        .value_kind:     hidden_remainder_x
      - .offset:         2788
        .size:           2
        .value_kind:     hidden_remainder_y
      - .offset:         2790
        .size:           2
        .value_kind:     hidden_remainder_z
      - .offset:         2808
        .size:           8
        .value_kind:     hidden_global_offset_x
      - .offset:         2816
        .size:           8
        .value_kind:     hidden_global_offset_y
      - .offset:         2824
        .size:           8
        .value_kind:     hidden_global_offset_z
      - .offset:         2832
        .size:           2
        .value_kind:     hidden_grid_dims
    .group_segment_fixed_size: 0
    .kernarg_segment_align: 8
    .kernarg_segment_size: 3024
    .language:       OpenCL C
    .language_version:
      - 2
      - 0
    .max_flat_workgroup_size: 1024
    .name:           _ZN2at6native12_GLOBAL__N_119CatArrayBatchedCopyINS1_10OpaqueTypeILj4EEEjLi2ELi128ELi1EEEvPT_NS1_25CatArrInputTensorMetadataIS5_T0_XT2_EXT3_EEENS1_16TensorSizeStrideIS8_Lj4EEEiS8_
    .private_segment_fixed_size: 0
    .sgpr_count:     24
    .sgpr_spill_count: 0
    .symbol:         _ZN2at6native12_GLOBAL__N_119CatArrayBatchedCopyINS1_10OpaqueTypeILj4EEEjLi2ELi128ELi1EEEvPT_NS1_25CatArrInputTensorMetadataIS5_T0_XT2_EXT3_EEENS1_16TensorSizeStrideIS8_Lj4EEEiS8_.kd
    .uniform_work_group_size: 1
    .uses_dynamic_stack: false
    .vgpr_count:     10
    .vgpr_spill_count: 0
    .wavefront_size: 32
    .workgroup_processor_mode: 1
  - .args:
      - .address_space:  global
        .offset:         0
        .size:           8
        .value_kind:     global_buffer
      - .offset:         8
        .size:           2720
        .value_kind:     by_value
      - .offset:         2728
        .size:           32
        .value_kind:     by_value
      - .offset:         2760
        .size:           4
        .value_kind:     by_value
      - .offset:         2764
        .size:           4
        .value_kind:     by_value
      - .offset:         2768
        .size:           4
        .value_kind:     hidden_block_count_x
      - .offset:         2772
        .size:           4
        .value_kind:     hidden_block_count_y
      - .offset:         2776
        .size:           4
        .value_kind:     hidden_block_count_z
      - .offset:         2780
        .size:           2
        .value_kind:     hidden_group_size_x
      - .offset:         2782
        .size:           2
        .value_kind:     hidden_group_size_y
      - .offset:         2784
        .size:           2
        .value_kind:     hidden_group_size_z
      - .offset:         2786
        .size:           2
        .value_kind:     hidden_remainder_x
      - .offset:         2788
        .size:           2
        .value_kind:     hidden_remainder_y
      - .offset:         2790
        .size:           2
        .value_kind:     hidden_remainder_z
      - .offset:         2808
        .size:           8
        .value_kind:     hidden_global_offset_x
      - .offset:         2816
        .size:           8
        .value_kind:     hidden_global_offset_y
      - .offset:         2824
        .size:           8
        .value_kind:     hidden_global_offset_z
      - .offset:         2832
        .size:           2
        .value_kind:     hidden_grid_dims
    .group_segment_fixed_size: 0
    .kernarg_segment_align: 8
    .kernarg_segment_size: 3024
    .language:       OpenCL C
    .language_version:
      - 2
      - 0
    .max_flat_workgroup_size: 1024
    .name:           _ZN2at6native12_GLOBAL__N_130CatArrayBatchedCopy_vectorizedINS1_10OpaqueTypeILj4EEEjLi3ELi128ELi1ELi16ELi4EEEvPcNS1_25CatArrInputTensorMetadataIT_T0_XT2_EXT3_EEENS1_16TensorSizeStrideIS8_Lj4EEEiS8_
    .private_segment_fixed_size: 0
    .sgpr_count:     26
    .sgpr_spill_count: 0
    .symbol:         _ZN2at6native12_GLOBAL__N_130CatArrayBatchedCopy_vectorizedINS1_10OpaqueTypeILj4EEEjLi3ELi128ELi1ELi16ELi4EEEvPcNS1_25CatArrInputTensorMetadataIT_T0_XT2_EXT3_EEENS1_16TensorSizeStrideIS8_Lj4EEEiS8_.kd
    .uniform_work_group_size: 1
    .uses_dynamic_stack: false
    .vgpr_count:     13
    .vgpr_spill_count: 0
    .wavefront_size: 32
    .workgroup_processor_mode: 1
  - .args:
      - .address_space:  global
        .offset:         0
        .size:           8
        .value_kind:     global_buffer
      - .offset:         8
        .size:           2720
        .value_kind:     by_value
      - .offset:         2728
        .size:           32
        .value_kind:     by_value
      - .offset:         2760
        .size:           4
        .value_kind:     by_value
      - .offset:         2764
        .size:           4
        .value_kind:     by_value
      - .offset:         2768
        .size:           4
        .value_kind:     hidden_block_count_x
      - .offset:         2772
        .size:           4
        .value_kind:     hidden_block_count_y
      - .offset:         2776
        .size:           4
        .value_kind:     hidden_block_count_z
      - .offset:         2780
        .size:           2
        .value_kind:     hidden_group_size_x
      - .offset:         2782
        .size:           2
        .value_kind:     hidden_group_size_y
      - .offset:         2784
        .size:           2
        .value_kind:     hidden_group_size_z
      - .offset:         2786
        .size:           2
        .value_kind:     hidden_remainder_x
      - .offset:         2788
        .size:           2
        .value_kind:     hidden_remainder_y
      - .offset:         2790
        .size:           2
        .value_kind:     hidden_remainder_z
      - .offset:         2808
        .size:           8
        .value_kind:     hidden_global_offset_x
      - .offset:         2816
        .size:           8
        .value_kind:     hidden_global_offset_y
      - .offset:         2824
        .size:           8
        .value_kind:     hidden_global_offset_z
      - .offset:         2832
        .size:           2
        .value_kind:     hidden_grid_dims
    .group_segment_fixed_size: 0
    .kernarg_segment_align: 8
    .kernarg_segment_size: 3024
    .language:       OpenCL C
    .language_version:
      - 2
      - 0
    .max_flat_workgroup_size: 1024
    .name:           _ZN2at6native12_GLOBAL__N_135CatArrayBatchedCopy_alignedK_contigINS1_10OpaqueTypeILj4EEEjLi3ELi128ELi1ELi16EEEvPT_NS1_25CatArrInputTensorMetadataIS5_T0_XT2_EXT3_EEENS1_16TensorSizeStrideIS8_Lj4EEEiS8_
    .private_segment_fixed_size: 0
    .sgpr_count:     25
    .sgpr_spill_count: 0
    .symbol:         _ZN2at6native12_GLOBAL__N_135CatArrayBatchedCopy_alignedK_contigINS1_10OpaqueTypeILj4EEEjLi3ELi128ELi1ELi16EEEvPT_NS1_25CatArrInputTensorMetadataIS5_T0_XT2_EXT3_EEENS1_16TensorSizeStrideIS8_Lj4EEEiS8_.kd
    .uniform_work_group_size: 1
    .uses_dynamic_stack: false
    .vgpr_count:     36
    .vgpr_spill_count: 0
    .wavefront_size: 32
    .workgroup_processor_mode: 1
  - .args:
      - .address_space:  global
        .offset:         0
        .size:           8
        .value_kind:     global_buffer
      - .offset:         8
        .size:           2720
        .value_kind:     by_value
      - .offset:         2728
        .size:           32
        .value_kind:     by_value
      - .offset:         2760
        .size:           4
        .value_kind:     by_value
      - .offset:         2764
        .size:           4
        .value_kind:     by_value
      - .offset:         2768
        .size:           4
        .value_kind:     hidden_block_count_x
      - .offset:         2772
        .size:           4
        .value_kind:     hidden_block_count_y
      - .offset:         2776
        .size:           4
        .value_kind:     hidden_block_count_z
      - .offset:         2780
        .size:           2
        .value_kind:     hidden_group_size_x
      - .offset:         2782
        .size:           2
        .value_kind:     hidden_group_size_y
      - .offset:         2784
        .size:           2
        .value_kind:     hidden_group_size_z
      - .offset:         2786
        .size:           2
        .value_kind:     hidden_remainder_x
      - .offset:         2788
        .size:           2
        .value_kind:     hidden_remainder_y
      - .offset:         2790
        .size:           2
        .value_kind:     hidden_remainder_z
      - .offset:         2808
        .size:           8
        .value_kind:     hidden_global_offset_x
      - .offset:         2816
        .size:           8
        .value_kind:     hidden_global_offset_y
      - .offset:         2824
        .size:           8
        .value_kind:     hidden_global_offset_z
      - .offset:         2832
        .size:           2
        .value_kind:     hidden_grid_dims
    .group_segment_fixed_size: 0
    .kernarg_segment_align: 8
    .kernarg_segment_size: 3024
    .language:       OpenCL C
    .language_version:
      - 2
      - 0
    .max_flat_workgroup_size: 1024
    .name:           _ZN2at6native12_GLOBAL__N_135CatArrayBatchedCopy_alignedK_contigINS1_10OpaqueTypeILj4EEEjLi3ELi128ELi1ELi8EEEvPT_NS1_25CatArrInputTensorMetadataIS5_T0_XT2_EXT3_EEENS1_16TensorSizeStrideIS8_Lj4EEEiS8_
    .private_segment_fixed_size: 0
    .sgpr_count:     24
    .sgpr_spill_count: 0
    .symbol:         _ZN2at6native12_GLOBAL__N_135CatArrayBatchedCopy_alignedK_contigINS1_10OpaqueTypeILj4EEEjLi3ELi128ELi1ELi8EEEvPT_NS1_25CatArrInputTensorMetadataIS5_T0_XT2_EXT3_EEENS1_16TensorSizeStrideIS8_Lj4EEEiS8_.kd
    .uniform_work_group_size: 1
    .uses_dynamic_stack: false
    .vgpr_count:     20
    .vgpr_spill_count: 0
    .wavefront_size: 32
    .workgroup_processor_mode: 1
  - .args:
      - .address_space:  global
        .offset:         0
        .size:           8
        .value_kind:     global_buffer
      - .offset:         8
        .size:           2720
        .value_kind:     by_value
      - .offset:         2728
        .size:           32
        .value_kind:     by_value
      - .offset:         2760
        .size:           4
        .value_kind:     by_value
      - .offset:         2764
        .size:           4
        .value_kind:     by_value
      - .offset:         2768
        .size:           4
        .value_kind:     hidden_block_count_x
      - .offset:         2772
        .size:           4
        .value_kind:     hidden_block_count_y
      - .offset:         2776
        .size:           4
        .value_kind:     hidden_block_count_z
      - .offset:         2780
        .size:           2
        .value_kind:     hidden_group_size_x
      - .offset:         2782
        .size:           2
        .value_kind:     hidden_group_size_y
      - .offset:         2784
        .size:           2
        .value_kind:     hidden_group_size_z
      - .offset:         2786
        .size:           2
        .value_kind:     hidden_remainder_x
      - .offset:         2788
        .size:           2
        .value_kind:     hidden_remainder_y
      - .offset:         2790
        .size:           2
        .value_kind:     hidden_remainder_z
      - .offset:         2808
        .size:           8
        .value_kind:     hidden_global_offset_x
      - .offset:         2816
        .size:           8
        .value_kind:     hidden_global_offset_y
      - .offset:         2824
        .size:           8
        .value_kind:     hidden_global_offset_z
      - .offset:         2832
        .size:           2
        .value_kind:     hidden_grid_dims
    .group_segment_fixed_size: 0
    .kernarg_segment_align: 8
    .kernarg_segment_size: 3024
    .language:       OpenCL C
    .language_version:
      - 2
      - 0
    .max_flat_workgroup_size: 1024
    .name:           _ZN2at6native12_GLOBAL__N_126CatArrayBatchedCopy_contigINS1_10OpaqueTypeILj4EEEjLi3ELi128ELi1EEEvPT_NS1_25CatArrInputTensorMetadataIS5_T0_XT2_EXT3_EEENS1_16TensorSizeStrideIS8_Lj4EEEiS8_
    .private_segment_fixed_size: 0
    .sgpr_count:     24
    .sgpr_spill_count: 0
    .symbol:         _ZN2at6native12_GLOBAL__N_126CatArrayBatchedCopy_contigINS1_10OpaqueTypeILj4EEEjLi3ELi128ELi1EEEvPT_NS1_25CatArrInputTensorMetadataIS5_T0_XT2_EXT3_EEENS1_16TensorSizeStrideIS8_Lj4EEEiS8_.kd
    .uniform_work_group_size: 1
    .uses_dynamic_stack: false
    .vgpr_count:     11
    .vgpr_spill_count: 0
    .wavefront_size: 32
    .workgroup_processor_mode: 1
  - .args:
      - .address_space:  global
        .offset:         0
        .size:           8
        .value_kind:     global_buffer
      - .offset:         8
        .size:           2720
        .value_kind:     by_value
      - .offset:         2728
        .size:           32
        .value_kind:     by_value
      - .offset:         2760
        .size:           4
        .value_kind:     by_value
      - .offset:         2764
        .size:           4
        .value_kind:     by_value
      - .offset:         2768
        .size:           4
        .value_kind:     hidden_block_count_x
      - .offset:         2772
        .size:           4
        .value_kind:     hidden_block_count_y
      - .offset:         2776
        .size:           4
        .value_kind:     hidden_block_count_z
      - .offset:         2780
        .size:           2
        .value_kind:     hidden_group_size_x
      - .offset:         2782
        .size:           2
        .value_kind:     hidden_group_size_y
      - .offset:         2784
        .size:           2
        .value_kind:     hidden_group_size_z
      - .offset:         2786
        .size:           2
        .value_kind:     hidden_remainder_x
      - .offset:         2788
        .size:           2
        .value_kind:     hidden_remainder_y
      - .offset:         2790
        .size:           2
        .value_kind:     hidden_remainder_z
      - .offset:         2808
        .size:           8
        .value_kind:     hidden_global_offset_x
      - .offset:         2816
        .size:           8
        .value_kind:     hidden_global_offset_y
      - .offset:         2824
        .size:           8
        .value_kind:     hidden_global_offset_z
      - .offset:         2832
        .size:           2
        .value_kind:     hidden_grid_dims
    .group_segment_fixed_size: 0
    .kernarg_segment_align: 8
    .kernarg_segment_size: 3024
    .language:       OpenCL C
    .language_version:
      - 2
      - 0
    .max_flat_workgroup_size: 1024
    .name:           _ZN2at6native12_GLOBAL__N_119CatArrayBatchedCopyINS1_10OpaqueTypeILj4EEEjLi3ELi128ELi1EEEvPT_NS1_25CatArrInputTensorMetadataIS5_T0_XT2_EXT3_EEENS1_16TensorSizeStrideIS8_Lj4EEEiS8_
    .private_segment_fixed_size: 0
    .sgpr_count:     30
    .sgpr_spill_count: 0
    .symbol:         _ZN2at6native12_GLOBAL__N_119CatArrayBatchedCopyINS1_10OpaqueTypeILj4EEEjLi3ELi128ELi1EEEvPT_NS1_25CatArrInputTensorMetadataIS5_T0_XT2_EXT3_EEENS1_16TensorSizeStrideIS8_Lj4EEEiS8_.kd
    .uniform_work_group_size: 1
    .uses_dynamic_stack: false
    .vgpr_count:     12
    .vgpr_spill_count: 0
    .wavefront_size: 32
    .workgroup_processor_mode: 1
  - .args:
      - .address_space:  global
        .offset:         0
        .size:           8
        .value_kind:     global_buffer
      - .offset:         8
        .size:           2720
        .value_kind:     by_value
      - .offset:         2728
        .size:           32
        .value_kind:     by_value
      - .offset:         2760
        .size:           4
        .value_kind:     by_value
      - .offset:         2764
        .size:           4
        .value_kind:     by_value
      - .offset:         2768
        .size:           4
        .value_kind:     hidden_block_count_x
      - .offset:         2772
        .size:           4
        .value_kind:     hidden_block_count_y
      - .offset:         2776
        .size:           4
        .value_kind:     hidden_block_count_z
      - .offset:         2780
        .size:           2
        .value_kind:     hidden_group_size_x
      - .offset:         2782
        .size:           2
        .value_kind:     hidden_group_size_y
      - .offset:         2784
        .size:           2
        .value_kind:     hidden_group_size_z
      - .offset:         2786
        .size:           2
        .value_kind:     hidden_remainder_x
      - .offset:         2788
        .size:           2
        .value_kind:     hidden_remainder_y
      - .offset:         2790
        .size:           2
        .value_kind:     hidden_remainder_z
      - .offset:         2808
        .size:           8
        .value_kind:     hidden_global_offset_x
      - .offset:         2816
        .size:           8
        .value_kind:     hidden_global_offset_y
      - .offset:         2824
        .size:           8
        .value_kind:     hidden_global_offset_z
      - .offset:         2832
        .size:           2
        .value_kind:     hidden_grid_dims
    .group_segment_fixed_size: 0
    .kernarg_segment_align: 8
    .kernarg_segment_size: 3024
    .language:       OpenCL C
    .language_version:
      - 2
      - 0
    .max_flat_workgroup_size: 1024
    .name:           _ZN2at6native12_GLOBAL__N_130CatArrayBatchedCopy_vectorizedINS1_10OpaqueTypeILj4EEEjLi4ELi128ELi1ELi16ELi4EEEvPcNS1_25CatArrInputTensorMetadataIT_T0_XT2_EXT3_EEENS1_16TensorSizeStrideIS8_Lj4EEEiS8_
    .private_segment_fixed_size: 0
    .sgpr_count:     26
    .sgpr_spill_count: 0
    .symbol:         _ZN2at6native12_GLOBAL__N_130CatArrayBatchedCopy_vectorizedINS1_10OpaqueTypeILj4EEEjLi4ELi128ELi1ELi16ELi4EEEvPcNS1_25CatArrInputTensorMetadataIT_T0_XT2_EXT3_EEENS1_16TensorSizeStrideIS8_Lj4EEEiS8_.kd
    .uniform_work_group_size: 1
    .uses_dynamic_stack: false
    .vgpr_count:     16
    .vgpr_spill_count: 0
    .wavefront_size: 32
    .workgroup_processor_mode: 1
  - .args:
      - .address_space:  global
        .offset:         0
        .size:           8
        .value_kind:     global_buffer
      - .offset:         8
        .size:           2720
        .value_kind:     by_value
      - .offset:         2728
        .size:           32
        .value_kind:     by_value
      - .offset:         2760
        .size:           4
        .value_kind:     by_value
      - .offset:         2764
        .size:           4
        .value_kind:     by_value
      - .offset:         2768
        .size:           4
        .value_kind:     hidden_block_count_x
      - .offset:         2772
        .size:           4
        .value_kind:     hidden_block_count_y
      - .offset:         2776
        .size:           4
        .value_kind:     hidden_block_count_z
      - .offset:         2780
        .size:           2
        .value_kind:     hidden_group_size_x
      - .offset:         2782
        .size:           2
        .value_kind:     hidden_group_size_y
      - .offset:         2784
        .size:           2
        .value_kind:     hidden_group_size_z
      - .offset:         2786
        .size:           2
        .value_kind:     hidden_remainder_x
      - .offset:         2788
        .size:           2
        .value_kind:     hidden_remainder_y
      - .offset:         2790
        .size:           2
        .value_kind:     hidden_remainder_z
      - .offset:         2808
        .size:           8
        .value_kind:     hidden_global_offset_x
      - .offset:         2816
        .size:           8
        .value_kind:     hidden_global_offset_y
      - .offset:         2824
        .size:           8
        .value_kind:     hidden_global_offset_z
      - .offset:         2832
        .size:           2
        .value_kind:     hidden_grid_dims
    .group_segment_fixed_size: 0
    .kernarg_segment_align: 8
    .kernarg_segment_size: 3024
    .language:       OpenCL C
    .language_version:
      - 2
      - 0
    .max_flat_workgroup_size: 1024
    .name:           _ZN2at6native12_GLOBAL__N_135CatArrayBatchedCopy_alignedK_contigINS1_10OpaqueTypeILj4EEEjLi4ELi128ELi1ELi16EEEvPT_NS1_25CatArrInputTensorMetadataIS5_T0_XT2_EXT3_EEENS1_16TensorSizeStrideIS8_Lj4EEEiS8_
    .private_segment_fixed_size: 0
    .sgpr_count:     28
    .sgpr_spill_count: 0
    .symbol:         _ZN2at6native12_GLOBAL__N_135CatArrayBatchedCopy_alignedK_contigINS1_10OpaqueTypeILj4EEEjLi4ELi128ELi1ELi16EEEvPT_NS1_25CatArrInputTensorMetadataIS5_T0_XT2_EXT3_EEENS1_16TensorSizeStrideIS8_Lj4EEEiS8_.kd
    .uniform_work_group_size: 1
    .uses_dynamic_stack: false
    .vgpr_count:     40
    .vgpr_spill_count: 0
    .wavefront_size: 32
    .workgroup_processor_mode: 1
  - .args:
      - .address_space:  global
        .offset:         0
        .size:           8
        .value_kind:     global_buffer
      - .offset:         8
        .size:           2720
        .value_kind:     by_value
      - .offset:         2728
        .size:           32
        .value_kind:     by_value
      - .offset:         2760
        .size:           4
        .value_kind:     by_value
      - .offset:         2764
        .size:           4
        .value_kind:     by_value
      - .offset:         2768
        .size:           4
        .value_kind:     hidden_block_count_x
      - .offset:         2772
        .size:           4
        .value_kind:     hidden_block_count_y
      - .offset:         2776
        .size:           4
        .value_kind:     hidden_block_count_z
      - .offset:         2780
        .size:           2
        .value_kind:     hidden_group_size_x
      - .offset:         2782
        .size:           2
        .value_kind:     hidden_group_size_y
      - .offset:         2784
        .size:           2
        .value_kind:     hidden_group_size_z
      - .offset:         2786
        .size:           2
        .value_kind:     hidden_remainder_x
      - .offset:         2788
        .size:           2
        .value_kind:     hidden_remainder_y
      - .offset:         2790
        .size:           2
        .value_kind:     hidden_remainder_z
      - .offset:         2808
        .size:           8
        .value_kind:     hidden_global_offset_x
      - .offset:         2816
        .size:           8
        .value_kind:     hidden_global_offset_y
      - .offset:         2824
        .size:           8
        .value_kind:     hidden_global_offset_z
      - .offset:         2832
        .size:           2
        .value_kind:     hidden_grid_dims
    .group_segment_fixed_size: 0
    .kernarg_segment_align: 8
    .kernarg_segment_size: 3024
    .language:       OpenCL C
    .language_version:
      - 2
      - 0
    .max_flat_workgroup_size: 1024
    .name:           _ZN2at6native12_GLOBAL__N_135CatArrayBatchedCopy_alignedK_contigINS1_10OpaqueTypeILj4EEEjLi4ELi128ELi1ELi8EEEvPT_NS1_25CatArrInputTensorMetadataIS5_T0_XT2_EXT3_EEENS1_16TensorSizeStrideIS8_Lj4EEEiS8_
    .private_segment_fixed_size: 0
    .sgpr_count:     26
    .sgpr_spill_count: 0
    .symbol:         _ZN2at6native12_GLOBAL__N_135CatArrayBatchedCopy_alignedK_contigINS1_10OpaqueTypeILj4EEEjLi4ELi128ELi1ELi8EEEvPT_NS1_25CatArrInputTensorMetadataIS5_T0_XT2_EXT3_EEENS1_16TensorSizeStrideIS8_Lj4EEEiS8_.kd
    .uniform_work_group_size: 1
    .uses_dynamic_stack: false
    .vgpr_count:     23
    .vgpr_spill_count: 0
    .wavefront_size: 32
    .workgroup_processor_mode: 1
  - .args:
      - .address_space:  global
        .offset:         0
        .size:           8
        .value_kind:     global_buffer
      - .offset:         8
        .size:           2720
        .value_kind:     by_value
      - .offset:         2728
        .size:           32
        .value_kind:     by_value
      - .offset:         2760
        .size:           4
        .value_kind:     by_value
      - .offset:         2764
        .size:           4
        .value_kind:     by_value
      - .offset:         2768
        .size:           4
        .value_kind:     hidden_block_count_x
      - .offset:         2772
        .size:           4
        .value_kind:     hidden_block_count_y
      - .offset:         2776
        .size:           4
        .value_kind:     hidden_block_count_z
      - .offset:         2780
        .size:           2
        .value_kind:     hidden_group_size_x
      - .offset:         2782
        .size:           2
        .value_kind:     hidden_group_size_y
      - .offset:         2784
        .size:           2
        .value_kind:     hidden_group_size_z
      - .offset:         2786
        .size:           2
        .value_kind:     hidden_remainder_x
      - .offset:         2788
        .size:           2
        .value_kind:     hidden_remainder_y
      - .offset:         2790
        .size:           2
        .value_kind:     hidden_remainder_z
      - .offset:         2808
        .size:           8
        .value_kind:     hidden_global_offset_x
      - .offset:         2816
        .size:           8
        .value_kind:     hidden_global_offset_y
      - .offset:         2824
        .size:           8
        .value_kind:     hidden_global_offset_z
      - .offset:         2832
        .size:           2
        .value_kind:     hidden_grid_dims
    .group_segment_fixed_size: 0
    .kernarg_segment_align: 8
    .kernarg_segment_size: 3024
    .language:       OpenCL C
    .language_version:
      - 2
      - 0
    .max_flat_workgroup_size: 1024
    .name:           _ZN2at6native12_GLOBAL__N_126CatArrayBatchedCopy_contigINS1_10OpaqueTypeILj4EEEjLi4ELi128ELi1EEEvPT_NS1_25CatArrInputTensorMetadataIS5_T0_XT2_EXT3_EEENS1_16TensorSizeStrideIS8_Lj4EEEiS8_
    .private_segment_fixed_size: 0
    .sgpr_count:     26
    .sgpr_spill_count: 0
    .symbol:         _ZN2at6native12_GLOBAL__N_126CatArrayBatchedCopy_contigINS1_10OpaqueTypeILj4EEEjLi4ELi128ELi1EEEvPT_NS1_25CatArrInputTensorMetadataIS5_T0_XT2_EXT3_EEENS1_16TensorSizeStrideIS8_Lj4EEEiS8_.kd
    .uniform_work_group_size: 1
    .uses_dynamic_stack: false
    .vgpr_count:     13
    .vgpr_spill_count: 0
    .wavefront_size: 32
    .workgroup_processor_mode: 1
  - .args:
      - .address_space:  global
        .offset:         0
        .size:           8
        .value_kind:     global_buffer
      - .offset:         8
        .size:           2720
        .value_kind:     by_value
      - .offset:         2728
        .size:           32
        .value_kind:     by_value
      - .offset:         2760
        .size:           4
        .value_kind:     by_value
      - .offset:         2764
        .size:           4
        .value_kind:     by_value
      - .offset:         2768
        .size:           4
        .value_kind:     hidden_block_count_x
      - .offset:         2772
        .size:           4
        .value_kind:     hidden_block_count_y
      - .offset:         2776
        .size:           4
        .value_kind:     hidden_block_count_z
      - .offset:         2780
        .size:           2
        .value_kind:     hidden_group_size_x
      - .offset:         2782
        .size:           2
        .value_kind:     hidden_group_size_y
      - .offset:         2784
        .size:           2
        .value_kind:     hidden_group_size_z
      - .offset:         2786
        .size:           2
        .value_kind:     hidden_remainder_x
      - .offset:         2788
        .size:           2
        .value_kind:     hidden_remainder_y
      - .offset:         2790
        .size:           2
        .value_kind:     hidden_remainder_z
      - .offset:         2808
        .size:           8
        .value_kind:     hidden_global_offset_x
      - .offset:         2816
        .size:           8
        .value_kind:     hidden_global_offset_y
      - .offset:         2824
        .size:           8
        .value_kind:     hidden_global_offset_z
      - .offset:         2832
        .size:           2
        .value_kind:     hidden_grid_dims
    .group_segment_fixed_size: 0
    .kernarg_segment_align: 8
    .kernarg_segment_size: 3024
    .language:       OpenCL C
    .language_version:
      - 2
      - 0
    .max_flat_workgroup_size: 1024
    .name:           _ZN2at6native12_GLOBAL__N_119CatArrayBatchedCopyINS1_10OpaqueTypeILj4EEEjLi4ELi128ELi1EEEvPT_NS1_25CatArrInputTensorMetadataIS5_T0_XT2_EXT3_EEENS1_16TensorSizeStrideIS8_Lj4EEEiS8_
    .private_segment_fixed_size: 0
    .sgpr_count:     42
    .sgpr_spill_count: 0
    .symbol:         _ZN2at6native12_GLOBAL__N_119CatArrayBatchedCopyINS1_10OpaqueTypeILj4EEEjLi4ELi128ELi1EEEvPT_NS1_25CatArrInputTensorMetadataIS5_T0_XT2_EXT3_EEENS1_16TensorSizeStrideIS8_Lj4EEEiS8_.kd
    .uniform_work_group_size: 1
    .uses_dynamic_stack: false
    .vgpr_count:     17
    .vgpr_spill_count: 0
    .wavefront_size: 32
    .workgroup_processor_mode: 1
  - .args:
      - .address_space:  global
        .offset:         0
        .size:           8
        .value_kind:     global_buffer
      - .offset:         8
        .size:           2720
        .value_kind:     by_value
      - .offset:         2728
        .size:           32
        .value_kind:     by_value
      - .offset:         2760
        .size:           4
        .value_kind:     by_value
      - .offset:         2764
        .size:           4
        .value_kind:     by_value
      - .offset:         2768
        .size:           4
        .value_kind:     hidden_block_count_x
      - .offset:         2772
        .size:           4
        .value_kind:     hidden_block_count_y
      - .offset:         2776
        .size:           4
        .value_kind:     hidden_block_count_z
      - .offset:         2780
        .size:           2
        .value_kind:     hidden_group_size_x
      - .offset:         2782
        .size:           2
        .value_kind:     hidden_group_size_y
      - .offset:         2784
        .size:           2
        .value_kind:     hidden_group_size_z
      - .offset:         2786
        .size:           2
        .value_kind:     hidden_remainder_x
      - .offset:         2788
        .size:           2
        .value_kind:     hidden_remainder_y
      - .offset:         2790
        .size:           2
        .value_kind:     hidden_remainder_z
      - .offset:         2808
        .size:           8
        .value_kind:     hidden_global_offset_x
      - .offset:         2816
        .size:           8
        .value_kind:     hidden_global_offset_y
      - .offset:         2824
        .size:           8
        .value_kind:     hidden_global_offset_z
      - .offset:         2832
        .size:           2
        .value_kind:     hidden_grid_dims
    .group_segment_fixed_size: 0
    .kernarg_segment_align: 8
    .kernarg_segment_size: 3024
    .language:       OpenCL C
    .language_version:
      - 2
      - 0
    .max_flat_workgroup_size: 1024
    .name:           _ZN2at6native12_GLOBAL__N_130CatArrayBatchedCopy_vectorizedINS1_10OpaqueTypeILj8EEEjLi1ELi128ELi1ELi16ELi2EEEvPcNS1_25CatArrInputTensorMetadataIT_T0_XT2_EXT3_EEENS1_16TensorSizeStrideIS8_Lj4EEEiS8_
    .private_segment_fixed_size: 0
    .sgpr_count:     16
    .sgpr_spill_count: 0
    .symbol:         _ZN2at6native12_GLOBAL__N_130CatArrayBatchedCopy_vectorizedINS1_10OpaqueTypeILj8EEEjLi1ELi128ELi1ELi16ELi2EEEvPcNS1_25CatArrInputTensorMetadataIT_T0_XT2_EXT3_EEENS1_16TensorSizeStrideIS8_Lj4EEEiS8_.kd
    .uniform_work_group_size: 1
    .uses_dynamic_stack: false
    .vgpr_count:     10
    .vgpr_spill_count: 0
    .wavefront_size: 32
    .workgroup_processor_mode: 1
  - .args:
      - .address_space:  global
        .offset:         0
        .size:           8
        .value_kind:     global_buffer
      - .offset:         8
        .size:           2720
        .value_kind:     by_value
      - .offset:         2728
        .size:           32
        .value_kind:     by_value
      - .offset:         2760
        .size:           4
        .value_kind:     by_value
      - .offset:         2764
        .size:           4
        .value_kind:     by_value
      - .offset:         2768
        .size:           4
        .value_kind:     hidden_block_count_x
      - .offset:         2772
        .size:           4
        .value_kind:     hidden_block_count_y
      - .offset:         2776
        .size:           4
        .value_kind:     hidden_block_count_z
      - .offset:         2780
        .size:           2
        .value_kind:     hidden_group_size_x
      - .offset:         2782
        .size:           2
        .value_kind:     hidden_group_size_y
      - .offset:         2784
        .size:           2
        .value_kind:     hidden_group_size_z
      - .offset:         2786
        .size:           2
        .value_kind:     hidden_remainder_x
      - .offset:         2788
        .size:           2
        .value_kind:     hidden_remainder_y
      - .offset:         2790
        .size:           2
        .value_kind:     hidden_remainder_z
      - .offset:         2808
        .size:           8
        .value_kind:     hidden_global_offset_x
      - .offset:         2816
        .size:           8
        .value_kind:     hidden_global_offset_y
      - .offset:         2824
        .size:           8
        .value_kind:     hidden_global_offset_z
      - .offset:         2832
        .size:           2
        .value_kind:     hidden_grid_dims
    .group_segment_fixed_size: 0
    .kernarg_segment_align: 8
    .kernarg_segment_size: 3024
    .language:       OpenCL C
    .language_version:
      - 2
      - 0
    .max_flat_workgroup_size: 1024
    .name:           _ZN2at6native12_GLOBAL__N_135CatArrayBatchedCopy_alignedK_contigINS1_10OpaqueTypeILj8EEEjLi1ELi128ELi1ELi16EEEvPT_NS1_25CatArrInputTensorMetadataIS5_T0_XT2_EXT3_EEENS1_16TensorSizeStrideIS8_Lj4EEEiS8_
    .private_segment_fixed_size: 0
    .sgpr_count:     16
    .sgpr_spill_count: 0
    .symbol:         _ZN2at6native12_GLOBAL__N_135CatArrayBatchedCopy_alignedK_contigINS1_10OpaqueTypeILj8EEEjLi1ELi128ELi1ELi16EEEvPT_NS1_25CatArrInputTensorMetadataIS5_T0_XT2_EXT3_EEENS1_16TensorSizeStrideIS8_Lj4EEEiS8_.kd
    .uniform_work_group_size: 1
    .uses_dynamic_stack: false
    .vgpr_count:     13
    .vgpr_spill_count: 0
    .wavefront_size: 32
    .workgroup_processor_mode: 1
  - .args:
      - .address_space:  global
        .offset:         0
        .size:           8
        .value_kind:     global_buffer
      - .offset:         8
        .size:           2720
        .value_kind:     by_value
      - .offset:         2728
        .size:           32
        .value_kind:     by_value
      - .offset:         2760
        .size:           4
        .value_kind:     by_value
      - .offset:         2764
        .size:           4
        .value_kind:     by_value
      - .offset:         2768
        .size:           4
        .value_kind:     hidden_block_count_x
      - .offset:         2772
        .size:           4
        .value_kind:     hidden_block_count_y
      - .offset:         2776
        .size:           4
        .value_kind:     hidden_block_count_z
      - .offset:         2780
        .size:           2
        .value_kind:     hidden_group_size_x
      - .offset:         2782
        .size:           2
        .value_kind:     hidden_group_size_y
      - .offset:         2784
        .size:           2
        .value_kind:     hidden_group_size_z
      - .offset:         2786
        .size:           2
        .value_kind:     hidden_remainder_x
      - .offset:         2788
        .size:           2
        .value_kind:     hidden_remainder_y
      - .offset:         2790
        .size:           2
        .value_kind:     hidden_remainder_z
      - .offset:         2808
        .size:           8
        .value_kind:     hidden_global_offset_x
      - .offset:         2816
        .size:           8
        .value_kind:     hidden_global_offset_y
      - .offset:         2824
        .size:           8
        .value_kind:     hidden_global_offset_z
      - .offset:         2832
        .size:           2
        .value_kind:     hidden_grid_dims
    .group_segment_fixed_size: 0
    .kernarg_segment_align: 8
    .kernarg_segment_size: 3024
    .language:       OpenCL C
    .language_version:
      - 2
      - 0
    .max_flat_workgroup_size: 1024
    .name:           _ZN2at6native12_GLOBAL__N_135CatArrayBatchedCopy_alignedK_contigINS1_10OpaqueTypeILj8EEEjLi1ELi128ELi1ELi8EEEvPT_NS1_25CatArrInputTensorMetadataIS5_T0_XT2_EXT3_EEENS1_16TensorSizeStrideIS8_Lj4EEEiS8_
    .private_segment_fixed_size: 0
    .sgpr_count:     16
    .sgpr_spill_count: 0
    .symbol:         _ZN2at6native12_GLOBAL__N_135CatArrayBatchedCopy_alignedK_contigINS1_10OpaqueTypeILj8EEEjLi1ELi128ELi1ELi8EEEvPT_NS1_25CatArrInputTensorMetadataIS5_T0_XT2_EXT3_EEENS1_16TensorSizeStrideIS8_Lj4EEEiS8_.kd
    .uniform_work_group_size: 1
    .uses_dynamic_stack: false
    .vgpr_count:     10
    .vgpr_spill_count: 0
    .wavefront_size: 32
    .workgroup_processor_mode: 1
  - .args:
      - .address_space:  global
        .offset:         0
        .size:           8
        .value_kind:     global_buffer
      - .offset:         8
        .size:           2720
        .value_kind:     by_value
      - .offset:         2728
        .size:           32
        .value_kind:     by_value
      - .offset:         2760
        .size:           4
        .value_kind:     by_value
      - .offset:         2764
        .size:           4
        .value_kind:     by_value
      - .offset:         2768
        .size:           4
        .value_kind:     hidden_block_count_x
      - .offset:         2772
        .size:           4
        .value_kind:     hidden_block_count_y
      - .offset:         2776
        .size:           4
        .value_kind:     hidden_block_count_z
      - .offset:         2780
        .size:           2
        .value_kind:     hidden_group_size_x
      - .offset:         2782
        .size:           2
        .value_kind:     hidden_group_size_y
      - .offset:         2784
        .size:           2
        .value_kind:     hidden_group_size_z
      - .offset:         2786
        .size:           2
        .value_kind:     hidden_remainder_x
      - .offset:         2788
        .size:           2
        .value_kind:     hidden_remainder_y
      - .offset:         2790
        .size:           2
        .value_kind:     hidden_remainder_z
      - .offset:         2808
        .size:           8
        .value_kind:     hidden_global_offset_x
      - .offset:         2816
        .size:           8
        .value_kind:     hidden_global_offset_y
      - .offset:         2824
        .size:           8
        .value_kind:     hidden_global_offset_z
      - .offset:         2832
        .size:           2
        .value_kind:     hidden_grid_dims
    .group_segment_fixed_size: 0
    .kernarg_segment_align: 8
    .kernarg_segment_size: 3024
    .language:       OpenCL C
    .language_version:
      - 2
      - 0
    .max_flat_workgroup_size: 1024
    .name:           _ZN2at6native12_GLOBAL__N_126CatArrayBatchedCopy_contigINS1_10OpaqueTypeILj8EEEjLi1ELi128ELi1EEEvPT_NS1_25CatArrInputTensorMetadataIS5_T0_XT2_EXT3_EEENS1_16TensorSizeStrideIS8_Lj4EEEiS8_
    .private_segment_fixed_size: 0
    .sgpr_count:     17
    .sgpr_spill_count: 0
    .symbol:         _ZN2at6native12_GLOBAL__N_126CatArrayBatchedCopy_contigINS1_10OpaqueTypeILj8EEEjLi1ELi128ELi1EEEvPT_NS1_25CatArrInputTensorMetadataIS5_T0_XT2_EXT3_EEENS1_16TensorSizeStrideIS8_Lj4EEEiS8_.kd
    .uniform_work_group_size: 1
    .uses_dynamic_stack: false
    .vgpr_count:     8
    .vgpr_spill_count: 0
    .wavefront_size: 32
    .workgroup_processor_mode: 1
  - .args:
      - .address_space:  global
        .offset:         0
        .size:           8
        .value_kind:     global_buffer
      - .offset:         8
        .size:           2720
        .value_kind:     by_value
      - .offset:         2728
        .size:           32
        .value_kind:     by_value
      - .offset:         2760
        .size:           4
        .value_kind:     by_value
      - .offset:         2764
        .size:           4
        .value_kind:     by_value
      - .offset:         2768
        .size:           4
        .value_kind:     hidden_block_count_x
      - .offset:         2772
        .size:           4
        .value_kind:     hidden_block_count_y
      - .offset:         2776
        .size:           4
        .value_kind:     hidden_block_count_z
      - .offset:         2780
        .size:           2
        .value_kind:     hidden_group_size_x
      - .offset:         2782
        .size:           2
        .value_kind:     hidden_group_size_y
      - .offset:         2784
        .size:           2
        .value_kind:     hidden_group_size_z
      - .offset:         2786
        .size:           2
        .value_kind:     hidden_remainder_x
      - .offset:         2788
        .size:           2
        .value_kind:     hidden_remainder_y
      - .offset:         2790
        .size:           2
        .value_kind:     hidden_remainder_z
      - .offset:         2808
        .size:           8
        .value_kind:     hidden_global_offset_x
      - .offset:         2816
        .size:           8
        .value_kind:     hidden_global_offset_y
      - .offset:         2824
        .size:           8
        .value_kind:     hidden_global_offset_z
      - .offset:         2832
        .size:           2
        .value_kind:     hidden_grid_dims
    .group_segment_fixed_size: 0
    .kernarg_segment_align: 8
    .kernarg_segment_size: 3024
    .language:       OpenCL C
    .language_version:
      - 2
      - 0
    .max_flat_workgroup_size: 1024
    .name:           _ZN2at6native12_GLOBAL__N_119CatArrayBatchedCopyINS1_10OpaqueTypeILj8EEEjLi1ELi128ELi1EEEvPT_NS1_25CatArrInputTensorMetadataIS5_T0_XT2_EXT3_EEENS1_16TensorSizeStrideIS8_Lj4EEEiS8_
    .private_segment_fixed_size: 0
    .sgpr_count:     20
    .sgpr_spill_count: 0
    .symbol:         _ZN2at6native12_GLOBAL__N_119CatArrayBatchedCopyINS1_10OpaqueTypeILj8EEEjLi1ELi128ELi1EEEvPT_NS1_25CatArrInputTensorMetadataIS5_T0_XT2_EXT3_EEENS1_16TensorSizeStrideIS8_Lj4EEEiS8_.kd
    .uniform_work_group_size: 1
    .uses_dynamic_stack: false
    .vgpr_count:     9
    .vgpr_spill_count: 0
    .wavefront_size: 32
    .workgroup_processor_mode: 1
  - .args:
      - .address_space:  global
        .offset:         0
        .size:           8
        .value_kind:     global_buffer
      - .offset:         8
        .size:           2720
        .value_kind:     by_value
      - .offset:         2728
        .size:           32
        .value_kind:     by_value
      - .offset:         2760
        .size:           4
        .value_kind:     by_value
      - .offset:         2764
        .size:           4
        .value_kind:     by_value
      - .offset:         2768
        .size:           4
        .value_kind:     hidden_block_count_x
      - .offset:         2772
        .size:           4
        .value_kind:     hidden_block_count_y
      - .offset:         2776
        .size:           4
        .value_kind:     hidden_block_count_z
      - .offset:         2780
        .size:           2
        .value_kind:     hidden_group_size_x
      - .offset:         2782
        .size:           2
        .value_kind:     hidden_group_size_y
      - .offset:         2784
        .size:           2
        .value_kind:     hidden_group_size_z
      - .offset:         2786
        .size:           2
        .value_kind:     hidden_remainder_x
      - .offset:         2788
        .size:           2
        .value_kind:     hidden_remainder_y
      - .offset:         2790
        .size:           2
        .value_kind:     hidden_remainder_z
      - .offset:         2808
        .size:           8
        .value_kind:     hidden_global_offset_x
      - .offset:         2816
        .size:           8
        .value_kind:     hidden_global_offset_y
      - .offset:         2824
        .size:           8
        .value_kind:     hidden_global_offset_z
      - .offset:         2832
        .size:           2
        .value_kind:     hidden_grid_dims
    .group_segment_fixed_size: 0
    .kernarg_segment_align: 8
    .kernarg_segment_size: 3024
    .language:       OpenCL C
    .language_version:
      - 2
      - 0
    .max_flat_workgroup_size: 1024
    .name:           _ZN2at6native12_GLOBAL__N_130CatArrayBatchedCopy_vectorizedINS1_10OpaqueTypeILj8EEEjLi2ELi128ELi1ELi16ELi2EEEvPcNS1_25CatArrInputTensorMetadataIT_T0_XT2_EXT3_EEENS1_16TensorSizeStrideIS8_Lj4EEEiS8_
    .private_segment_fixed_size: 0
    .sgpr_count:     20
    .sgpr_spill_count: 0
    .symbol:         _ZN2at6native12_GLOBAL__N_130CatArrayBatchedCopy_vectorizedINS1_10OpaqueTypeILj8EEEjLi2ELi128ELi1ELi16ELi2EEEvPcNS1_25CatArrInputTensorMetadataIT_T0_XT2_EXT3_EEENS1_16TensorSizeStrideIS8_Lj4EEEiS8_.kd
    .uniform_work_group_size: 1
    .uses_dynamic_stack: false
    .vgpr_count:     12
    .vgpr_spill_count: 0
    .wavefront_size: 32
    .workgroup_processor_mode: 1
  - .args:
      - .address_space:  global
        .offset:         0
        .size:           8
        .value_kind:     global_buffer
      - .offset:         8
        .size:           2720
        .value_kind:     by_value
      - .offset:         2728
        .size:           32
        .value_kind:     by_value
      - .offset:         2760
        .size:           4
        .value_kind:     by_value
      - .offset:         2764
        .size:           4
        .value_kind:     by_value
      - .offset:         2768
        .size:           4
        .value_kind:     hidden_block_count_x
      - .offset:         2772
        .size:           4
        .value_kind:     hidden_block_count_y
      - .offset:         2776
        .size:           4
        .value_kind:     hidden_block_count_z
      - .offset:         2780
        .size:           2
        .value_kind:     hidden_group_size_x
      - .offset:         2782
        .size:           2
        .value_kind:     hidden_group_size_y
      - .offset:         2784
        .size:           2
        .value_kind:     hidden_group_size_z
      - .offset:         2786
        .size:           2
        .value_kind:     hidden_remainder_x
      - .offset:         2788
        .size:           2
        .value_kind:     hidden_remainder_y
      - .offset:         2790
        .size:           2
        .value_kind:     hidden_remainder_z
      - .offset:         2808
        .size:           8
        .value_kind:     hidden_global_offset_x
      - .offset:         2816
        .size:           8
        .value_kind:     hidden_global_offset_y
      - .offset:         2824
        .size:           8
        .value_kind:     hidden_global_offset_z
      - .offset:         2832
        .size:           2
        .value_kind:     hidden_grid_dims
    .group_segment_fixed_size: 0
    .kernarg_segment_align: 8
    .kernarg_segment_size: 3024
    .language:       OpenCL C
    .language_version:
      - 2
      - 0
    .max_flat_workgroup_size: 1024
    .name:           _ZN2at6native12_GLOBAL__N_135CatArrayBatchedCopy_alignedK_contigINS1_10OpaqueTypeILj8EEEjLi2ELi128ELi1ELi16EEEvPT_NS1_25CatArrInputTensorMetadataIS5_T0_XT2_EXT3_EEENS1_16TensorSizeStrideIS8_Lj4EEEiS8_
    .private_segment_fixed_size: 0
    .sgpr_count:     20
    .sgpr_spill_count: 0
    .symbol:         _ZN2at6native12_GLOBAL__N_135CatArrayBatchedCopy_alignedK_contigINS1_10OpaqueTypeILj8EEEjLi2ELi128ELi1ELi16EEEvPT_NS1_25CatArrInputTensorMetadataIS5_T0_XT2_EXT3_EEENS1_16TensorSizeStrideIS8_Lj4EEEiS8_.kd
    .uniform_work_group_size: 1
    .uses_dynamic_stack: false
    .vgpr_count:     20
    .vgpr_spill_count: 0
    .wavefront_size: 32
    .workgroup_processor_mode: 1
  - .args:
      - .address_space:  global
        .offset:         0
        .size:           8
        .value_kind:     global_buffer
      - .offset:         8
        .size:           2720
        .value_kind:     by_value
      - .offset:         2728
        .size:           32
        .value_kind:     by_value
      - .offset:         2760
        .size:           4
        .value_kind:     by_value
      - .offset:         2764
        .size:           4
        .value_kind:     by_value
      - .offset:         2768
        .size:           4
        .value_kind:     hidden_block_count_x
      - .offset:         2772
        .size:           4
        .value_kind:     hidden_block_count_y
      - .offset:         2776
        .size:           4
        .value_kind:     hidden_block_count_z
      - .offset:         2780
        .size:           2
        .value_kind:     hidden_group_size_x
      - .offset:         2782
        .size:           2
        .value_kind:     hidden_group_size_y
      - .offset:         2784
        .size:           2
        .value_kind:     hidden_group_size_z
      - .offset:         2786
        .size:           2
        .value_kind:     hidden_remainder_x
      - .offset:         2788
        .size:           2
        .value_kind:     hidden_remainder_y
      - .offset:         2790
        .size:           2
        .value_kind:     hidden_remainder_z
      - .offset:         2808
        .size:           8
        .value_kind:     hidden_global_offset_x
      - .offset:         2816
        .size:           8
        .value_kind:     hidden_global_offset_y
      - .offset:         2824
        .size:           8
        .value_kind:     hidden_global_offset_z
      - .offset:         2832
        .size:           2
        .value_kind:     hidden_grid_dims
    .group_segment_fixed_size: 0
    .kernarg_segment_align: 8
    .kernarg_segment_size: 3024
    .language:       OpenCL C
    .language_version:
      - 2
      - 0
    .max_flat_workgroup_size: 1024
    .name:           _ZN2at6native12_GLOBAL__N_135CatArrayBatchedCopy_alignedK_contigINS1_10OpaqueTypeILj8EEEjLi2ELi128ELi1ELi8EEEvPT_NS1_25CatArrInputTensorMetadataIS5_T0_XT2_EXT3_EEENS1_16TensorSizeStrideIS8_Lj4EEEiS8_
    .private_segment_fixed_size: 0
    .sgpr_count:     19
    .sgpr_spill_count: 0
    .symbol:         _ZN2at6native12_GLOBAL__N_135CatArrayBatchedCopy_alignedK_contigINS1_10OpaqueTypeILj8EEEjLi2ELi128ELi1ELi8EEEvPT_NS1_25CatArrInputTensorMetadataIS5_T0_XT2_EXT3_EEENS1_16TensorSizeStrideIS8_Lj4EEEiS8_.kd
    .uniform_work_group_size: 1
    .uses_dynamic_stack: false
    .vgpr_count:     13
    .vgpr_spill_count: 0
    .wavefront_size: 32
    .workgroup_processor_mode: 1
  - .args:
      - .address_space:  global
        .offset:         0
        .size:           8
        .value_kind:     global_buffer
      - .offset:         8
        .size:           2720
        .value_kind:     by_value
      - .offset:         2728
        .size:           32
        .value_kind:     by_value
      - .offset:         2760
        .size:           4
        .value_kind:     by_value
      - .offset:         2764
        .size:           4
        .value_kind:     by_value
      - .offset:         2768
        .size:           4
        .value_kind:     hidden_block_count_x
      - .offset:         2772
        .size:           4
        .value_kind:     hidden_block_count_y
      - .offset:         2776
        .size:           4
        .value_kind:     hidden_block_count_z
      - .offset:         2780
        .size:           2
        .value_kind:     hidden_group_size_x
      - .offset:         2782
        .size:           2
        .value_kind:     hidden_group_size_y
      - .offset:         2784
        .size:           2
        .value_kind:     hidden_group_size_z
      - .offset:         2786
        .size:           2
        .value_kind:     hidden_remainder_x
      - .offset:         2788
        .size:           2
        .value_kind:     hidden_remainder_y
      - .offset:         2790
        .size:           2
        .value_kind:     hidden_remainder_z
      - .offset:         2808
        .size:           8
        .value_kind:     hidden_global_offset_x
      - .offset:         2816
        .size:           8
        .value_kind:     hidden_global_offset_y
      - .offset:         2824
        .size:           8
        .value_kind:     hidden_global_offset_z
      - .offset:         2832
        .size:           2
        .value_kind:     hidden_grid_dims
    .group_segment_fixed_size: 0
    .kernarg_segment_align: 8
    .kernarg_segment_size: 3024
    .language:       OpenCL C
    .language_version:
      - 2
      - 0
    .max_flat_workgroup_size: 1024
    .name:           _ZN2at6native12_GLOBAL__N_126CatArrayBatchedCopy_contigINS1_10OpaqueTypeILj8EEEjLi2ELi128ELi1EEEvPT_NS1_25CatArrInputTensorMetadataIS5_T0_XT2_EXT3_EEENS1_16TensorSizeStrideIS8_Lj4EEEiS8_
    .private_segment_fixed_size: 0
    .sgpr_count:     19
    .sgpr_spill_count: 0
    .symbol:         _ZN2at6native12_GLOBAL__N_126CatArrayBatchedCopy_contigINS1_10OpaqueTypeILj8EEEjLi2ELi128ELi1EEEvPT_NS1_25CatArrInputTensorMetadataIS5_T0_XT2_EXT3_EEENS1_16TensorSizeStrideIS8_Lj4EEEiS8_.kd
    .uniform_work_group_size: 1
    .uses_dynamic_stack: false
    .vgpr_count:     10
    .vgpr_spill_count: 0
    .wavefront_size: 32
    .workgroup_processor_mode: 1
  - .args:
      - .address_space:  global
        .offset:         0
        .size:           8
        .value_kind:     global_buffer
      - .offset:         8
        .size:           2720
        .value_kind:     by_value
      - .offset:         2728
        .size:           32
        .value_kind:     by_value
      - .offset:         2760
        .size:           4
        .value_kind:     by_value
      - .offset:         2764
        .size:           4
        .value_kind:     by_value
      - .offset:         2768
        .size:           4
        .value_kind:     hidden_block_count_x
      - .offset:         2772
        .size:           4
        .value_kind:     hidden_block_count_y
      - .offset:         2776
        .size:           4
        .value_kind:     hidden_block_count_z
      - .offset:         2780
        .size:           2
        .value_kind:     hidden_group_size_x
      - .offset:         2782
        .size:           2
        .value_kind:     hidden_group_size_y
      - .offset:         2784
        .size:           2
        .value_kind:     hidden_group_size_z
      - .offset:         2786
        .size:           2
        .value_kind:     hidden_remainder_x
      - .offset:         2788
        .size:           2
        .value_kind:     hidden_remainder_y
      - .offset:         2790
        .size:           2
        .value_kind:     hidden_remainder_z
      - .offset:         2808
        .size:           8
        .value_kind:     hidden_global_offset_x
      - .offset:         2816
        .size:           8
        .value_kind:     hidden_global_offset_y
      - .offset:         2824
        .size:           8
        .value_kind:     hidden_global_offset_z
      - .offset:         2832
        .size:           2
        .value_kind:     hidden_grid_dims
    .group_segment_fixed_size: 0
    .kernarg_segment_align: 8
    .kernarg_segment_size: 3024
    .language:       OpenCL C
    .language_version:
      - 2
      - 0
    .max_flat_workgroup_size: 1024
    .name:           _ZN2at6native12_GLOBAL__N_119CatArrayBatchedCopyINS1_10OpaqueTypeILj8EEEjLi2ELi128ELi1EEEvPT_NS1_25CatArrInputTensorMetadataIS5_T0_XT2_EXT3_EEENS1_16TensorSizeStrideIS8_Lj4EEEiS8_
    .private_segment_fixed_size: 0
    .sgpr_count:     24
    .sgpr_spill_count: 0
    .symbol:         _ZN2at6native12_GLOBAL__N_119CatArrayBatchedCopyINS1_10OpaqueTypeILj8EEEjLi2ELi128ELi1EEEvPT_NS1_25CatArrInputTensorMetadataIS5_T0_XT2_EXT3_EEENS1_16TensorSizeStrideIS8_Lj4EEEiS8_.kd
    .uniform_work_group_size: 1
    .uses_dynamic_stack: false
    .vgpr_count:     11
    .vgpr_spill_count: 0
    .wavefront_size: 32
    .workgroup_processor_mode: 1
  - .args:
      - .address_space:  global
        .offset:         0
        .size:           8
        .value_kind:     global_buffer
      - .offset:         8
        .size:           2720
        .value_kind:     by_value
      - .offset:         2728
        .size:           32
        .value_kind:     by_value
      - .offset:         2760
        .size:           4
        .value_kind:     by_value
      - .offset:         2764
        .size:           4
        .value_kind:     by_value
      - .offset:         2768
        .size:           4
        .value_kind:     hidden_block_count_x
      - .offset:         2772
        .size:           4
        .value_kind:     hidden_block_count_y
      - .offset:         2776
        .size:           4
        .value_kind:     hidden_block_count_z
      - .offset:         2780
        .size:           2
        .value_kind:     hidden_group_size_x
      - .offset:         2782
        .size:           2
        .value_kind:     hidden_group_size_y
      - .offset:         2784
        .size:           2
        .value_kind:     hidden_group_size_z
      - .offset:         2786
        .size:           2
        .value_kind:     hidden_remainder_x
      - .offset:         2788
        .size:           2
        .value_kind:     hidden_remainder_y
      - .offset:         2790
        .size:           2
        .value_kind:     hidden_remainder_z
      - .offset:         2808
        .size:           8
        .value_kind:     hidden_global_offset_x
      - .offset:         2816
        .size:           8
        .value_kind:     hidden_global_offset_y
      - .offset:         2824
        .size:           8
        .value_kind:     hidden_global_offset_z
      - .offset:         2832
        .size:           2
        .value_kind:     hidden_grid_dims
    .group_segment_fixed_size: 0
    .kernarg_segment_align: 8
    .kernarg_segment_size: 3024
    .language:       OpenCL C
    .language_version:
      - 2
      - 0
    .max_flat_workgroup_size: 1024
    .name:           _ZN2at6native12_GLOBAL__N_130CatArrayBatchedCopy_vectorizedINS1_10OpaqueTypeILj8EEEjLi3ELi128ELi1ELi16ELi2EEEvPcNS1_25CatArrInputTensorMetadataIT_T0_XT2_EXT3_EEENS1_16TensorSizeStrideIS8_Lj4EEEiS8_
    .private_segment_fixed_size: 0
    .sgpr_count:     26
    .sgpr_spill_count: 0
    .symbol:         _ZN2at6native12_GLOBAL__N_130CatArrayBatchedCopy_vectorizedINS1_10OpaqueTypeILj8EEEjLi3ELi128ELi1ELi16ELi2EEEvPcNS1_25CatArrInputTensorMetadataIT_T0_XT2_EXT3_EEENS1_16TensorSizeStrideIS8_Lj4EEEiS8_.kd
    .uniform_work_group_size: 1
    .uses_dynamic_stack: false
    .vgpr_count:     13
    .vgpr_spill_count: 0
    .wavefront_size: 32
    .workgroup_processor_mode: 1
  - .args:
      - .address_space:  global
        .offset:         0
        .size:           8
        .value_kind:     global_buffer
      - .offset:         8
        .size:           2720
        .value_kind:     by_value
      - .offset:         2728
        .size:           32
        .value_kind:     by_value
      - .offset:         2760
        .size:           4
        .value_kind:     by_value
      - .offset:         2764
        .size:           4
        .value_kind:     by_value
      - .offset:         2768
        .size:           4
        .value_kind:     hidden_block_count_x
      - .offset:         2772
        .size:           4
        .value_kind:     hidden_block_count_y
      - .offset:         2776
        .size:           4
        .value_kind:     hidden_block_count_z
      - .offset:         2780
        .size:           2
        .value_kind:     hidden_group_size_x
      - .offset:         2782
        .size:           2
        .value_kind:     hidden_group_size_y
      - .offset:         2784
        .size:           2
        .value_kind:     hidden_group_size_z
      - .offset:         2786
        .size:           2
        .value_kind:     hidden_remainder_x
      - .offset:         2788
        .size:           2
        .value_kind:     hidden_remainder_y
      - .offset:         2790
        .size:           2
        .value_kind:     hidden_remainder_z
      - .offset:         2808
        .size:           8
        .value_kind:     hidden_global_offset_x
      - .offset:         2816
        .size:           8
        .value_kind:     hidden_global_offset_y
      - .offset:         2824
        .size:           8
        .value_kind:     hidden_global_offset_z
      - .offset:         2832
        .size:           2
        .value_kind:     hidden_grid_dims
    .group_segment_fixed_size: 0
    .kernarg_segment_align: 8
    .kernarg_segment_size: 3024
    .language:       OpenCL C
    .language_version:
      - 2
      - 0
    .max_flat_workgroup_size: 1024
    .name:           _ZN2at6native12_GLOBAL__N_135CatArrayBatchedCopy_alignedK_contigINS1_10OpaqueTypeILj8EEEjLi3ELi128ELi1ELi16EEEvPT_NS1_25CatArrInputTensorMetadataIS5_T0_XT2_EXT3_EEENS1_16TensorSizeStrideIS8_Lj4EEEiS8_
    .private_segment_fixed_size: 0
    .sgpr_count:     24
    .sgpr_spill_count: 0
    .symbol:         _ZN2at6native12_GLOBAL__N_135CatArrayBatchedCopy_alignedK_contigINS1_10OpaqueTypeILj8EEEjLi3ELi128ELi1ELi16EEEvPT_NS1_25CatArrInputTensorMetadataIS5_T0_XT2_EXT3_EEENS1_16TensorSizeStrideIS8_Lj4EEEiS8_.kd
    .uniform_work_group_size: 1
    .uses_dynamic_stack: false
    .vgpr_count:     22
    .vgpr_spill_count: 0
    .wavefront_size: 32
    .workgroup_processor_mode: 1
  - .args:
      - .address_space:  global
        .offset:         0
        .size:           8
        .value_kind:     global_buffer
      - .offset:         8
        .size:           2720
        .value_kind:     by_value
      - .offset:         2728
        .size:           32
        .value_kind:     by_value
      - .offset:         2760
        .size:           4
        .value_kind:     by_value
      - .offset:         2764
        .size:           4
        .value_kind:     by_value
      - .offset:         2768
        .size:           4
        .value_kind:     hidden_block_count_x
      - .offset:         2772
        .size:           4
        .value_kind:     hidden_block_count_y
      - .offset:         2776
        .size:           4
        .value_kind:     hidden_block_count_z
      - .offset:         2780
        .size:           2
        .value_kind:     hidden_group_size_x
      - .offset:         2782
        .size:           2
        .value_kind:     hidden_group_size_y
      - .offset:         2784
        .size:           2
        .value_kind:     hidden_group_size_z
      - .offset:         2786
        .size:           2
        .value_kind:     hidden_remainder_x
      - .offset:         2788
        .size:           2
        .value_kind:     hidden_remainder_y
      - .offset:         2790
        .size:           2
        .value_kind:     hidden_remainder_z
      - .offset:         2808
        .size:           8
        .value_kind:     hidden_global_offset_x
      - .offset:         2816
        .size:           8
        .value_kind:     hidden_global_offset_y
      - .offset:         2824
        .size:           8
        .value_kind:     hidden_global_offset_z
      - .offset:         2832
        .size:           2
        .value_kind:     hidden_grid_dims
    .group_segment_fixed_size: 0
    .kernarg_segment_align: 8
    .kernarg_segment_size: 3024
    .language:       OpenCL C
    .language_version:
      - 2
      - 0
    .max_flat_workgroup_size: 1024
    .name:           _ZN2at6native12_GLOBAL__N_135CatArrayBatchedCopy_alignedK_contigINS1_10OpaqueTypeILj8EEEjLi3ELi128ELi1ELi8EEEvPT_NS1_25CatArrInputTensorMetadataIS5_T0_XT2_EXT3_EEENS1_16TensorSizeStrideIS8_Lj4EEEiS8_
    .private_segment_fixed_size: 0
    .sgpr_count:     22
    .sgpr_spill_count: 0
    .symbol:         _ZN2at6native12_GLOBAL__N_135CatArrayBatchedCopy_alignedK_contigINS1_10OpaqueTypeILj8EEEjLi3ELi128ELi1ELi8EEEvPT_NS1_25CatArrInputTensorMetadataIS5_T0_XT2_EXT3_EEENS1_16TensorSizeStrideIS8_Lj4EEEiS8_.kd
    .uniform_work_group_size: 1
    .uses_dynamic_stack: false
    .vgpr_count:     16
    .vgpr_spill_count: 0
    .wavefront_size: 32
    .workgroup_processor_mode: 1
  - .args:
      - .address_space:  global
        .offset:         0
        .size:           8
        .value_kind:     global_buffer
      - .offset:         8
        .size:           2720
        .value_kind:     by_value
      - .offset:         2728
        .size:           32
        .value_kind:     by_value
      - .offset:         2760
        .size:           4
        .value_kind:     by_value
      - .offset:         2764
        .size:           4
        .value_kind:     by_value
      - .offset:         2768
        .size:           4
        .value_kind:     hidden_block_count_x
      - .offset:         2772
        .size:           4
        .value_kind:     hidden_block_count_y
      - .offset:         2776
        .size:           4
        .value_kind:     hidden_block_count_z
      - .offset:         2780
        .size:           2
        .value_kind:     hidden_group_size_x
      - .offset:         2782
        .size:           2
        .value_kind:     hidden_group_size_y
      - .offset:         2784
        .size:           2
        .value_kind:     hidden_group_size_z
      - .offset:         2786
        .size:           2
        .value_kind:     hidden_remainder_x
      - .offset:         2788
        .size:           2
        .value_kind:     hidden_remainder_y
      - .offset:         2790
        .size:           2
        .value_kind:     hidden_remainder_z
      - .offset:         2808
        .size:           8
        .value_kind:     hidden_global_offset_x
      - .offset:         2816
        .size:           8
        .value_kind:     hidden_global_offset_y
      - .offset:         2824
        .size:           8
        .value_kind:     hidden_global_offset_z
      - .offset:         2832
        .size:           2
        .value_kind:     hidden_grid_dims
    .group_segment_fixed_size: 0
    .kernarg_segment_align: 8
    .kernarg_segment_size: 3024
    .language:       OpenCL C
    .language_version:
      - 2
      - 0
    .max_flat_workgroup_size: 1024
    .name:           _ZN2at6native12_GLOBAL__N_126CatArrayBatchedCopy_contigINS1_10OpaqueTypeILj8EEEjLi3ELi128ELi1EEEvPT_NS1_25CatArrInputTensorMetadataIS5_T0_XT2_EXT3_EEENS1_16TensorSizeStrideIS8_Lj4EEEiS8_
    .private_segment_fixed_size: 0
    .sgpr_count:     24
    .sgpr_spill_count: 0
    .symbol:         _ZN2at6native12_GLOBAL__N_126CatArrayBatchedCopy_contigINS1_10OpaqueTypeILj8EEEjLi3ELi128ELi1EEEvPT_NS1_25CatArrInputTensorMetadataIS5_T0_XT2_EXT3_EEENS1_16TensorSizeStrideIS8_Lj4EEEiS8_.kd
    .uniform_work_group_size: 1
    .uses_dynamic_stack: false
    .vgpr_count:     12
    .vgpr_spill_count: 0
    .wavefront_size: 32
    .workgroup_processor_mode: 1
  - .args:
      - .address_space:  global
        .offset:         0
        .size:           8
        .value_kind:     global_buffer
      - .offset:         8
        .size:           2720
        .value_kind:     by_value
      - .offset:         2728
        .size:           32
        .value_kind:     by_value
      - .offset:         2760
        .size:           4
        .value_kind:     by_value
      - .offset:         2764
        .size:           4
        .value_kind:     by_value
      - .offset:         2768
        .size:           4
        .value_kind:     hidden_block_count_x
      - .offset:         2772
        .size:           4
        .value_kind:     hidden_block_count_y
      - .offset:         2776
        .size:           4
        .value_kind:     hidden_block_count_z
      - .offset:         2780
        .size:           2
        .value_kind:     hidden_group_size_x
      - .offset:         2782
        .size:           2
        .value_kind:     hidden_group_size_y
      - .offset:         2784
        .size:           2
        .value_kind:     hidden_group_size_z
      - .offset:         2786
        .size:           2
        .value_kind:     hidden_remainder_x
      - .offset:         2788
        .size:           2
        .value_kind:     hidden_remainder_y
      - .offset:         2790
        .size:           2
        .value_kind:     hidden_remainder_z
      - .offset:         2808
        .size:           8
        .value_kind:     hidden_global_offset_x
      - .offset:         2816
        .size:           8
        .value_kind:     hidden_global_offset_y
      - .offset:         2824
        .size:           8
        .value_kind:     hidden_global_offset_z
      - .offset:         2832
        .size:           2
        .value_kind:     hidden_grid_dims
    .group_segment_fixed_size: 0
    .kernarg_segment_align: 8
    .kernarg_segment_size: 3024
    .language:       OpenCL C
    .language_version:
      - 2
      - 0
    .max_flat_workgroup_size: 1024
    .name:           _ZN2at6native12_GLOBAL__N_119CatArrayBatchedCopyINS1_10OpaqueTypeILj8EEEjLi3ELi128ELi1EEEvPT_NS1_25CatArrInputTensorMetadataIS5_T0_XT2_EXT3_EEENS1_16TensorSizeStrideIS8_Lj4EEEiS8_
    .private_segment_fixed_size: 0
    .sgpr_count:     30
    .sgpr_spill_count: 0
    .symbol:         _ZN2at6native12_GLOBAL__N_119CatArrayBatchedCopyINS1_10OpaqueTypeILj8EEEjLi3ELi128ELi1EEEvPT_NS1_25CatArrInputTensorMetadataIS5_T0_XT2_EXT3_EEENS1_16TensorSizeStrideIS8_Lj4EEEiS8_.kd
    .uniform_work_group_size: 1
    .uses_dynamic_stack: false
    .vgpr_count:     13
    .vgpr_spill_count: 0
    .wavefront_size: 32
    .workgroup_processor_mode: 1
  - .args:
      - .address_space:  global
        .offset:         0
        .size:           8
        .value_kind:     global_buffer
      - .offset:         8
        .size:           2720
        .value_kind:     by_value
      - .offset:         2728
        .size:           32
        .value_kind:     by_value
      - .offset:         2760
        .size:           4
        .value_kind:     by_value
      - .offset:         2764
        .size:           4
        .value_kind:     by_value
      - .offset:         2768
        .size:           4
        .value_kind:     hidden_block_count_x
      - .offset:         2772
        .size:           4
        .value_kind:     hidden_block_count_y
      - .offset:         2776
        .size:           4
        .value_kind:     hidden_block_count_z
      - .offset:         2780
        .size:           2
        .value_kind:     hidden_group_size_x
      - .offset:         2782
        .size:           2
        .value_kind:     hidden_group_size_y
      - .offset:         2784
        .size:           2
        .value_kind:     hidden_group_size_z
      - .offset:         2786
        .size:           2
        .value_kind:     hidden_remainder_x
      - .offset:         2788
        .size:           2
        .value_kind:     hidden_remainder_y
      - .offset:         2790
        .size:           2
        .value_kind:     hidden_remainder_z
      - .offset:         2808
        .size:           8
        .value_kind:     hidden_global_offset_x
      - .offset:         2816
        .size:           8
        .value_kind:     hidden_global_offset_y
      - .offset:         2824
        .size:           8
        .value_kind:     hidden_global_offset_z
      - .offset:         2832
        .size:           2
        .value_kind:     hidden_grid_dims
    .group_segment_fixed_size: 0
    .kernarg_segment_align: 8
    .kernarg_segment_size: 3024
    .language:       OpenCL C
    .language_version:
      - 2
      - 0
    .max_flat_workgroup_size: 1024
    .name:           _ZN2at6native12_GLOBAL__N_130CatArrayBatchedCopy_vectorizedINS1_10OpaqueTypeILj8EEEjLi4ELi128ELi1ELi16ELi2EEEvPcNS1_25CatArrInputTensorMetadataIT_T0_XT2_EXT3_EEENS1_16TensorSizeStrideIS8_Lj4EEEiS8_
    .private_segment_fixed_size: 0
    .sgpr_count:     26
    .sgpr_spill_count: 0
    .symbol:         _ZN2at6native12_GLOBAL__N_130CatArrayBatchedCopy_vectorizedINS1_10OpaqueTypeILj8EEEjLi4ELi128ELi1ELi16ELi2EEEvPcNS1_25CatArrInputTensorMetadataIT_T0_XT2_EXT3_EEENS1_16TensorSizeStrideIS8_Lj4EEEiS8_.kd
    .uniform_work_group_size: 1
    .uses_dynamic_stack: false
    .vgpr_count:     16
    .vgpr_spill_count: 0
    .wavefront_size: 32
    .workgroup_processor_mode: 1
  - .args:
      - .address_space:  global
        .offset:         0
        .size:           8
        .value_kind:     global_buffer
      - .offset:         8
        .size:           2720
        .value_kind:     by_value
      - .offset:         2728
        .size:           32
        .value_kind:     by_value
      - .offset:         2760
        .size:           4
        .value_kind:     by_value
      - .offset:         2764
        .size:           4
        .value_kind:     by_value
      - .offset:         2768
        .size:           4
        .value_kind:     hidden_block_count_x
      - .offset:         2772
        .size:           4
        .value_kind:     hidden_block_count_y
      - .offset:         2776
        .size:           4
        .value_kind:     hidden_block_count_z
      - .offset:         2780
        .size:           2
        .value_kind:     hidden_group_size_x
      - .offset:         2782
        .size:           2
        .value_kind:     hidden_group_size_y
      - .offset:         2784
        .size:           2
        .value_kind:     hidden_group_size_z
      - .offset:         2786
        .size:           2
        .value_kind:     hidden_remainder_x
      - .offset:         2788
        .size:           2
        .value_kind:     hidden_remainder_y
      - .offset:         2790
        .size:           2
        .value_kind:     hidden_remainder_z
      - .offset:         2808
        .size:           8
        .value_kind:     hidden_global_offset_x
      - .offset:         2816
        .size:           8
        .value_kind:     hidden_global_offset_y
      - .offset:         2824
        .size:           8
        .value_kind:     hidden_global_offset_z
      - .offset:         2832
        .size:           2
        .value_kind:     hidden_grid_dims
    .group_segment_fixed_size: 0
    .kernarg_segment_align: 8
    .kernarg_segment_size: 3024
    .language:       OpenCL C
    .language_version:
      - 2
      - 0
    .max_flat_workgroup_size: 1024
    .name:           _ZN2at6native12_GLOBAL__N_135CatArrayBatchedCopy_alignedK_contigINS1_10OpaqueTypeILj8EEEjLi4ELi128ELi1ELi16EEEvPT_NS1_25CatArrInputTensorMetadataIS5_T0_XT2_EXT3_EEENS1_16TensorSizeStrideIS8_Lj4EEEiS8_
    .private_segment_fixed_size: 0
    .sgpr_count:     26
    .sgpr_spill_count: 0
    .symbol:         _ZN2at6native12_GLOBAL__N_135CatArrayBatchedCopy_alignedK_contigINS1_10OpaqueTypeILj8EEEjLi4ELi128ELi1ELi16EEEvPT_NS1_25CatArrInputTensorMetadataIS5_T0_XT2_EXT3_EEENS1_16TensorSizeStrideIS8_Lj4EEEiS8_.kd
    .uniform_work_group_size: 1
    .uses_dynamic_stack: false
    .vgpr_count:     25
    .vgpr_spill_count: 0
    .wavefront_size: 32
    .workgroup_processor_mode: 1
  - .args:
      - .address_space:  global
        .offset:         0
        .size:           8
        .value_kind:     global_buffer
      - .offset:         8
        .size:           2720
        .value_kind:     by_value
      - .offset:         2728
        .size:           32
        .value_kind:     by_value
      - .offset:         2760
        .size:           4
        .value_kind:     by_value
      - .offset:         2764
        .size:           4
        .value_kind:     by_value
      - .offset:         2768
        .size:           4
        .value_kind:     hidden_block_count_x
      - .offset:         2772
        .size:           4
        .value_kind:     hidden_block_count_y
      - .offset:         2776
        .size:           4
        .value_kind:     hidden_block_count_z
      - .offset:         2780
        .size:           2
        .value_kind:     hidden_group_size_x
      - .offset:         2782
        .size:           2
        .value_kind:     hidden_group_size_y
      - .offset:         2784
        .size:           2
        .value_kind:     hidden_group_size_z
      - .offset:         2786
        .size:           2
        .value_kind:     hidden_remainder_x
      - .offset:         2788
        .size:           2
        .value_kind:     hidden_remainder_y
      - .offset:         2790
        .size:           2
        .value_kind:     hidden_remainder_z
      - .offset:         2808
        .size:           8
        .value_kind:     hidden_global_offset_x
      - .offset:         2816
        .size:           8
        .value_kind:     hidden_global_offset_y
      - .offset:         2824
        .size:           8
        .value_kind:     hidden_global_offset_z
      - .offset:         2832
        .size:           2
        .value_kind:     hidden_grid_dims
    .group_segment_fixed_size: 0
    .kernarg_segment_align: 8
    .kernarg_segment_size: 3024
    .language:       OpenCL C
    .language_version:
      - 2
      - 0
    .max_flat_workgroup_size: 1024
    .name:           _ZN2at6native12_GLOBAL__N_135CatArrayBatchedCopy_alignedK_contigINS1_10OpaqueTypeILj8EEEjLi4ELi128ELi1ELi8EEEvPT_NS1_25CatArrInputTensorMetadataIS5_T0_XT2_EXT3_EEENS1_16TensorSizeStrideIS8_Lj4EEEiS8_
    .private_segment_fixed_size: 0
    .sgpr_count:     22
    .sgpr_spill_count: 0
    .symbol:         _ZN2at6native12_GLOBAL__N_135CatArrayBatchedCopy_alignedK_contigINS1_10OpaqueTypeILj8EEEjLi4ELi128ELi1ELi8EEEvPT_NS1_25CatArrInputTensorMetadataIS5_T0_XT2_EXT3_EEENS1_16TensorSizeStrideIS8_Lj4EEEiS8_.kd
    .uniform_work_group_size: 1
    .uses_dynamic_stack: false
    .vgpr_count:     18
    .vgpr_spill_count: 0
    .wavefront_size: 32
    .workgroup_processor_mode: 1
  - .args:
      - .address_space:  global
        .offset:         0
        .size:           8
        .value_kind:     global_buffer
      - .offset:         8
        .size:           2720
        .value_kind:     by_value
      - .offset:         2728
        .size:           32
        .value_kind:     by_value
      - .offset:         2760
        .size:           4
        .value_kind:     by_value
      - .offset:         2764
        .size:           4
        .value_kind:     by_value
      - .offset:         2768
        .size:           4
        .value_kind:     hidden_block_count_x
      - .offset:         2772
        .size:           4
        .value_kind:     hidden_block_count_y
      - .offset:         2776
        .size:           4
        .value_kind:     hidden_block_count_z
      - .offset:         2780
        .size:           2
        .value_kind:     hidden_group_size_x
      - .offset:         2782
        .size:           2
        .value_kind:     hidden_group_size_y
      - .offset:         2784
        .size:           2
        .value_kind:     hidden_group_size_z
      - .offset:         2786
        .size:           2
        .value_kind:     hidden_remainder_x
      - .offset:         2788
        .size:           2
        .value_kind:     hidden_remainder_y
      - .offset:         2790
        .size:           2
        .value_kind:     hidden_remainder_z
      - .offset:         2808
        .size:           8
        .value_kind:     hidden_global_offset_x
      - .offset:         2816
        .size:           8
        .value_kind:     hidden_global_offset_y
      - .offset:         2824
        .size:           8
        .value_kind:     hidden_global_offset_z
      - .offset:         2832
        .size:           2
        .value_kind:     hidden_grid_dims
    .group_segment_fixed_size: 0
    .kernarg_segment_align: 8
    .kernarg_segment_size: 3024
    .language:       OpenCL C
    .language_version:
      - 2
      - 0
    .max_flat_workgroup_size: 1024
    .name:           _ZN2at6native12_GLOBAL__N_126CatArrayBatchedCopy_contigINS1_10OpaqueTypeILj8EEEjLi4ELi128ELi1EEEvPT_NS1_25CatArrInputTensorMetadataIS5_T0_XT2_EXT3_EEENS1_16TensorSizeStrideIS8_Lj4EEEiS8_
    .private_segment_fixed_size: 0
    .sgpr_count:     26
    .sgpr_spill_count: 0
    .symbol:         _ZN2at6native12_GLOBAL__N_126CatArrayBatchedCopy_contigINS1_10OpaqueTypeILj8EEEjLi4ELi128ELi1EEEvPT_NS1_25CatArrInputTensorMetadataIS5_T0_XT2_EXT3_EEENS1_16TensorSizeStrideIS8_Lj4EEEiS8_.kd
    .uniform_work_group_size: 1
    .uses_dynamic_stack: false
    .vgpr_count:     14
    .vgpr_spill_count: 0
    .wavefront_size: 32
    .workgroup_processor_mode: 1
  - .args:
      - .address_space:  global
        .offset:         0
        .size:           8
        .value_kind:     global_buffer
      - .offset:         8
        .size:           2720
        .value_kind:     by_value
      - .offset:         2728
        .size:           32
        .value_kind:     by_value
      - .offset:         2760
        .size:           4
        .value_kind:     by_value
      - .offset:         2764
        .size:           4
        .value_kind:     by_value
      - .offset:         2768
        .size:           4
        .value_kind:     hidden_block_count_x
      - .offset:         2772
        .size:           4
        .value_kind:     hidden_block_count_y
      - .offset:         2776
        .size:           4
        .value_kind:     hidden_block_count_z
      - .offset:         2780
        .size:           2
        .value_kind:     hidden_group_size_x
      - .offset:         2782
        .size:           2
        .value_kind:     hidden_group_size_y
      - .offset:         2784
        .size:           2
        .value_kind:     hidden_group_size_z
      - .offset:         2786
        .size:           2
        .value_kind:     hidden_remainder_x
      - .offset:         2788
        .size:           2
        .value_kind:     hidden_remainder_y
      - .offset:         2790
        .size:           2
        .value_kind:     hidden_remainder_z
      - .offset:         2808
        .size:           8
        .value_kind:     hidden_global_offset_x
      - .offset:         2816
        .size:           8
        .value_kind:     hidden_global_offset_y
      - .offset:         2824
        .size:           8
        .value_kind:     hidden_global_offset_z
      - .offset:         2832
        .size:           2
        .value_kind:     hidden_grid_dims
    .group_segment_fixed_size: 0
    .kernarg_segment_align: 8
    .kernarg_segment_size: 3024
    .language:       OpenCL C
    .language_version:
      - 2
      - 0
    .max_flat_workgroup_size: 1024
    .name:           _ZN2at6native12_GLOBAL__N_119CatArrayBatchedCopyINS1_10OpaqueTypeILj8EEEjLi4ELi128ELi1EEEvPT_NS1_25CatArrInputTensorMetadataIS5_T0_XT2_EXT3_EEENS1_16TensorSizeStrideIS8_Lj4EEEiS8_
    .private_segment_fixed_size: 0
    .sgpr_count:     42
    .sgpr_spill_count: 0
    .symbol:         _ZN2at6native12_GLOBAL__N_119CatArrayBatchedCopyINS1_10OpaqueTypeILj8EEEjLi4ELi128ELi1EEEvPT_NS1_25CatArrInputTensorMetadataIS5_T0_XT2_EXT3_EEENS1_16TensorSizeStrideIS8_Lj4EEEiS8_.kd
    .uniform_work_group_size: 1
    .uses_dynamic_stack: false
    .vgpr_count:     17
    .vgpr_spill_count: 0
    .wavefront_size: 32
    .workgroup_processor_mode: 1
  - .args:
      - .address_space:  global
        .offset:         0
        .size:           8
        .value_kind:     global_buffer
      - .offset:         8
        .size:           2720
        .value_kind:     by_value
      - .offset:         2728
        .size:           32
        .value_kind:     by_value
      - .offset:         2760
        .size:           4
        .value_kind:     by_value
      - .offset:         2764
        .size:           4
        .value_kind:     by_value
      - .offset:         2768
        .size:           4
        .value_kind:     hidden_block_count_x
      - .offset:         2772
        .size:           4
        .value_kind:     hidden_block_count_y
      - .offset:         2776
        .size:           4
        .value_kind:     hidden_block_count_z
      - .offset:         2780
        .size:           2
        .value_kind:     hidden_group_size_x
      - .offset:         2782
        .size:           2
        .value_kind:     hidden_group_size_y
      - .offset:         2784
        .size:           2
        .value_kind:     hidden_group_size_z
      - .offset:         2786
        .size:           2
        .value_kind:     hidden_remainder_x
      - .offset:         2788
        .size:           2
        .value_kind:     hidden_remainder_y
      - .offset:         2790
        .size:           2
        .value_kind:     hidden_remainder_z
      - .offset:         2808
        .size:           8
        .value_kind:     hidden_global_offset_x
      - .offset:         2816
        .size:           8
        .value_kind:     hidden_global_offset_y
      - .offset:         2824
        .size:           8
        .value_kind:     hidden_global_offset_z
      - .offset:         2832
        .size:           2
        .value_kind:     hidden_grid_dims
    .group_segment_fixed_size: 0
    .kernarg_segment_align: 8
    .kernarg_segment_size: 3024
    .language:       OpenCL C
    .language_version:
      - 2
      - 0
    .max_flat_workgroup_size: 1024
    .name:           _ZN2at6native12_GLOBAL__N_130CatArrayBatchedCopy_vectorizedINS1_10OpaqueTypeILj16EEEjLi1ELi128ELi1ELi16ELi1EEEvPcNS1_25CatArrInputTensorMetadataIT_T0_XT2_EXT3_EEENS1_16TensorSizeStrideIS8_Lj4EEEiS8_
    .private_segment_fixed_size: 0
    .sgpr_count:     18
    .sgpr_spill_count: 0
    .symbol:         _ZN2at6native12_GLOBAL__N_130CatArrayBatchedCopy_vectorizedINS1_10OpaqueTypeILj16EEEjLi1ELi128ELi1ELi16ELi1EEEvPcNS1_25CatArrInputTensorMetadataIT_T0_XT2_EXT3_EEENS1_16TensorSizeStrideIS8_Lj4EEEiS8_.kd
    .uniform_work_group_size: 1
    .uses_dynamic_stack: false
    .vgpr_count:     10
    .vgpr_spill_count: 0
    .wavefront_size: 32
    .workgroup_processor_mode: 1
  - .args:
      - .address_space:  global
        .offset:         0
        .size:           8
        .value_kind:     global_buffer
      - .offset:         8
        .size:           2720
        .value_kind:     by_value
      - .offset:         2728
        .size:           32
        .value_kind:     by_value
      - .offset:         2760
        .size:           4
        .value_kind:     by_value
      - .offset:         2764
        .size:           4
        .value_kind:     by_value
      - .offset:         2768
        .size:           4
        .value_kind:     hidden_block_count_x
      - .offset:         2772
        .size:           4
        .value_kind:     hidden_block_count_y
      - .offset:         2776
        .size:           4
        .value_kind:     hidden_block_count_z
      - .offset:         2780
        .size:           2
        .value_kind:     hidden_group_size_x
      - .offset:         2782
        .size:           2
        .value_kind:     hidden_group_size_y
      - .offset:         2784
        .size:           2
        .value_kind:     hidden_group_size_z
      - .offset:         2786
        .size:           2
        .value_kind:     hidden_remainder_x
      - .offset:         2788
        .size:           2
        .value_kind:     hidden_remainder_y
      - .offset:         2790
        .size:           2
        .value_kind:     hidden_remainder_z
      - .offset:         2808
        .size:           8
        .value_kind:     hidden_global_offset_x
      - .offset:         2816
        .size:           8
        .value_kind:     hidden_global_offset_y
      - .offset:         2824
        .size:           8
        .value_kind:     hidden_global_offset_z
      - .offset:         2832
        .size:           2
        .value_kind:     hidden_grid_dims
    .group_segment_fixed_size: 0
    .kernarg_segment_align: 8
    .kernarg_segment_size: 3024
    .language:       OpenCL C
    .language_version:
      - 2
      - 0
    .max_flat_workgroup_size: 1024
    .name:           _ZN2at6native12_GLOBAL__N_135CatArrayBatchedCopy_alignedK_contigINS1_10OpaqueTypeILj16EEEjLi1ELi128ELi1ELi16EEEvPT_NS1_25CatArrInputTensorMetadataIS5_T0_XT2_EXT3_EEENS1_16TensorSizeStrideIS8_Lj4EEEiS8_
    .private_segment_fixed_size: 0
    .sgpr_count:     16
    .sgpr_spill_count: 0
    .symbol:         _ZN2at6native12_GLOBAL__N_135CatArrayBatchedCopy_alignedK_contigINS1_10OpaqueTypeILj16EEEjLi1ELi128ELi1ELi16EEEvPT_NS1_25CatArrInputTensorMetadataIS5_T0_XT2_EXT3_EEENS1_16TensorSizeStrideIS8_Lj4EEEiS8_.kd
    .uniform_work_group_size: 1
    .uses_dynamic_stack: false
    .vgpr_count:     12
    .vgpr_spill_count: 0
    .wavefront_size: 32
    .workgroup_processor_mode: 1
  - .args:
      - .address_space:  global
        .offset:         0
        .size:           8
        .value_kind:     global_buffer
      - .offset:         8
        .size:           2720
        .value_kind:     by_value
      - .offset:         2728
        .size:           32
        .value_kind:     by_value
      - .offset:         2760
        .size:           4
        .value_kind:     by_value
      - .offset:         2764
        .size:           4
        .value_kind:     by_value
      - .offset:         2768
        .size:           4
        .value_kind:     hidden_block_count_x
      - .offset:         2772
        .size:           4
        .value_kind:     hidden_block_count_y
      - .offset:         2776
        .size:           4
        .value_kind:     hidden_block_count_z
      - .offset:         2780
        .size:           2
        .value_kind:     hidden_group_size_x
      - .offset:         2782
        .size:           2
        .value_kind:     hidden_group_size_y
      - .offset:         2784
        .size:           2
        .value_kind:     hidden_group_size_z
      - .offset:         2786
        .size:           2
        .value_kind:     hidden_remainder_x
      - .offset:         2788
        .size:           2
        .value_kind:     hidden_remainder_y
      - .offset:         2790
        .size:           2
        .value_kind:     hidden_remainder_z
      - .offset:         2808
        .size:           8
        .value_kind:     hidden_global_offset_x
      - .offset:         2816
        .size:           8
        .value_kind:     hidden_global_offset_y
      - .offset:         2824
        .size:           8
        .value_kind:     hidden_global_offset_z
      - .offset:         2832
        .size:           2
        .value_kind:     hidden_grid_dims
    .group_segment_fixed_size: 0
    .kernarg_segment_align: 8
    .kernarg_segment_size: 3024
    .language:       OpenCL C
    .language_version:
      - 2
      - 0
    .max_flat_workgroup_size: 1024
    .name:           _ZN2at6native12_GLOBAL__N_135CatArrayBatchedCopy_alignedK_contigINS1_10OpaqueTypeILj16EEEjLi1ELi128ELi1ELi8EEEvPT_NS1_25CatArrInputTensorMetadataIS5_T0_XT2_EXT3_EEENS1_16TensorSizeStrideIS8_Lj4EEEiS8_
    .private_segment_fixed_size: 0
    .sgpr_count:     16
    .sgpr_spill_count: 0
    .symbol:         _ZN2at6native12_GLOBAL__N_135CatArrayBatchedCopy_alignedK_contigINS1_10OpaqueTypeILj16EEEjLi1ELi128ELi1ELi8EEEvPT_NS1_25CatArrInputTensorMetadataIS5_T0_XT2_EXT3_EEENS1_16TensorSizeStrideIS8_Lj4EEEiS8_.kd
    .uniform_work_group_size: 1
    .uses_dynamic_stack: false
    .vgpr_count:     12
    .vgpr_spill_count: 0
    .wavefront_size: 32
    .workgroup_processor_mode: 1
  - .args:
      - .address_space:  global
        .offset:         0
        .size:           8
        .value_kind:     global_buffer
      - .offset:         8
        .size:           2720
        .value_kind:     by_value
      - .offset:         2728
        .size:           32
        .value_kind:     by_value
      - .offset:         2760
        .size:           4
        .value_kind:     by_value
      - .offset:         2764
        .size:           4
        .value_kind:     by_value
      - .offset:         2768
        .size:           4
        .value_kind:     hidden_block_count_x
      - .offset:         2772
        .size:           4
        .value_kind:     hidden_block_count_y
      - .offset:         2776
        .size:           4
        .value_kind:     hidden_block_count_z
      - .offset:         2780
        .size:           2
        .value_kind:     hidden_group_size_x
      - .offset:         2782
        .size:           2
        .value_kind:     hidden_group_size_y
      - .offset:         2784
        .size:           2
        .value_kind:     hidden_group_size_z
      - .offset:         2786
        .size:           2
        .value_kind:     hidden_remainder_x
      - .offset:         2788
        .size:           2
        .value_kind:     hidden_remainder_y
      - .offset:         2790
        .size:           2
        .value_kind:     hidden_remainder_z
      - .offset:         2808
        .size:           8
        .value_kind:     hidden_global_offset_x
      - .offset:         2816
        .size:           8
        .value_kind:     hidden_global_offset_y
      - .offset:         2824
        .size:           8
        .value_kind:     hidden_global_offset_z
      - .offset:         2832
        .size:           2
        .value_kind:     hidden_grid_dims
    .group_segment_fixed_size: 0
    .kernarg_segment_align: 8
    .kernarg_segment_size: 3024
    .language:       OpenCL C
    .language_version:
      - 2
      - 0
    .max_flat_workgroup_size: 1024
    .name:           _ZN2at6native12_GLOBAL__N_126CatArrayBatchedCopy_contigINS1_10OpaqueTypeILj16EEEjLi1ELi128ELi1EEEvPT_NS1_25CatArrInputTensorMetadataIS5_T0_XT2_EXT3_EEENS1_16TensorSizeStrideIS8_Lj4EEEiS8_
    .private_segment_fixed_size: 0
    .sgpr_count:     17
    .sgpr_spill_count: 0
    .symbol:         _ZN2at6native12_GLOBAL__N_126CatArrayBatchedCopy_contigINS1_10OpaqueTypeILj16EEEjLi1ELi128ELi1EEEvPT_NS1_25CatArrInputTensorMetadataIS5_T0_XT2_EXT3_EEENS1_16TensorSizeStrideIS8_Lj4EEEiS8_.kd
    .uniform_work_group_size: 1
    .uses_dynamic_stack: false
    .vgpr_count:     10
    .vgpr_spill_count: 0
    .wavefront_size: 32
    .workgroup_processor_mode: 1
  - .args:
      - .address_space:  global
        .offset:         0
        .size:           8
        .value_kind:     global_buffer
      - .offset:         8
        .size:           2720
        .value_kind:     by_value
      - .offset:         2728
        .size:           32
        .value_kind:     by_value
      - .offset:         2760
        .size:           4
        .value_kind:     by_value
      - .offset:         2764
        .size:           4
        .value_kind:     by_value
      - .offset:         2768
        .size:           4
        .value_kind:     hidden_block_count_x
      - .offset:         2772
        .size:           4
        .value_kind:     hidden_block_count_y
      - .offset:         2776
        .size:           4
        .value_kind:     hidden_block_count_z
      - .offset:         2780
        .size:           2
        .value_kind:     hidden_group_size_x
      - .offset:         2782
        .size:           2
        .value_kind:     hidden_group_size_y
      - .offset:         2784
        .size:           2
        .value_kind:     hidden_group_size_z
      - .offset:         2786
        .size:           2
        .value_kind:     hidden_remainder_x
      - .offset:         2788
        .size:           2
        .value_kind:     hidden_remainder_y
      - .offset:         2790
        .size:           2
        .value_kind:     hidden_remainder_z
      - .offset:         2808
        .size:           8
        .value_kind:     hidden_global_offset_x
      - .offset:         2816
        .size:           8
        .value_kind:     hidden_global_offset_y
      - .offset:         2824
        .size:           8
        .value_kind:     hidden_global_offset_z
      - .offset:         2832
        .size:           2
        .value_kind:     hidden_grid_dims
    .group_segment_fixed_size: 0
    .kernarg_segment_align: 8
    .kernarg_segment_size: 3024
    .language:       OpenCL C
    .language_version:
      - 2
      - 0
    .max_flat_workgroup_size: 1024
    .name:           _ZN2at6native12_GLOBAL__N_119CatArrayBatchedCopyINS1_10OpaqueTypeILj16EEEjLi1ELi128ELi1EEEvPT_NS1_25CatArrInputTensorMetadataIS5_T0_XT2_EXT3_EEENS1_16TensorSizeStrideIS8_Lj4EEEiS8_
    .private_segment_fixed_size: 0
    .sgpr_count:     20
    .sgpr_spill_count: 0
    .symbol:         _ZN2at6native12_GLOBAL__N_119CatArrayBatchedCopyINS1_10OpaqueTypeILj16EEEjLi1ELi128ELi1EEEvPT_NS1_25CatArrInputTensorMetadataIS5_T0_XT2_EXT3_EEENS1_16TensorSizeStrideIS8_Lj4EEEiS8_.kd
    .uniform_work_group_size: 1
    .uses_dynamic_stack: false
    .vgpr_count:     11
    .vgpr_spill_count: 0
    .wavefront_size: 32
    .workgroup_processor_mode: 1
  - .args:
      - .address_space:  global
        .offset:         0
        .size:           8
        .value_kind:     global_buffer
      - .offset:         8
        .size:           2720
        .value_kind:     by_value
      - .offset:         2728
        .size:           32
        .value_kind:     by_value
      - .offset:         2760
        .size:           4
        .value_kind:     by_value
      - .offset:         2764
        .size:           4
        .value_kind:     by_value
      - .offset:         2768
        .size:           4
        .value_kind:     hidden_block_count_x
      - .offset:         2772
        .size:           4
        .value_kind:     hidden_block_count_y
      - .offset:         2776
        .size:           4
        .value_kind:     hidden_block_count_z
      - .offset:         2780
        .size:           2
        .value_kind:     hidden_group_size_x
      - .offset:         2782
        .size:           2
        .value_kind:     hidden_group_size_y
      - .offset:         2784
        .size:           2
        .value_kind:     hidden_group_size_z
      - .offset:         2786
        .size:           2
        .value_kind:     hidden_remainder_x
      - .offset:         2788
        .size:           2
        .value_kind:     hidden_remainder_y
      - .offset:         2790
        .size:           2
        .value_kind:     hidden_remainder_z
      - .offset:         2808
        .size:           8
        .value_kind:     hidden_global_offset_x
      - .offset:         2816
        .size:           8
        .value_kind:     hidden_global_offset_y
      - .offset:         2824
        .size:           8
        .value_kind:     hidden_global_offset_z
      - .offset:         2832
        .size:           2
        .value_kind:     hidden_grid_dims
    .group_segment_fixed_size: 0
    .kernarg_segment_align: 8
    .kernarg_segment_size: 3024
    .language:       OpenCL C
    .language_version:
      - 2
      - 0
    .max_flat_workgroup_size: 1024
    .name:           _ZN2at6native12_GLOBAL__N_130CatArrayBatchedCopy_vectorizedINS1_10OpaqueTypeILj16EEEjLi2ELi128ELi1ELi16ELi1EEEvPcNS1_25CatArrInputTensorMetadataIT_T0_XT2_EXT3_EEENS1_16TensorSizeStrideIS8_Lj4EEEiS8_
    .private_segment_fixed_size: 0
    .sgpr_count:     20
    .sgpr_spill_count: 0
    .symbol:         _ZN2at6native12_GLOBAL__N_130CatArrayBatchedCopy_vectorizedINS1_10OpaqueTypeILj16EEEjLi2ELi128ELi1ELi16ELi1EEEvPcNS1_25CatArrInputTensorMetadataIT_T0_XT2_EXT3_EEENS1_16TensorSizeStrideIS8_Lj4EEEiS8_.kd
    .uniform_work_group_size: 1
    .uses_dynamic_stack: false
    .vgpr_count:     12
    .vgpr_spill_count: 0
    .wavefront_size: 32
    .workgroup_processor_mode: 1
  - .args:
      - .address_space:  global
        .offset:         0
        .size:           8
        .value_kind:     global_buffer
      - .offset:         8
        .size:           2720
        .value_kind:     by_value
      - .offset:         2728
        .size:           32
        .value_kind:     by_value
      - .offset:         2760
        .size:           4
        .value_kind:     by_value
      - .offset:         2764
        .size:           4
        .value_kind:     by_value
      - .offset:         2768
        .size:           4
        .value_kind:     hidden_block_count_x
      - .offset:         2772
        .size:           4
        .value_kind:     hidden_block_count_y
      - .offset:         2776
        .size:           4
        .value_kind:     hidden_block_count_z
      - .offset:         2780
        .size:           2
        .value_kind:     hidden_group_size_x
      - .offset:         2782
        .size:           2
        .value_kind:     hidden_group_size_y
      - .offset:         2784
        .size:           2
        .value_kind:     hidden_group_size_z
      - .offset:         2786
        .size:           2
        .value_kind:     hidden_remainder_x
      - .offset:         2788
        .size:           2
        .value_kind:     hidden_remainder_y
      - .offset:         2790
        .size:           2
        .value_kind:     hidden_remainder_z
      - .offset:         2808
        .size:           8
        .value_kind:     hidden_global_offset_x
      - .offset:         2816
        .size:           8
        .value_kind:     hidden_global_offset_y
      - .offset:         2824
        .size:           8
        .value_kind:     hidden_global_offset_z
      - .offset:         2832
        .size:           2
        .value_kind:     hidden_grid_dims
    .group_segment_fixed_size: 0
    .kernarg_segment_align: 8
    .kernarg_segment_size: 3024
    .language:       OpenCL C
    .language_version:
      - 2
      - 0
    .max_flat_workgroup_size: 1024
    .name:           _ZN2at6native12_GLOBAL__N_135CatArrayBatchedCopy_alignedK_contigINS1_10OpaqueTypeILj16EEEjLi2ELi128ELi1ELi16EEEvPT_NS1_25CatArrInputTensorMetadataIS5_T0_XT2_EXT3_EEENS1_16TensorSizeStrideIS8_Lj4EEEiS8_
    .private_segment_fixed_size: 0
    .sgpr_count:     19
    .sgpr_spill_count: 0
    .symbol:         _ZN2at6native12_GLOBAL__N_135CatArrayBatchedCopy_alignedK_contigINS1_10OpaqueTypeILj16EEEjLi2ELi128ELi1ELi16EEEvPT_NS1_25CatArrInputTensorMetadataIS5_T0_XT2_EXT3_EEENS1_16TensorSizeStrideIS8_Lj4EEEiS8_.kd
    .uniform_work_group_size: 1
    .uses_dynamic_stack: false
    .vgpr_count:     15
    .vgpr_spill_count: 0
    .wavefront_size: 32
    .workgroup_processor_mode: 1
  - .args:
      - .address_space:  global
        .offset:         0
        .size:           8
        .value_kind:     global_buffer
      - .offset:         8
        .size:           2720
        .value_kind:     by_value
      - .offset:         2728
        .size:           32
        .value_kind:     by_value
      - .offset:         2760
        .size:           4
        .value_kind:     by_value
      - .offset:         2764
        .size:           4
        .value_kind:     by_value
      - .offset:         2768
        .size:           4
        .value_kind:     hidden_block_count_x
      - .offset:         2772
        .size:           4
        .value_kind:     hidden_block_count_y
      - .offset:         2776
        .size:           4
        .value_kind:     hidden_block_count_z
      - .offset:         2780
        .size:           2
        .value_kind:     hidden_group_size_x
      - .offset:         2782
        .size:           2
        .value_kind:     hidden_group_size_y
      - .offset:         2784
        .size:           2
        .value_kind:     hidden_group_size_z
      - .offset:         2786
        .size:           2
        .value_kind:     hidden_remainder_x
      - .offset:         2788
        .size:           2
        .value_kind:     hidden_remainder_y
      - .offset:         2790
        .size:           2
        .value_kind:     hidden_remainder_z
      - .offset:         2808
        .size:           8
        .value_kind:     hidden_global_offset_x
      - .offset:         2816
        .size:           8
        .value_kind:     hidden_global_offset_y
      - .offset:         2824
        .size:           8
        .value_kind:     hidden_global_offset_z
      - .offset:         2832
        .size:           2
        .value_kind:     hidden_grid_dims
    .group_segment_fixed_size: 0
    .kernarg_segment_align: 8
    .kernarg_segment_size: 3024
    .language:       OpenCL C
    .language_version:
      - 2
      - 0
    .max_flat_workgroup_size: 1024
    .name:           _ZN2at6native12_GLOBAL__N_135CatArrayBatchedCopy_alignedK_contigINS1_10OpaqueTypeILj16EEEjLi2ELi128ELi1ELi8EEEvPT_NS1_25CatArrInputTensorMetadataIS5_T0_XT2_EXT3_EEENS1_16TensorSizeStrideIS8_Lj4EEEiS8_
    .private_segment_fixed_size: 0
    .sgpr_count:     19
    .sgpr_spill_count: 0
    .symbol:         _ZN2at6native12_GLOBAL__N_135CatArrayBatchedCopy_alignedK_contigINS1_10OpaqueTypeILj16EEEjLi2ELi128ELi1ELi8EEEvPT_NS1_25CatArrInputTensorMetadataIS5_T0_XT2_EXT3_EEENS1_16TensorSizeStrideIS8_Lj4EEEiS8_.kd
    .uniform_work_group_size: 1
    .uses_dynamic_stack: false
    .vgpr_count:     15
    .vgpr_spill_count: 0
    .wavefront_size: 32
    .workgroup_processor_mode: 1
  - .args:
      - .address_space:  global
        .offset:         0
        .size:           8
        .value_kind:     global_buffer
      - .offset:         8
        .size:           2720
        .value_kind:     by_value
      - .offset:         2728
        .size:           32
        .value_kind:     by_value
      - .offset:         2760
        .size:           4
        .value_kind:     by_value
      - .offset:         2764
        .size:           4
        .value_kind:     by_value
      - .offset:         2768
        .size:           4
        .value_kind:     hidden_block_count_x
      - .offset:         2772
        .size:           4
        .value_kind:     hidden_block_count_y
      - .offset:         2776
        .size:           4
        .value_kind:     hidden_block_count_z
      - .offset:         2780
        .size:           2
        .value_kind:     hidden_group_size_x
      - .offset:         2782
        .size:           2
        .value_kind:     hidden_group_size_y
      - .offset:         2784
        .size:           2
        .value_kind:     hidden_group_size_z
      - .offset:         2786
        .size:           2
        .value_kind:     hidden_remainder_x
      - .offset:         2788
        .size:           2
        .value_kind:     hidden_remainder_y
      - .offset:         2790
        .size:           2
        .value_kind:     hidden_remainder_z
      - .offset:         2808
        .size:           8
        .value_kind:     hidden_global_offset_x
      - .offset:         2816
        .size:           8
        .value_kind:     hidden_global_offset_y
      - .offset:         2824
        .size:           8
        .value_kind:     hidden_global_offset_z
      - .offset:         2832
        .size:           2
        .value_kind:     hidden_grid_dims
    .group_segment_fixed_size: 0
    .kernarg_segment_align: 8
    .kernarg_segment_size: 3024
    .language:       OpenCL C
    .language_version:
      - 2
      - 0
    .max_flat_workgroup_size: 1024
    .name:           _ZN2at6native12_GLOBAL__N_126CatArrayBatchedCopy_contigINS1_10OpaqueTypeILj16EEEjLi2ELi128ELi1EEEvPT_NS1_25CatArrInputTensorMetadataIS5_T0_XT2_EXT3_EEENS1_16TensorSizeStrideIS8_Lj4EEEiS8_
    .private_segment_fixed_size: 0
    .sgpr_count:     19
    .sgpr_spill_count: 0
    .symbol:         _ZN2at6native12_GLOBAL__N_126CatArrayBatchedCopy_contigINS1_10OpaqueTypeILj16EEEjLi2ELi128ELi1EEEvPT_NS1_25CatArrInputTensorMetadataIS5_T0_XT2_EXT3_EEENS1_16TensorSizeStrideIS8_Lj4EEEiS8_.kd
    .uniform_work_group_size: 1
    .uses_dynamic_stack: false
    .vgpr_count:     12
    .vgpr_spill_count: 0
    .wavefront_size: 32
    .workgroup_processor_mode: 1
  - .args:
      - .address_space:  global
        .offset:         0
        .size:           8
        .value_kind:     global_buffer
      - .offset:         8
        .size:           2720
        .value_kind:     by_value
      - .offset:         2728
        .size:           32
        .value_kind:     by_value
      - .offset:         2760
        .size:           4
        .value_kind:     by_value
      - .offset:         2764
        .size:           4
        .value_kind:     by_value
      - .offset:         2768
        .size:           4
        .value_kind:     hidden_block_count_x
      - .offset:         2772
        .size:           4
        .value_kind:     hidden_block_count_y
      - .offset:         2776
        .size:           4
        .value_kind:     hidden_block_count_z
      - .offset:         2780
        .size:           2
        .value_kind:     hidden_group_size_x
      - .offset:         2782
        .size:           2
        .value_kind:     hidden_group_size_y
      - .offset:         2784
        .size:           2
        .value_kind:     hidden_group_size_z
      - .offset:         2786
        .size:           2
        .value_kind:     hidden_remainder_x
      - .offset:         2788
        .size:           2
        .value_kind:     hidden_remainder_y
      - .offset:         2790
        .size:           2
        .value_kind:     hidden_remainder_z
      - .offset:         2808
        .size:           8
        .value_kind:     hidden_global_offset_x
      - .offset:         2816
        .size:           8
        .value_kind:     hidden_global_offset_y
      - .offset:         2824
        .size:           8
        .value_kind:     hidden_global_offset_z
      - .offset:         2832
        .size:           2
        .value_kind:     hidden_grid_dims
    .group_segment_fixed_size: 0
    .kernarg_segment_align: 8
    .kernarg_segment_size: 3024
    .language:       OpenCL C
    .language_version:
      - 2
      - 0
    .max_flat_workgroup_size: 1024
    .name:           _ZN2at6native12_GLOBAL__N_119CatArrayBatchedCopyINS1_10OpaqueTypeILj16EEEjLi2ELi128ELi1EEEvPT_NS1_25CatArrInputTensorMetadataIS5_T0_XT2_EXT3_EEENS1_16TensorSizeStrideIS8_Lj4EEEiS8_
    .private_segment_fixed_size: 0
    .sgpr_count:     24
    .sgpr_spill_count: 0
    .symbol:         _ZN2at6native12_GLOBAL__N_119CatArrayBatchedCopyINS1_10OpaqueTypeILj16EEEjLi2ELi128ELi1EEEvPT_NS1_25CatArrInputTensorMetadataIS5_T0_XT2_EXT3_EEENS1_16TensorSizeStrideIS8_Lj4EEEiS8_.kd
    .uniform_work_group_size: 1
    .uses_dynamic_stack: false
    .vgpr_count:     13
    .vgpr_spill_count: 0
    .wavefront_size: 32
    .workgroup_processor_mode: 1
  - .args:
      - .address_space:  global
        .offset:         0
        .size:           8
        .value_kind:     global_buffer
      - .offset:         8
        .size:           2720
        .value_kind:     by_value
      - .offset:         2728
        .size:           32
        .value_kind:     by_value
      - .offset:         2760
        .size:           4
        .value_kind:     by_value
      - .offset:         2764
        .size:           4
        .value_kind:     by_value
      - .offset:         2768
        .size:           4
        .value_kind:     hidden_block_count_x
      - .offset:         2772
        .size:           4
        .value_kind:     hidden_block_count_y
      - .offset:         2776
        .size:           4
        .value_kind:     hidden_block_count_z
      - .offset:         2780
        .size:           2
        .value_kind:     hidden_group_size_x
      - .offset:         2782
        .size:           2
        .value_kind:     hidden_group_size_y
      - .offset:         2784
        .size:           2
        .value_kind:     hidden_group_size_z
      - .offset:         2786
        .size:           2
        .value_kind:     hidden_remainder_x
      - .offset:         2788
        .size:           2
        .value_kind:     hidden_remainder_y
      - .offset:         2790
        .size:           2
        .value_kind:     hidden_remainder_z
      - .offset:         2808
        .size:           8
        .value_kind:     hidden_global_offset_x
      - .offset:         2816
        .size:           8
        .value_kind:     hidden_global_offset_y
      - .offset:         2824
        .size:           8
        .value_kind:     hidden_global_offset_z
      - .offset:         2832
        .size:           2
        .value_kind:     hidden_grid_dims
    .group_segment_fixed_size: 0
    .kernarg_segment_align: 8
    .kernarg_segment_size: 3024
    .language:       OpenCL C
    .language_version:
      - 2
      - 0
    .max_flat_workgroup_size: 1024
    .name:           _ZN2at6native12_GLOBAL__N_130CatArrayBatchedCopy_vectorizedINS1_10OpaqueTypeILj16EEEjLi3ELi128ELi1ELi16ELi1EEEvPcNS1_25CatArrInputTensorMetadataIT_T0_XT2_EXT3_EEENS1_16TensorSizeStrideIS8_Lj4EEEiS8_
    .private_segment_fixed_size: 0
    .sgpr_count:     26
    .sgpr_spill_count: 0
    .symbol:         _ZN2at6native12_GLOBAL__N_130CatArrayBatchedCopy_vectorizedINS1_10OpaqueTypeILj16EEEjLi3ELi128ELi1ELi16ELi1EEEvPcNS1_25CatArrInputTensorMetadataIT_T0_XT2_EXT3_EEENS1_16TensorSizeStrideIS8_Lj4EEEiS8_.kd
    .uniform_work_group_size: 1
    .uses_dynamic_stack: false
    .vgpr_count:     13
    .vgpr_spill_count: 0
    .wavefront_size: 32
    .workgroup_processor_mode: 1
  - .args:
      - .address_space:  global
        .offset:         0
        .size:           8
        .value_kind:     global_buffer
      - .offset:         8
        .size:           2720
        .value_kind:     by_value
      - .offset:         2728
        .size:           32
        .value_kind:     by_value
      - .offset:         2760
        .size:           4
        .value_kind:     by_value
      - .offset:         2764
        .size:           4
        .value_kind:     by_value
      - .offset:         2768
        .size:           4
        .value_kind:     hidden_block_count_x
      - .offset:         2772
        .size:           4
        .value_kind:     hidden_block_count_y
      - .offset:         2776
        .size:           4
        .value_kind:     hidden_block_count_z
      - .offset:         2780
        .size:           2
        .value_kind:     hidden_group_size_x
      - .offset:         2782
        .size:           2
        .value_kind:     hidden_group_size_y
      - .offset:         2784
        .size:           2
        .value_kind:     hidden_group_size_z
      - .offset:         2786
        .size:           2
        .value_kind:     hidden_remainder_x
      - .offset:         2788
        .size:           2
        .value_kind:     hidden_remainder_y
      - .offset:         2790
        .size:           2
        .value_kind:     hidden_remainder_z
      - .offset:         2808
        .size:           8
        .value_kind:     hidden_global_offset_x
      - .offset:         2816
        .size:           8
        .value_kind:     hidden_global_offset_y
      - .offset:         2824
        .size:           8
        .value_kind:     hidden_global_offset_z
      - .offset:         2832
        .size:           2
        .value_kind:     hidden_grid_dims
    .group_segment_fixed_size: 0
    .kernarg_segment_align: 8
    .kernarg_segment_size: 3024
    .language:       OpenCL C
    .language_version:
      - 2
      - 0
    .max_flat_workgroup_size: 1024
    .name:           _ZN2at6native12_GLOBAL__N_135CatArrayBatchedCopy_alignedK_contigINS1_10OpaqueTypeILj16EEEjLi3ELi128ELi1ELi16EEEvPT_NS1_25CatArrInputTensorMetadataIS5_T0_XT2_EXT3_EEENS1_16TensorSizeStrideIS8_Lj4EEEiS8_
    .private_segment_fixed_size: 0
    .sgpr_count:     22
    .sgpr_spill_count: 0
    .symbol:         _ZN2at6native12_GLOBAL__N_135CatArrayBatchedCopy_alignedK_contigINS1_10OpaqueTypeILj16EEEjLi3ELi128ELi1ELi16EEEvPT_NS1_25CatArrInputTensorMetadataIS5_T0_XT2_EXT3_EEENS1_16TensorSizeStrideIS8_Lj4EEEiS8_.kd
    .uniform_work_group_size: 1
    .uses_dynamic_stack: false
    .vgpr_count:     18
    .vgpr_spill_count: 0
    .wavefront_size: 32
    .workgroup_processor_mode: 1
  - .args:
      - .address_space:  global
        .offset:         0
        .size:           8
        .value_kind:     global_buffer
      - .offset:         8
        .size:           2720
        .value_kind:     by_value
      - .offset:         2728
        .size:           32
        .value_kind:     by_value
      - .offset:         2760
        .size:           4
        .value_kind:     by_value
      - .offset:         2764
        .size:           4
        .value_kind:     by_value
      - .offset:         2768
        .size:           4
        .value_kind:     hidden_block_count_x
      - .offset:         2772
        .size:           4
        .value_kind:     hidden_block_count_y
      - .offset:         2776
        .size:           4
        .value_kind:     hidden_block_count_z
      - .offset:         2780
        .size:           2
        .value_kind:     hidden_group_size_x
      - .offset:         2782
        .size:           2
        .value_kind:     hidden_group_size_y
      - .offset:         2784
        .size:           2
        .value_kind:     hidden_group_size_z
      - .offset:         2786
        .size:           2
        .value_kind:     hidden_remainder_x
      - .offset:         2788
        .size:           2
        .value_kind:     hidden_remainder_y
      - .offset:         2790
        .size:           2
        .value_kind:     hidden_remainder_z
      - .offset:         2808
        .size:           8
        .value_kind:     hidden_global_offset_x
      - .offset:         2816
        .size:           8
        .value_kind:     hidden_global_offset_y
      - .offset:         2824
        .size:           8
        .value_kind:     hidden_global_offset_z
      - .offset:         2832
        .size:           2
        .value_kind:     hidden_grid_dims
    .group_segment_fixed_size: 0
    .kernarg_segment_align: 8
    .kernarg_segment_size: 3024
    .language:       OpenCL C
    .language_version:
      - 2
      - 0
    .max_flat_workgroup_size: 1024
    .name:           _ZN2at6native12_GLOBAL__N_135CatArrayBatchedCopy_alignedK_contigINS1_10OpaqueTypeILj16EEEjLi3ELi128ELi1ELi8EEEvPT_NS1_25CatArrInputTensorMetadataIS5_T0_XT2_EXT3_EEENS1_16TensorSizeStrideIS8_Lj4EEEiS8_
    .private_segment_fixed_size: 0
    .sgpr_count:     22
    .sgpr_spill_count: 0
    .symbol:         _ZN2at6native12_GLOBAL__N_135CatArrayBatchedCopy_alignedK_contigINS1_10OpaqueTypeILj16EEEjLi3ELi128ELi1ELi8EEEvPT_NS1_25CatArrInputTensorMetadataIS5_T0_XT2_EXT3_EEENS1_16TensorSizeStrideIS8_Lj4EEEiS8_.kd
    .uniform_work_group_size: 1
    .uses_dynamic_stack: false
    .vgpr_count:     18
    .vgpr_spill_count: 0
    .wavefront_size: 32
    .workgroup_processor_mode: 1
  - .args:
      - .address_space:  global
        .offset:         0
        .size:           8
        .value_kind:     global_buffer
      - .offset:         8
        .size:           2720
        .value_kind:     by_value
      - .offset:         2728
        .size:           32
        .value_kind:     by_value
      - .offset:         2760
        .size:           4
        .value_kind:     by_value
      - .offset:         2764
        .size:           4
        .value_kind:     by_value
      - .offset:         2768
        .size:           4
        .value_kind:     hidden_block_count_x
      - .offset:         2772
        .size:           4
        .value_kind:     hidden_block_count_y
      - .offset:         2776
        .size:           4
        .value_kind:     hidden_block_count_z
      - .offset:         2780
        .size:           2
        .value_kind:     hidden_group_size_x
      - .offset:         2782
        .size:           2
        .value_kind:     hidden_group_size_y
      - .offset:         2784
        .size:           2
        .value_kind:     hidden_group_size_z
      - .offset:         2786
        .size:           2
        .value_kind:     hidden_remainder_x
      - .offset:         2788
        .size:           2
        .value_kind:     hidden_remainder_y
      - .offset:         2790
        .size:           2
        .value_kind:     hidden_remainder_z
      - .offset:         2808
        .size:           8
        .value_kind:     hidden_global_offset_x
      - .offset:         2816
        .size:           8
        .value_kind:     hidden_global_offset_y
      - .offset:         2824
        .size:           8
        .value_kind:     hidden_global_offset_z
      - .offset:         2832
        .size:           2
        .value_kind:     hidden_grid_dims
    .group_segment_fixed_size: 0
    .kernarg_segment_align: 8
    .kernarg_segment_size: 3024
    .language:       OpenCL C
    .language_version:
      - 2
      - 0
    .max_flat_workgroup_size: 1024
    .name:           _ZN2at6native12_GLOBAL__N_126CatArrayBatchedCopy_contigINS1_10OpaqueTypeILj16EEEjLi3ELi128ELi1EEEvPT_NS1_25CatArrInputTensorMetadataIS5_T0_XT2_EXT3_EEENS1_16TensorSizeStrideIS8_Lj4EEEiS8_
    .private_segment_fixed_size: 0
    .sgpr_count:     24
    .sgpr_spill_count: 0
    .symbol:         _ZN2at6native12_GLOBAL__N_126CatArrayBatchedCopy_contigINS1_10OpaqueTypeILj16EEEjLi3ELi128ELi1EEEvPT_NS1_25CatArrInputTensorMetadataIS5_T0_XT2_EXT3_EEENS1_16TensorSizeStrideIS8_Lj4EEEiS8_.kd
    .uniform_work_group_size: 1
    .uses_dynamic_stack: false
    .vgpr_count:     14
    .vgpr_spill_count: 0
    .wavefront_size: 32
    .workgroup_processor_mode: 1
  - .args:
      - .address_space:  global
        .offset:         0
        .size:           8
        .value_kind:     global_buffer
      - .offset:         8
        .size:           2720
        .value_kind:     by_value
      - .offset:         2728
        .size:           32
        .value_kind:     by_value
      - .offset:         2760
        .size:           4
        .value_kind:     by_value
      - .offset:         2764
        .size:           4
        .value_kind:     by_value
      - .offset:         2768
        .size:           4
        .value_kind:     hidden_block_count_x
      - .offset:         2772
        .size:           4
        .value_kind:     hidden_block_count_y
      - .offset:         2776
        .size:           4
        .value_kind:     hidden_block_count_z
      - .offset:         2780
        .size:           2
        .value_kind:     hidden_group_size_x
      - .offset:         2782
        .size:           2
        .value_kind:     hidden_group_size_y
      - .offset:         2784
        .size:           2
        .value_kind:     hidden_group_size_z
      - .offset:         2786
        .size:           2
        .value_kind:     hidden_remainder_x
      - .offset:         2788
        .size:           2
        .value_kind:     hidden_remainder_y
      - .offset:         2790
        .size:           2
        .value_kind:     hidden_remainder_z
      - .offset:         2808
        .size:           8
        .value_kind:     hidden_global_offset_x
      - .offset:         2816
        .size:           8
        .value_kind:     hidden_global_offset_y
      - .offset:         2824
        .size:           8
        .value_kind:     hidden_global_offset_z
      - .offset:         2832
        .size:           2
        .value_kind:     hidden_grid_dims
    .group_segment_fixed_size: 0
    .kernarg_segment_align: 8
    .kernarg_segment_size: 3024
    .language:       OpenCL C
    .language_version:
      - 2
      - 0
    .max_flat_workgroup_size: 1024
    .name:           _ZN2at6native12_GLOBAL__N_119CatArrayBatchedCopyINS1_10OpaqueTypeILj16EEEjLi3ELi128ELi1EEEvPT_NS1_25CatArrInputTensorMetadataIS5_T0_XT2_EXT3_EEENS1_16TensorSizeStrideIS8_Lj4EEEiS8_
    .private_segment_fixed_size: 0
    .sgpr_count:     30
    .sgpr_spill_count: 0
    .symbol:         _ZN2at6native12_GLOBAL__N_119CatArrayBatchedCopyINS1_10OpaqueTypeILj16EEEjLi3ELi128ELi1EEEvPT_NS1_25CatArrInputTensorMetadataIS5_T0_XT2_EXT3_EEENS1_16TensorSizeStrideIS8_Lj4EEEiS8_.kd
    .uniform_work_group_size: 1
    .uses_dynamic_stack: false
    .vgpr_count:     15
    .vgpr_spill_count: 0
    .wavefront_size: 32
    .workgroup_processor_mode: 1
  - .args:
      - .address_space:  global
        .offset:         0
        .size:           8
        .value_kind:     global_buffer
      - .offset:         8
        .size:           2720
        .value_kind:     by_value
      - .offset:         2728
        .size:           32
        .value_kind:     by_value
      - .offset:         2760
        .size:           4
        .value_kind:     by_value
      - .offset:         2764
        .size:           4
        .value_kind:     by_value
      - .offset:         2768
        .size:           4
        .value_kind:     hidden_block_count_x
      - .offset:         2772
        .size:           4
        .value_kind:     hidden_block_count_y
      - .offset:         2776
        .size:           4
        .value_kind:     hidden_block_count_z
      - .offset:         2780
        .size:           2
        .value_kind:     hidden_group_size_x
      - .offset:         2782
        .size:           2
        .value_kind:     hidden_group_size_y
      - .offset:         2784
        .size:           2
        .value_kind:     hidden_group_size_z
      - .offset:         2786
        .size:           2
        .value_kind:     hidden_remainder_x
      - .offset:         2788
        .size:           2
        .value_kind:     hidden_remainder_y
      - .offset:         2790
        .size:           2
        .value_kind:     hidden_remainder_z
      - .offset:         2808
        .size:           8
        .value_kind:     hidden_global_offset_x
      - .offset:         2816
        .size:           8
        .value_kind:     hidden_global_offset_y
      - .offset:         2824
        .size:           8
        .value_kind:     hidden_global_offset_z
      - .offset:         2832
        .size:           2
        .value_kind:     hidden_grid_dims
    .group_segment_fixed_size: 0
    .kernarg_segment_align: 8
    .kernarg_segment_size: 3024
    .language:       OpenCL C
    .language_version:
      - 2
      - 0
    .max_flat_workgroup_size: 1024
    .name:           _ZN2at6native12_GLOBAL__N_130CatArrayBatchedCopy_vectorizedINS1_10OpaqueTypeILj16EEEjLi4ELi128ELi1ELi16ELi1EEEvPcNS1_25CatArrInputTensorMetadataIT_T0_XT2_EXT3_EEENS1_16TensorSizeStrideIS8_Lj4EEEiS8_
    .private_segment_fixed_size: 0
    .sgpr_count:     26
    .sgpr_spill_count: 0
    .symbol:         _ZN2at6native12_GLOBAL__N_130CatArrayBatchedCopy_vectorizedINS1_10OpaqueTypeILj16EEEjLi4ELi128ELi1ELi16ELi1EEEvPcNS1_25CatArrInputTensorMetadataIT_T0_XT2_EXT3_EEENS1_16TensorSizeStrideIS8_Lj4EEEiS8_.kd
    .uniform_work_group_size: 1
    .uses_dynamic_stack: false
    .vgpr_count:     16
    .vgpr_spill_count: 0
    .wavefront_size: 32
    .workgroup_processor_mode: 1
  - .args:
      - .address_space:  global
        .offset:         0
        .size:           8
        .value_kind:     global_buffer
      - .offset:         8
        .size:           2720
        .value_kind:     by_value
      - .offset:         2728
        .size:           32
        .value_kind:     by_value
      - .offset:         2760
        .size:           4
        .value_kind:     by_value
      - .offset:         2764
        .size:           4
        .value_kind:     by_value
      - .offset:         2768
        .size:           4
        .value_kind:     hidden_block_count_x
      - .offset:         2772
        .size:           4
        .value_kind:     hidden_block_count_y
      - .offset:         2776
        .size:           4
        .value_kind:     hidden_block_count_z
      - .offset:         2780
        .size:           2
        .value_kind:     hidden_group_size_x
      - .offset:         2782
        .size:           2
        .value_kind:     hidden_group_size_y
      - .offset:         2784
        .size:           2
        .value_kind:     hidden_group_size_z
      - .offset:         2786
        .size:           2
        .value_kind:     hidden_remainder_x
      - .offset:         2788
        .size:           2
        .value_kind:     hidden_remainder_y
      - .offset:         2790
        .size:           2
        .value_kind:     hidden_remainder_z
      - .offset:         2808
        .size:           8
        .value_kind:     hidden_global_offset_x
      - .offset:         2816
        .size:           8
        .value_kind:     hidden_global_offset_y
      - .offset:         2824
        .size:           8
        .value_kind:     hidden_global_offset_z
      - .offset:         2832
        .size:           2
        .value_kind:     hidden_grid_dims
    .group_segment_fixed_size: 0
    .kernarg_segment_align: 8
    .kernarg_segment_size: 3024
    .language:       OpenCL C
    .language_version:
      - 2
      - 0
    .max_flat_workgroup_size: 1024
    .name:           _ZN2at6native12_GLOBAL__N_135CatArrayBatchedCopy_alignedK_contigINS1_10OpaqueTypeILj16EEEjLi4ELi128ELi1ELi16EEEvPT_NS1_25CatArrInputTensorMetadataIS5_T0_XT2_EXT3_EEENS1_16TensorSizeStrideIS8_Lj4EEEiS8_
    .private_segment_fixed_size: 0
    .sgpr_count:     22
    .sgpr_spill_count: 0
    .symbol:         _ZN2at6native12_GLOBAL__N_135CatArrayBatchedCopy_alignedK_contigINS1_10OpaqueTypeILj16EEEjLi4ELi128ELi1ELi16EEEvPT_NS1_25CatArrInputTensorMetadataIS5_T0_XT2_EXT3_EEENS1_16TensorSizeStrideIS8_Lj4EEEiS8_.kd
    .uniform_work_group_size: 1
    .uses_dynamic_stack: false
    .vgpr_count:     20
    .vgpr_spill_count: 0
    .wavefront_size: 32
    .workgroup_processor_mode: 1
  - .args:
      - .address_space:  global
        .offset:         0
        .size:           8
        .value_kind:     global_buffer
      - .offset:         8
        .size:           2720
        .value_kind:     by_value
      - .offset:         2728
        .size:           32
        .value_kind:     by_value
      - .offset:         2760
        .size:           4
        .value_kind:     by_value
      - .offset:         2764
        .size:           4
        .value_kind:     by_value
      - .offset:         2768
        .size:           4
        .value_kind:     hidden_block_count_x
      - .offset:         2772
        .size:           4
        .value_kind:     hidden_block_count_y
      - .offset:         2776
        .size:           4
        .value_kind:     hidden_block_count_z
      - .offset:         2780
        .size:           2
        .value_kind:     hidden_group_size_x
      - .offset:         2782
        .size:           2
        .value_kind:     hidden_group_size_y
      - .offset:         2784
        .size:           2
        .value_kind:     hidden_group_size_z
      - .offset:         2786
        .size:           2
        .value_kind:     hidden_remainder_x
      - .offset:         2788
        .size:           2
        .value_kind:     hidden_remainder_y
      - .offset:         2790
        .size:           2
        .value_kind:     hidden_remainder_z
      - .offset:         2808
        .size:           8
        .value_kind:     hidden_global_offset_x
      - .offset:         2816
        .size:           8
        .value_kind:     hidden_global_offset_y
      - .offset:         2824
        .size:           8
        .value_kind:     hidden_global_offset_z
      - .offset:         2832
        .size:           2
        .value_kind:     hidden_grid_dims
    .group_segment_fixed_size: 0
    .kernarg_segment_align: 8
    .kernarg_segment_size: 3024
    .language:       OpenCL C
    .language_version:
      - 2
      - 0
    .max_flat_workgroup_size: 1024
    .name:           _ZN2at6native12_GLOBAL__N_135CatArrayBatchedCopy_alignedK_contigINS1_10OpaqueTypeILj16EEEjLi4ELi128ELi1ELi8EEEvPT_NS1_25CatArrInputTensorMetadataIS5_T0_XT2_EXT3_EEENS1_16TensorSizeStrideIS8_Lj4EEEiS8_
    .private_segment_fixed_size: 0
    .sgpr_count:     22
    .sgpr_spill_count: 0
    .symbol:         _ZN2at6native12_GLOBAL__N_135CatArrayBatchedCopy_alignedK_contigINS1_10OpaqueTypeILj16EEEjLi4ELi128ELi1ELi8EEEvPT_NS1_25CatArrInputTensorMetadataIS5_T0_XT2_EXT3_EEENS1_16TensorSizeStrideIS8_Lj4EEEiS8_.kd
    .uniform_work_group_size: 1
    .uses_dynamic_stack: false
    .vgpr_count:     20
    .vgpr_spill_count: 0
    .wavefront_size: 32
    .workgroup_processor_mode: 1
  - .args:
      - .address_space:  global
        .offset:         0
        .size:           8
        .value_kind:     global_buffer
      - .offset:         8
        .size:           2720
        .value_kind:     by_value
      - .offset:         2728
        .size:           32
        .value_kind:     by_value
      - .offset:         2760
        .size:           4
        .value_kind:     by_value
      - .offset:         2764
        .size:           4
        .value_kind:     by_value
      - .offset:         2768
        .size:           4
        .value_kind:     hidden_block_count_x
      - .offset:         2772
        .size:           4
        .value_kind:     hidden_block_count_y
      - .offset:         2776
        .size:           4
        .value_kind:     hidden_block_count_z
      - .offset:         2780
        .size:           2
        .value_kind:     hidden_group_size_x
      - .offset:         2782
        .size:           2
        .value_kind:     hidden_group_size_y
      - .offset:         2784
        .size:           2
        .value_kind:     hidden_group_size_z
      - .offset:         2786
        .size:           2
        .value_kind:     hidden_remainder_x
      - .offset:         2788
        .size:           2
        .value_kind:     hidden_remainder_y
      - .offset:         2790
        .size:           2
        .value_kind:     hidden_remainder_z
      - .offset:         2808
        .size:           8
        .value_kind:     hidden_global_offset_x
      - .offset:         2816
        .size:           8
        .value_kind:     hidden_global_offset_y
      - .offset:         2824
        .size:           8
        .value_kind:     hidden_global_offset_z
      - .offset:         2832
        .size:           2
        .value_kind:     hidden_grid_dims
    .group_segment_fixed_size: 0
    .kernarg_segment_align: 8
    .kernarg_segment_size: 3024
    .language:       OpenCL C
    .language_version:
      - 2
      - 0
    .max_flat_workgroup_size: 1024
    .name:           _ZN2at6native12_GLOBAL__N_126CatArrayBatchedCopy_contigINS1_10OpaqueTypeILj16EEEjLi4ELi128ELi1EEEvPT_NS1_25CatArrInputTensorMetadataIS5_T0_XT2_EXT3_EEENS1_16TensorSizeStrideIS8_Lj4EEEiS8_
    .private_segment_fixed_size: 0
    .sgpr_count:     26
    .sgpr_spill_count: 0
    .symbol:         _ZN2at6native12_GLOBAL__N_126CatArrayBatchedCopy_contigINS1_10OpaqueTypeILj16EEEjLi4ELi128ELi1EEEvPT_NS1_25CatArrInputTensorMetadataIS5_T0_XT2_EXT3_EEENS1_16TensorSizeStrideIS8_Lj4EEEiS8_.kd
    .uniform_work_group_size: 1
    .uses_dynamic_stack: false
    .vgpr_count:     16
    .vgpr_spill_count: 0
    .wavefront_size: 32
    .workgroup_processor_mode: 1
  - .args:
      - .address_space:  global
        .offset:         0
        .size:           8
        .value_kind:     global_buffer
      - .offset:         8
        .size:           2720
        .value_kind:     by_value
      - .offset:         2728
        .size:           32
        .value_kind:     by_value
      - .offset:         2760
        .size:           4
        .value_kind:     by_value
      - .offset:         2764
        .size:           4
        .value_kind:     by_value
      - .offset:         2768
        .size:           4
        .value_kind:     hidden_block_count_x
      - .offset:         2772
        .size:           4
        .value_kind:     hidden_block_count_y
      - .offset:         2776
        .size:           4
        .value_kind:     hidden_block_count_z
      - .offset:         2780
        .size:           2
        .value_kind:     hidden_group_size_x
      - .offset:         2782
        .size:           2
        .value_kind:     hidden_group_size_y
      - .offset:         2784
        .size:           2
        .value_kind:     hidden_group_size_z
      - .offset:         2786
        .size:           2
        .value_kind:     hidden_remainder_x
      - .offset:         2788
        .size:           2
        .value_kind:     hidden_remainder_y
      - .offset:         2790
        .size:           2
        .value_kind:     hidden_remainder_z
      - .offset:         2808
        .size:           8
        .value_kind:     hidden_global_offset_x
      - .offset:         2816
        .size:           8
        .value_kind:     hidden_global_offset_y
      - .offset:         2824
        .size:           8
        .value_kind:     hidden_global_offset_z
      - .offset:         2832
        .size:           2
        .value_kind:     hidden_grid_dims
    .group_segment_fixed_size: 0
    .kernarg_segment_align: 8
    .kernarg_segment_size: 3024
    .language:       OpenCL C
    .language_version:
      - 2
      - 0
    .max_flat_workgroup_size: 1024
    .name:           _ZN2at6native12_GLOBAL__N_119CatArrayBatchedCopyINS1_10OpaqueTypeILj16EEEjLi4ELi128ELi1EEEvPT_NS1_25CatArrInputTensorMetadataIS5_T0_XT2_EXT3_EEENS1_16TensorSizeStrideIS8_Lj4EEEiS8_
    .private_segment_fixed_size: 0
    .sgpr_count:     42
    .sgpr_spill_count: 0
    .symbol:         _ZN2at6native12_GLOBAL__N_119CatArrayBatchedCopyINS1_10OpaqueTypeILj16EEEjLi4ELi128ELi1EEEvPT_NS1_25CatArrInputTensorMetadataIS5_T0_XT2_EXT3_EEENS1_16TensorSizeStrideIS8_Lj4EEEiS8_.kd
    .uniform_work_group_size: 1
    .uses_dynamic_stack: false
    .vgpr_count:     18
    .vgpr_spill_count: 0
    .wavefront_size: 32
    .workgroup_processor_mode: 1
  - .args:
      - .address_space:  global
        .offset:         0
        .size:           8
        .value_kind:     global_buffer
      - .offset:         8
        .size:           3392
        .value_kind:     by_value
      - .offset:         3400
        .size:           32
        .value_kind:     by_value
      - .offset:         3432
        .size:           4
        .value_kind:     by_value
      - .offset:         3436
        .size:           4
        .value_kind:     by_value
      - .offset:         3440
        .size:           4
        .value_kind:     hidden_block_count_x
      - .offset:         3444
        .size:           4
        .value_kind:     hidden_block_count_y
      - .offset:         3448
        .size:           4
        .value_kind:     hidden_block_count_z
      - .offset:         3452
        .size:           2
        .value_kind:     hidden_group_size_x
      - .offset:         3454
        .size:           2
        .value_kind:     hidden_group_size_y
      - .offset:         3456
        .size:           2
        .value_kind:     hidden_group_size_z
      - .offset:         3458
        .size:           2
        .value_kind:     hidden_remainder_x
      - .offset:         3460
        .size:           2
        .value_kind:     hidden_remainder_y
      - .offset:         3462
        .size:           2
        .value_kind:     hidden_remainder_z
      - .offset:         3480
        .size:           8
        .value_kind:     hidden_global_offset_x
      - .offset:         3488
        .size:           8
        .value_kind:     hidden_global_offset_y
      - .offset:         3496
        .size:           8
        .value_kind:     hidden_global_offset_z
      - .offset:         3504
        .size:           2
        .value_kind:     hidden_grid_dims
    .group_segment_fixed_size: 0
    .kernarg_segment_align: 8
    .kernarg_segment_size: 3696
    .language:       OpenCL C
    .language_version:
      - 2
      - 0
    .max_flat_workgroup_size: 1024
    .name:           _ZN2at6native12_GLOBAL__N_130CatArrayBatchedCopy_vectorizedINS1_10OpaqueTypeILj1EEEjLi1ELi64ELi64ELi16ELi16EEEvPcNS1_25CatArrInputTensorMetadataIT_T0_XT2_EXT3_EEENS1_16TensorSizeStrideIS8_Lj4EEEiS8_
    .private_segment_fixed_size: 0
    .sgpr_count:     16
    .sgpr_spill_count: 0
    .symbol:         _ZN2at6native12_GLOBAL__N_130CatArrayBatchedCopy_vectorizedINS1_10OpaqueTypeILj1EEEjLi1ELi64ELi64ELi16ELi16EEEvPcNS1_25CatArrInputTensorMetadataIT_T0_XT2_EXT3_EEENS1_16TensorSizeStrideIS8_Lj4EEEiS8_.kd
    .uniform_work_group_size: 1
    .uses_dynamic_stack: false
    .vgpr_count:     10
    .vgpr_spill_count: 0
    .wavefront_size: 32
    .workgroup_processor_mode: 1
  - .args:
      - .address_space:  global
        .offset:         0
        .size:           8
        .value_kind:     global_buffer
      - .offset:         8
        .size:           3392
        .value_kind:     by_value
      - .offset:         3400
        .size:           32
        .value_kind:     by_value
      - .offset:         3432
        .size:           4
        .value_kind:     by_value
      - .offset:         3436
        .size:           4
        .value_kind:     by_value
      - .offset:         3440
        .size:           4
        .value_kind:     hidden_block_count_x
      - .offset:         3444
        .size:           4
        .value_kind:     hidden_block_count_y
      - .offset:         3448
        .size:           4
        .value_kind:     hidden_block_count_z
      - .offset:         3452
        .size:           2
        .value_kind:     hidden_group_size_x
      - .offset:         3454
        .size:           2
        .value_kind:     hidden_group_size_y
      - .offset:         3456
        .size:           2
        .value_kind:     hidden_group_size_z
      - .offset:         3458
        .size:           2
        .value_kind:     hidden_remainder_x
      - .offset:         3460
        .size:           2
        .value_kind:     hidden_remainder_y
      - .offset:         3462
        .size:           2
        .value_kind:     hidden_remainder_z
      - .offset:         3480
        .size:           8
        .value_kind:     hidden_global_offset_x
      - .offset:         3488
        .size:           8
        .value_kind:     hidden_global_offset_y
      - .offset:         3496
        .size:           8
        .value_kind:     hidden_global_offset_z
      - .offset:         3504
        .size:           2
        .value_kind:     hidden_grid_dims
    .group_segment_fixed_size: 0
    .kernarg_segment_align: 8
    .kernarg_segment_size: 3696
    .language:       OpenCL C
    .language_version:
      - 2
      - 0
    .max_flat_workgroup_size: 1024
    .name:           _ZN2at6native12_GLOBAL__N_135CatArrayBatchedCopy_alignedK_contigINS1_10OpaqueTypeILj1EEEjLi1ELi64ELi64ELi16EEEvPT_NS1_25CatArrInputTensorMetadataIS5_T0_XT2_EXT3_EEENS1_16TensorSizeStrideIS8_Lj4EEEiS8_
    .private_segment_fixed_size: 0
    .sgpr_count:     14
    .sgpr_spill_count: 0
    .symbol:         _ZN2at6native12_GLOBAL__N_135CatArrayBatchedCopy_alignedK_contigINS1_10OpaqueTypeILj1EEEjLi1ELi64ELi64ELi16EEEvPT_NS1_25CatArrInputTensorMetadataIS5_T0_XT2_EXT3_EEENS1_16TensorSizeStrideIS8_Lj4EEEiS8_.kd
    .uniform_work_group_size: 1
    .uses_dynamic_stack: false
    .vgpr_count:     45
    .vgpr_spill_count: 0
    .wavefront_size: 32
    .workgroup_processor_mode: 1
  - .args:
      - .address_space:  global
        .offset:         0
        .size:           8
        .value_kind:     global_buffer
      - .offset:         8
        .size:           3392
        .value_kind:     by_value
      - .offset:         3400
        .size:           32
        .value_kind:     by_value
      - .offset:         3432
        .size:           4
        .value_kind:     by_value
      - .offset:         3436
        .size:           4
        .value_kind:     by_value
      - .offset:         3440
        .size:           4
        .value_kind:     hidden_block_count_x
      - .offset:         3444
        .size:           4
        .value_kind:     hidden_block_count_y
      - .offset:         3448
        .size:           4
        .value_kind:     hidden_block_count_z
      - .offset:         3452
        .size:           2
        .value_kind:     hidden_group_size_x
      - .offset:         3454
        .size:           2
        .value_kind:     hidden_group_size_y
      - .offset:         3456
        .size:           2
        .value_kind:     hidden_group_size_z
      - .offset:         3458
        .size:           2
        .value_kind:     hidden_remainder_x
      - .offset:         3460
        .size:           2
        .value_kind:     hidden_remainder_y
      - .offset:         3462
        .size:           2
        .value_kind:     hidden_remainder_z
      - .offset:         3480
        .size:           8
        .value_kind:     hidden_global_offset_x
      - .offset:         3488
        .size:           8
        .value_kind:     hidden_global_offset_y
      - .offset:         3496
        .size:           8
        .value_kind:     hidden_global_offset_z
      - .offset:         3504
        .size:           2
        .value_kind:     hidden_grid_dims
    .group_segment_fixed_size: 0
    .kernarg_segment_align: 8
    .kernarg_segment_size: 3696
    .language:       OpenCL C
    .language_version:
      - 2
      - 0
    .max_flat_workgroup_size: 1024
    .name:           _ZN2at6native12_GLOBAL__N_135CatArrayBatchedCopy_alignedK_contigINS1_10OpaqueTypeILj1EEEjLi1ELi64ELi64ELi8EEEvPT_NS1_25CatArrInputTensorMetadataIS5_T0_XT2_EXT3_EEENS1_16TensorSizeStrideIS8_Lj4EEEiS8_
    .private_segment_fixed_size: 0
    .sgpr_count:     14
    .sgpr_spill_count: 0
    .symbol:         _ZN2at6native12_GLOBAL__N_135CatArrayBatchedCopy_alignedK_contigINS1_10OpaqueTypeILj1EEEjLi1ELi64ELi64ELi8EEEvPT_NS1_25CatArrInputTensorMetadataIS5_T0_XT2_EXT3_EEENS1_16TensorSizeStrideIS8_Lj4EEEiS8_.kd
    .uniform_work_group_size: 1
    .uses_dynamic_stack: false
    .vgpr_count:     23
    .vgpr_spill_count: 0
    .wavefront_size: 32
    .workgroup_processor_mode: 1
  - .args:
      - .address_space:  global
        .offset:         0
        .size:           8
        .value_kind:     global_buffer
      - .offset:         8
        .size:           3392
        .value_kind:     by_value
      - .offset:         3400
        .size:           32
        .value_kind:     by_value
      - .offset:         3432
        .size:           4
        .value_kind:     by_value
      - .offset:         3436
        .size:           4
        .value_kind:     by_value
      - .offset:         3440
        .size:           4
        .value_kind:     hidden_block_count_x
      - .offset:         3444
        .size:           4
        .value_kind:     hidden_block_count_y
      - .offset:         3448
        .size:           4
        .value_kind:     hidden_block_count_z
      - .offset:         3452
        .size:           2
        .value_kind:     hidden_group_size_x
      - .offset:         3454
        .size:           2
        .value_kind:     hidden_group_size_y
      - .offset:         3456
        .size:           2
        .value_kind:     hidden_group_size_z
      - .offset:         3458
        .size:           2
        .value_kind:     hidden_remainder_x
      - .offset:         3460
        .size:           2
        .value_kind:     hidden_remainder_y
      - .offset:         3462
        .size:           2
        .value_kind:     hidden_remainder_z
      - .offset:         3480
        .size:           8
        .value_kind:     hidden_global_offset_x
      - .offset:         3488
        .size:           8
        .value_kind:     hidden_global_offset_y
      - .offset:         3496
        .size:           8
        .value_kind:     hidden_global_offset_z
      - .offset:         3504
        .size:           2
        .value_kind:     hidden_grid_dims
    .group_segment_fixed_size: 0
    .kernarg_segment_align: 8
    .kernarg_segment_size: 3696
    .language:       OpenCL C
    .language_version:
      - 2
      - 0
    .max_flat_workgroup_size: 1024
    .name:           _ZN2at6native12_GLOBAL__N_126CatArrayBatchedCopy_contigINS1_10OpaqueTypeILj1EEEjLi1ELi64ELi64EEEvPT_NS1_25CatArrInputTensorMetadataIS5_T0_XT2_EXT3_EEENS1_16TensorSizeStrideIS8_Lj4EEEiS8_
    .private_segment_fixed_size: 0
    .sgpr_count:     16
    .sgpr_spill_count: 0
    .symbol:         _ZN2at6native12_GLOBAL__N_126CatArrayBatchedCopy_contigINS1_10OpaqueTypeILj1EEEjLi1ELi64ELi64EEEvPT_NS1_25CatArrInputTensorMetadataIS5_T0_XT2_EXT3_EEENS1_16TensorSizeStrideIS8_Lj4EEEiS8_.kd
    .uniform_work_group_size: 1
    .uses_dynamic_stack: false
    .vgpr_count:     3
    .vgpr_spill_count: 0
    .wavefront_size: 32
    .workgroup_processor_mode: 1
  - .args:
      - .address_space:  global
        .offset:         0
        .size:           8
        .value_kind:     global_buffer
      - .offset:         8
        .size:           3392
        .value_kind:     by_value
      - .offset:         3400
        .size:           32
        .value_kind:     by_value
      - .offset:         3432
        .size:           4
        .value_kind:     by_value
      - .offset:         3436
        .size:           4
        .value_kind:     by_value
      - .offset:         3440
        .size:           4
        .value_kind:     hidden_block_count_x
      - .offset:         3444
        .size:           4
        .value_kind:     hidden_block_count_y
      - .offset:         3448
        .size:           4
        .value_kind:     hidden_block_count_z
      - .offset:         3452
        .size:           2
        .value_kind:     hidden_group_size_x
      - .offset:         3454
        .size:           2
        .value_kind:     hidden_group_size_y
      - .offset:         3456
        .size:           2
        .value_kind:     hidden_group_size_z
      - .offset:         3458
        .size:           2
        .value_kind:     hidden_remainder_x
      - .offset:         3460
        .size:           2
        .value_kind:     hidden_remainder_y
      - .offset:         3462
        .size:           2
        .value_kind:     hidden_remainder_z
      - .offset:         3480
        .size:           8
        .value_kind:     hidden_global_offset_x
      - .offset:         3488
        .size:           8
        .value_kind:     hidden_global_offset_y
      - .offset:         3496
        .size:           8
        .value_kind:     hidden_global_offset_z
      - .offset:         3504
        .size:           2
        .value_kind:     hidden_grid_dims
    .group_segment_fixed_size: 0
    .kernarg_segment_align: 8
    .kernarg_segment_size: 3696
    .language:       OpenCL C
    .language_version:
      - 2
      - 0
    .max_flat_workgroup_size: 1024
    .name:           _ZN2at6native12_GLOBAL__N_119CatArrayBatchedCopyINS1_10OpaqueTypeILj1EEEjLi1ELi64ELi64EEEvPT_NS1_25CatArrInputTensorMetadataIS5_T0_XT2_EXT3_EEENS1_16TensorSizeStrideIS8_Lj4EEEiS8_
    .private_segment_fixed_size: 0
    .sgpr_count:     20
    .sgpr_spill_count: 0
    .symbol:         _ZN2at6native12_GLOBAL__N_119CatArrayBatchedCopyINS1_10OpaqueTypeILj1EEEjLi1ELi64ELi64EEEvPT_NS1_25CatArrInputTensorMetadataIS5_T0_XT2_EXT3_EEENS1_16TensorSizeStrideIS8_Lj4EEEiS8_.kd
    .uniform_work_group_size: 1
    .uses_dynamic_stack: false
    .vgpr_count:     4
    .vgpr_spill_count: 0
    .wavefront_size: 32
    .workgroup_processor_mode: 1
  - .args:
      - .address_space:  global
        .offset:         0
        .size:           8
        .value_kind:     global_buffer
      - .offset:         8
        .size:           3392
        .value_kind:     by_value
      - .offset:         3400
        .size:           32
        .value_kind:     by_value
      - .offset:         3432
        .size:           4
        .value_kind:     by_value
      - .offset:         3436
        .size:           4
        .value_kind:     by_value
      - .offset:         3440
        .size:           4
        .value_kind:     hidden_block_count_x
      - .offset:         3444
        .size:           4
        .value_kind:     hidden_block_count_y
      - .offset:         3448
        .size:           4
        .value_kind:     hidden_block_count_z
      - .offset:         3452
        .size:           2
        .value_kind:     hidden_group_size_x
      - .offset:         3454
        .size:           2
        .value_kind:     hidden_group_size_y
      - .offset:         3456
        .size:           2
        .value_kind:     hidden_group_size_z
      - .offset:         3458
        .size:           2
        .value_kind:     hidden_remainder_x
      - .offset:         3460
        .size:           2
        .value_kind:     hidden_remainder_y
      - .offset:         3462
        .size:           2
        .value_kind:     hidden_remainder_z
      - .offset:         3480
        .size:           8
        .value_kind:     hidden_global_offset_x
      - .offset:         3488
        .size:           8
        .value_kind:     hidden_global_offset_y
      - .offset:         3496
        .size:           8
        .value_kind:     hidden_global_offset_z
      - .offset:         3504
        .size:           2
        .value_kind:     hidden_grid_dims
    .group_segment_fixed_size: 0
    .kernarg_segment_align: 8
    .kernarg_segment_size: 3696
    .language:       OpenCL C
    .language_version:
      - 2
      - 0
    .max_flat_workgroup_size: 1024
    .name:           _ZN2at6native12_GLOBAL__N_130CatArrayBatchedCopy_vectorizedINS1_10OpaqueTypeILj1EEEjLi2ELi64ELi64ELi16ELi16EEEvPcNS1_25CatArrInputTensorMetadataIT_T0_XT2_EXT3_EEENS1_16TensorSizeStrideIS8_Lj4EEEiS8_
    .private_segment_fixed_size: 0
    .sgpr_count:     18
    .sgpr_spill_count: 0
    .symbol:         _ZN2at6native12_GLOBAL__N_130CatArrayBatchedCopy_vectorizedINS1_10OpaqueTypeILj1EEEjLi2ELi64ELi64ELi16ELi16EEEvPcNS1_25CatArrInputTensorMetadataIT_T0_XT2_EXT3_EEENS1_16TensorSizeStrideIS8_Lj4EEEiS8_.kd
    .uniform_work_group_size: 1
    .uses_dynamic_stack: false
    .vgpr_count:     12
    .vgpr_spill_count: 0
    .wavefront_size: 32
    .workgroup_processor_mode: 1
  - .args:
      - .address_space:  global
        .offset:         0
        .size:           8
        .value_kind:     global_buffer
      - .offset:         8
        .size:           3392
        .value_kind:     by_value
      - .offset:         3400
        .size:           32
        .value_kind:     by_value
      - .offset:         3432
        .size:           4
        .value_kind:     by_value
      - .offset:         3436
        .size:           4
        .value_kind:     by_value
      - .offset:         3440
        .size:           4
        .value_kind:     hidden_block_count_x
      - .offset:         3444
        .size:           4
        .value_kind:     hidden_block_count_y
      - .offset:         3448
        .size:           4
        .value_kind:     hidden_block_count_z
      - .offset:         3452
        .size:           2
        .value_kind:     hidden_group_size_x
      - .offset:         3454
        .size:           2
        .value_kind:     hidden_group_size_y
      - .offset:         3456
        .size:           2
        .value_kind:     hidden_group_size_z
      - .offset:         3458
        .size:           2
        .value_kind:     hidden_remainder_x
      - .offset:         3460
        .size:           2
        .value_kind:     hidden_remainder_y
      - .offset:         3462
        .size:           2
        .value_kind:     hidden_remainder_z
      - .offset:         3480
        .size:           8
        .value_kind:     hidden_global_offset_x
      - .offset:         3488
        .size:           8
        .value_kind:     hidden_global_offset_y
      - .offset:         3496
        .size:           8
        .value_kind:     hidden_global_offset_z
      - .offset:         3504
        .size:           2
        .value_kind:     hidden_grid_dims
    .group_segment_fixed_size: 0
    .kernarg_segment_align: 8
    .kernarg_segment_size: 3696
    .language:       OpenCL C
    .language_version:
      - 2
      - 0
    .max_flat_workgroup_size: 1024
    .name:           _ZN2at6native12_GLOBAL__N_135CatArrayBatchedCopy_alignedK_contigINS1_10OpaqueTypeILj1EEEjLi2ELi64ELi64ELi16EEEvPT_NS1_25CatArrInputTensorMetadataIS5_T0_XT2_EXT3_EEENS1_16TensorSizeStrideIS8_Lj4EEEiS8_
    .private_segment_fixed_size: 0
    .sgpr_count:     34
    .sgpr_spill_count: 0
    .symbol:         _ZN2at6native12_GLOBAL__N_135CatArrayBatchedCopy_alignedK_contigINS1_10OpaqueTypeILj1EEEjLi2ELi64ELi64ELi16EEEvPT_NS1_25CatArrInputTensorMetadataIS5_T0_XT2_EXT3_EEENS1_16TensorSizeStrideIS8_Lj4EEEiS8_.kd
    .uniform_work_group_size: 1
    .uses_dynamic_stack: false
    .vgpr_count:     65
    .vgpr_spill_count: 0
    .wavefront_size: 32
    .workgroup_processor_mode: 1
  - .args:
      - .address_space:  global
        .offset:         0
        .size:           8
        .value_kind:     global_buffer
      - .offset:         8
        .size:           3392
        .value_kind:     by_value
      - .offset:         3400
        .size:           32
        .value_kind:     by_value
      - .offset:         3432
        .size:           4
        .value_kind:     by_value
      - .offset:         3436
        .size:           4
        .value_kind:     by_value
      - .offset:         3440
        .size:           4
        .value_kind:     hidden_block_count_x
      - .offset:         3444
        .size:           4
        .value_kind:     hidden_block_count_y
      - .offset:         3448
        .size:           4
        .value_kind:     hidden_block_count_z
      - .offset:         3452
        .size:           2
        .value_kind:     hidden_group_size_x
      - .offset:         3454
        .size:           2
        .value_kind:     hidden_group_size_y
      - .offset:         3456
        .size:           2
        .value_kind:     hidden_group_size_z
      - .offset:         3458
        .size:           2
        .value_kind:     hidden_remainder_x
      - .offset:         3460
        .size:           2
        .value_kind:     hidden_remainder_y
      - .offset:         3462
        .size:           2
        .value_kind:     hidden_remainder_z
      - .offset:         3480
        .size:           8
        .value_kind:     hidden_global_offset_x
      - .offset:         3488
        .size:           8
        .value_kind:     hidden_global_offset_y
      - .offset:         3496
        .size:           8
        .value_kind:     hidden_global_offset_z
      - .offset:         3504
        .size:           2
        .value_kind:     hidden_grid_dims
    .group_segment_fixed_size: 0
    .kernarg_segment_align: 8
    .kernarg_segment_size: 3696
    .language:       OpenCL C
    .language_version:
      - 2
      - 0
    .max_flat_workgroup_size: 1024
    .name:           _ZN2at6native12_GLOBAL__N_135CatArrayBatchedCopy_alignedK_contigINS1_10OpaqueTypeILj1EEEjLi2ELi64ELi64ELi8EEEvPT_NS1_25CatArrInputTensorMetadataIS5_T0_XT2_EXT3_EEENS1_16TensorSizeStrideIS8_Lj4EEEiS8_
    .private_segment_fixed_size: 0
    .sgpr_count:     25
    .sgpr_spill_count: 0
    .symbol:         _ZN2at6native12_GLOBAL__N_135CatArrayBatchedCopy_alignedK_contigINS1_10OpaqueTypeILj1EEEjLi2ELi64ELi64ELi8EEEvPT_NS1_25CatArrInputTensorMetadataIS5_T0_XT2_EXT3_EEENS1_16TensorSizeStrideIS8_Lj4EEEiS8_.kd
    .uniform_work_group_size: 1
    .uses_dynamic_stack: false
    .vgpr_count:     48
    .vgpr_spill_count: 0
    .wavefront_size: 32
    .workgroup_processor_mode: 1
  - .args:
      - .address_space:  global
        .offset:         0
        .size:           8
        .value_kind:     global_buffer
      - .offset:         8
        .size:           3392
        .value_kind:     by_value
      - .offset:         3400
        .size:           32
        .value_kind:     by_value
      - .offset:         3432
        .size:           4
        .value_kind:     by_value
      - .offset:         3436
        .size:           4
        .value_kind:     by_value
      - .offset:         3440
        .size:           4
        .value_kind:     hidden_block_count_x
      - .offset:         3444
        .size:           4
        .value_kind:     hidden_block_count_y
      - .offset:         3448
        .size:           4
        .value_kind:     hidden_block_count_z
      - .offset:         3452
        .size:           2
        .value_kind:     hidden_group_size_x
      - .offset:         3454
        .size:           2
        .value_kind:     hidden_group_size_y
      - .offset:         3456
        .size:           2
        .value_kind:     hidden_group_size_z
      - .offset:         3458
        .size:           2
        .value_kind:     hidden_remainder_x
      - .offset:         3460
        .size:           2
        .value_kind:     hidden_remainder_y
      - .offset:         3462
        .size:           2
        .value_kind:     hidden_remainder_z
      - .offset:         3480
        .size:           8
        .value_kind:     hidden_global_offset_x
      - .offset:         3488
        .size:           8
        .value_kind:     hidden_global_offset_y
      - .offset:         3496
        .size:           8
        .value_kind:     hidden_global_offset_z
      - .offset:         3504
        .size:           2
        .value_kind:     hidden_grid_dims
    .group_segment_fixed_size: 0
    .kernarg_segment_align: 8
    .kernarg_segment_size: 3696
    .language:       OpenCL C
    .language_version:
      - 2
      - 0
    .max_flat_workgroup_size: 1024
    .name:           _ZN2at6native12_GLOBAL__N_126CatArrayBatchedCopy_contigINS1_10OpaqueTypeILj1EEEjLi2ELi64ELi64EEEvPT_NS1_25CatArrInputTensorMetadataIS5_T0_XT2_EXT3_EEENS1_16TensorSizeStrideIS8_Lj4EEEiS8_
    .private_segment_fixed_size: 0
    .sgpr_count:     19
    .sgpr_spill_count: 0
    .symbol:         _ZN2at6native12_GLOBAL__N_126CatArrayBatchedCopy_contigINS1_10OpaqueTypeILj1EEEjLi2ELi64ELi64EEEvPT_NS1_25CatArrInputTensorMetadataIS5_T0_XT2_EXT3_EEENS1_16TensorSizeStrideIS8_Lj4EEEiS8_.kd
    .uniform_work_group_size: 1
    .uses_dynamic_stack: false
    .vgpr_count:     8
    .vgpr_spill_count: 0
    .wavefront_size: 32
    .workgroup_processor_mode: 1
  - .args:
      - .address_space:  global
        .offset:         0
        .size:           8
        .value_kind:     global_buffer
      - .offset:         8
        .size:           3392
        .value_kind:     by_value
      - .offset:         3400
        .size:           32
        .value_kind:     by_value
      - .offset:         3432
        .size:           4
        .value_kind:     by_value
      - .offset:         3436
        .size:           4
        .value_kind:     by_value
      - .offset:         3440
        .size:           4
        .value_kind:     hidden_block_count_x
      - .offset:         3444
        .size:           4
        .value_kind:     hidden_block_count_y
      - .offset:         3448
        .size:           4
        .value_kind:     hidden_block_count_z
      - .offset:         3452
        .size:           2
        .value_kind:     hidden_group_size_x
      - .offset:         3454
        .size:           2
        .value_kind:     hidden_group_size_y
      - .offset:         3456
        .size:           2
        .value_kind:     hidden_group_size_z
      - .offset:         3458
        .size:           2
        .value_kind:     hidden_remainder_x
      - .offset:         3460
        .size:           2
        .value_kind:     hidden_remainder_y
      - .offset:         3462
        .size:           2
        .value_kind:     hidden_remainder_z
      - .offset:         3480
        .size:           8
        .value_kind:     hidden_global_offset_x
      - .offset:         3488
        .size:           8
        .value_kind:     hidden_global_offset_y
      - .offset:         3496
        .size:           8
        .value_kind:     hidden_global_offset_z
      - .offset:         3504
        .size:           2
        .value_kind:     hidden_grid_dims
    .group_segment_fixed_size: 0
    .kernarg_segment_align: 8
    .kernarg_segment_size: 3696
    .language:       OpenCL C
    .language_version:
      - 2
      - 0
    .max_flat_workgroup_size: 1024
    .name:           _ZN2at6native12_GLOBAL__N_119CatArrayBatchedCopyINS1_10OpaqueTypeILj1EEEjLi2ELi64ELi64EEEvPT_NS1_25CatArrInputTensorMetadataIS5_T0_XT2_EXT3_EEENS1_16TensorSizeStrideIS8_Lj4EEEiS8_
    .private_segment_fixed_size: 0
    .sgpr_count:     25
    .sgpr_spill_count: 0
    .symbol:         _ZN2at6native12_GLOBAL__N_119CatArrayBatchedCopyINS1_10OpaqueTypeILj1EEEjLi2ELi64ELi64EEEvPT_NS1_25CatArrInputTensorMetadataIS5_T0_XT2_EXT3_EEENS1_16TensorSizeStrideIS8_Lj4EEEiS8_.kd
    .uniform_work_group_size: 1
    .uses_dynamic_stack: false
    .vgpr_count:     10
    .vgpr_spill_count: 0
    .wavefront_size: 32
    .workgroup_processor_mode: 1
  - .args:
      - .address_space:  global
        .offset:         0
        .size:           8
        .value_kind:     global_buffer
      - .offset:         8
        .size:           3392
        .value_kind:     by_value
      - .offset:         3400
        .size:           32
        .value_kind:     by_value
      - .offset:         3432
        .size:           4
        .value_kind:     by_value
      - .offset:         3436
        .size:           4
        .value_kind:     by_value
      - .offset:         3440
        .size:           4
        .value_kind:     hidden_block_count_x
      - .offset:         3444
        .size:           4
        .value_kind:     hidden_block_count_y
      - .offset:         3448
        .size:           4
        .value_kind:     hidden_block_count_z
      - .offset:         3452
        .size:           2
        .value_kind:     hidden_group_size_x
      - .offset:         3454
        .size:           2
        .value_kind:     hidden_group_size_y
      - .offset:         3456
        .size:           2
        .value_kind:     hidden_group_size_z
      - .offset:         3458
        .size:           2
        .value_kind:     hidden_remainder_x
      - .offset:         3460
        .size:           2
        .value_kind:     hidden_remainder_y
      - .offset:         3462
        .size:           2
        .value_kind:     hidden_remainder_z
      - .offset:         3480
        .size:           8
        .value_kind:     hidden_global_offset_x
      - .offset:         3488
        .size:           8
        .value_kind:     hidden_global_offset_y
      - .offset:         3496
        .size:           8
        .value_kind:     hidden_global_offset_z
      - .offset:         3504
        .size:           2
        .value_kind:     hidden_grid_dims
    .group_segment_fixed_size: 0
    .kernarg_segment_align: 8
    .kernarg_segment_size: 3696
    .language:       OpenCL C
    .language_version:
      - 2
      - 0
    .max_flat_workgroup_size: 1024
    .name:           _ZN2at6native12_GLOBAL__N_130CatArrayBatchedCopy_vectorizedINS1_10OpaqueTypeILj1EEEjLi3ELi64ELi64ELi16ELi16EEEvPcNS1_25CatArrInputTensorMetadataIT_T0_XT2_EXT3_EEENS1_16TensorSizeStrideIS8_Lj4EEEiS8_
    .private_segment_fixed_size: 0
    .sgpr_count:     22
    .sgpr_spill_count: 0
    .symbol:         _ZN2at6native12_GLOBAL__N_130CatArrayBatchedCopy_vectorizedINS1_10OpaqueTypeILj1EEEjLi3ELi64ELi64ELi16ELi16EEEvPcNS1_25CatArrInputTensorMetadataIT_T0_XT2_EXT3_EEENS1_16TensorSizeStrideIS8_Lj4EEEiS8_.kd
    .uniform_work_group_size: 1
    .uses_dynamic_stack: false
    .vgpr_count:     13
    .vgpr_spill_count: 0
    .wavefront_size: 32
    .workgroup_processor_mode: 1
  - .args:
      - .address_space:  global
        .offset:         0
        .size:           8
        .value_kind:     global_buffer
      - .offset:         8
        .size:           3392
        .value_kind:     by_value
      - .offset:         3400
        .size:           32
        .value_kind:     by_value
      - .offset:         3432
        .size:           4
        .value_kind:     by_value
      - .offset:         3436
        .size:           4
        .value_kind:     by_value
      - .offset:         3440
        .size:           4
        .value_kind:     hidden_block_count_x
      - .offset:         3444
        .size:           4
        .value_kind:     hidden_block_count_y
      - .offset:         3448
        .size:           4
        .value_kind:     hidden_block_count_z
      - .offset:         3452
        .size:           2
        .value_kind:     hidden_group_size_x
      - .offset:         3454
        .size:           2
        .value_kind:     hidden_group_size_y
      - .offset:         3456
        .size:           2
        .value_kind:     hidden_group_size_z
      - .offset:         3458
        .size:           2
        .value_kind:     hidden_remainder_x
      - .offset:         3460
        .size:           2
        .value_kind:     hidden_remainder_y
      - .offset:         3462
        .size:           2
        .value_kind:     hidden_remainder_z
      - .offset:         3480
        .size:           8
        .value_kind:     hidden_global_offset_x
      - .offset:         3488
        .size:           8
        .value_kind:     hidden_global_offset_y
      - .offset:         3496
        .size:           8
        .value_kind:     hidden_global_offset_z
      - .offset:         3504
        .size:           2
        .value_kind:     hidden_grid_dims
    .group_segment_fixed_size: 0
    .kernarg_segment_align: 8
    .kernarg_segment_size: 3696
    .language:       OpenCL C
    .language_version:
      - 2
      - 0
    .max_flat_workgroup_size: 1024
    .name:           _ZN2at6native12_GLOBAL__N_135CatArrayBatchedCopy_alignedK_contigINS1_10OpaqueTypeILj1EEEjLi3ELi64ELi64ELi16EEEvPT_NS1_25CatArrInputTensorMetadataIS5_T0_XT2_EXT3_EEENS1_16TensorSizeStrideIS8_Lj4EEEiS8_
    .private_segment_fixed_size: 0
    .sgpr_count:     28
    .sgpr_spill_count: 0
    .symbol:         _ZN2at6native12_GLOBAL__N_135CatArrayBatchedCopy_alignedK_contigINS1_10OpaqueTypeILj1EEEjLi3ELi64ELi64ELi16EEEvPT_NS1_25CatArrInputTensorMetadataIS5_T0_XT2_EXT3_EEENS1_16TensorSizeStrideIS8_Lj4EEEiS8_.kd
    .uniform_work_group_size: 1
    .uses_dynamic_stack: false
    .vgpr_count:     52
    .vgpr_spill_count: 0
    .wavefront_size: 32
    .workgroup_processor_mode: 1
  - .args:
      - .address_space:  global
        .offset:         0
        .size:           8
        .value_kind:     global_buffer
      - .offset:         8
        .size:           3392
        .value_kind:     by_value
      - .offset:         3400
        .size:           32
        .value_kind:     by_value
      - .offset:         3432
        .size:           4
        .value_kind:     by_value
      - .offset:         3436
        .size:           4
        .value_kind:     by_value
      - .offset:         3440
        .size:           4
        .value_kind:     hidden_block_count_x
      - .offset:         3444
        .size:           4
        .value_kind:     hidden_block_count_y
      - .offset:         3448
        .size:           4
        .value_kind:     hidden_block_count_z
      - .offset:         3452
        .size:           2
        .value_kind:     hidden_group_size_x
      - .offset:         3454
        .size:           2
        .value_kind:     hidden_group_size_y
      - .offset:         3456
        .size:           2
        .value_kind:     hidden_group_size_z
      - .offset:         3458
        .size:           2
        .value_kind:     hidden_remainder_x
      - .offset:         3460
        .size:           2
        .value_kind:     hidden_remainder_y
      - .offset:         3462
        .size:           2
        .value_kind:     hidden_remainder_z
      - .offset:         3480
        .size:           8
        .value_kind:     hidden_global_offset_x
      - .offset:         3488
        .size:           8
        .value_kind:     hidden_global_offset_y
      - .offset:         3496
        .size:           8
        .value_kind:     hidden_global_offset_z
      - .offset:         3504
        .size:           2
        .value_kind:     hidden_grid_dims
    .group_segment_fixed_size: 0
    .kernarg_segment_align: 8
    .kernarg_segment_size: 3696
    .language:       OpenCL C
    .language_version:
      - 2
      - 0
    .max_flat_workgroup_size: 1024
    .name:           _ZN2at6native12_GLOBAL__N_135CatArrayBatchedCopy_alignedK_contigINS1_10OpaqueTypeILj1EEEjLi3ELi64ELi64ELi8EEEvPT_NS1_25CatArrInputTensorMetadataIS5_T0_XT2_EXT3_EEENS1_16TensorSizeStrideIS8_Lj4EEEiS8_
    .private_segment_fixed_size: 0
    .sgpr_count:     28
    .sgpr_spill_count: 0
    .symbol:         _ZN2at6native12_GLOBAL__N_135CatArrayBatchedCopy_alignedK_contigINS1_10OpaqueTypeILj1EEEjLi3ELi64ELi64ELi8EEEvPT_NS1_25CatArrInputTensorMetadataIS5_T0_XT2_EXT3_EEENS1_16TensorSizeStrideIS8_Lj4EEEiS8_.kd
    .uniform_work_group_size: 1
    .uses_dynamic_stack: false
    .vgpr_count:     52
    .vgpr_spill_count: 0
    .wavefront_size: 32
    .workgroup_processor_mode: 1
  - .args:
      - .address_space:  global
        .offset:         0
        .size:           8
        .value_kind:     global_buffer
      - .offset:         8
        .size:           3392
        .value_kind:     by_value
      - .offset:         3400
        .size:           32
        .value_kind:     by_value
      - .offset:         3432
        .size:           4
        .value_kind:     by_value
      - .offset:         3436
        .size:           4
        .value_kind:     by_value
      - .offset:         3440
        .size:           4
        .value_kind:     hidden_block_count_x
      - .offset:         3444
        .size:           4
        .value_kind:     hidden_block_count_y
      - .offset:         3448
        .size:           4
        .value_kind:     hidden_block_count_z
      - .offset:         3452
        .size:           2
        .value_kind:     hidden_group_size_x
      - .offset:         3454
        .size:           2
        .value_kind:     hidden_group_size_y
      - .offset:         3456
        .size:           2
        .value_kind:     hidden_group_size_z
      - .offset:         3458
        .size:           2
        .value_kind:     hidden_remainder_x
      - .offset:         3460
        .size:           2
        .value_kind:     hidden_remainder_y
      - .offset:         3462
        .size:           2
        .value_kind:     hidden_remainder_z
      - .offset:         3480
        .size:           8
        .value_kind:     hidden_global_offset_x
      - .offset:         3488
        .size:           8
        .value_kind:     hidden_global_offset_y
      - .offset:         3496
        .size:           8
        .value_kind:     hidden_global_offset_z
      - .offset:         3504
        .size:           2
        .value_kind:     hidden_grid_dims
    .group_segment_fixed_size: 0
    .kernarg_segment_align: 8
    .kernarg_segment_size: 3696
    .language:       OpenCL C
    .language_version:
      - 2
      - 0
    .max_flat_workgroup_size: 1024
    .name:           _ZN2at6native12_GLOBAL__N_126CatArrayBatchedCopy_contigINS1_10OpaqueTypeILj1EEEjLi3ELi64ELi64EEEvPT_NS1_25CatArrInputTensorMetadataIS5_T0_XT2_EXT3_EEENS1_16TensorSizeStrideIS8_Lj4EEEiS8_
    .private_segment_fixed_size: 0
    .sgpr_count:     24
    .sgpr_spill_count: 0
    .symbol:         _ZN2at6native12_GLOBAL__N_126CatArrayBatchedCopy_contigINS1_10OpaqueTypeILj1EEEjLi3ELi64ELi64EEEvPT_NS1_25CatArrInputTensorMetadataIS5_T0_XT2_EXT3_EEENS1_16TensorSizeStrideIS8_Lj4EEEiS8_.kd
    .uniform_work_group_size: 1
    .uses_dynamic_stack: false
    .vgpr_count:     9
    .vgpr_spill_count: 0
    .wavefront_size: 32
    .workgroup_processor_mode: 1
  - .args:
      - .address_space:  global
        .offset:         0
        .size:           8
        .value_kind:     global_buffer
      - .offset:         8
        .size:           3392
        .value_kind:     by_value
      - .offset:         3400
        .size:           32
        .value_kind:     by_value
      - .offset:         3432
        .size:           4
        .value_kind:     by_value
      - .offset:         3436
        .size:           4
        .value_kind:     by_value
      - .offset:         3440
        .size:           4
        .value_kind:     hidden_block_count_x
      - .offset:         3444
        .size:           4
        .value_kind:     hidden_block_count_y
      - .offset:         3448
        .size:           4
        .value_kind:     hidden_block_count_z
      - .offset:         3452
        .size:           2
        .value_kind:     hidden_group_size_x
      - .offset:         3454
        .size:           2
        .value_kind:     hidden_group_size_y
      - .offset:         3456
        .size:           2
        .value_kind:     hidden_group_size_z
      - .offset:         3458
        .size:           2
        .value_kind:     hidden_remainder_x
      - .offset:         3460
        .size:           2
        .value_kind:     hidden_remainder_y
      - .offset:         3462
        .size:           2
        .value_kind:     hidden_remainder_z
      - .offset:         3480
        .size:           8
        .value_kind:     hidden_global_offset_x
      - .offset:         3488
        .size:           8
        .value_kind:     hidden_global_offset_y
      - .offset:         3496
        .size:           8
        .value_kind:     hidden_global_offset_z
      - .offset:         3504
        .size:           2
        .value_kind:     hidden_grid_dims
    .group_segment_fixed_size: 0
    .kernarg_segment_align: 8
    .kernarg_segment_size: 3696
    .language:       OpenCL C
    .language_version:
      - 2
      - 0
    .max_flat_workgroup_size: 1024
    .name:           _ZN2at6native12_GLOBAL__N_119CatArrayBatchedCopyINS1_10OpaqueTypeILj1EEEjLi3ELi64ELi64EEEvPT_NS1_25CatArrInputTensorMetadataIS5_T0_XT2_EXT3_EEENS1_16TensorSizeStrideIS8_Lj4EEEiS8_
    .private_segment_fixed_size: 0
    .sgpr_count:     30
    .sgpr_spill_count: 0
    .symbol:         _ZN2at6native12_GLOBAL__N_119CatArrayBatchedCopyINS1_10OpaqueTypeILj1EEEjLi3ELi64ELi64EEEvPT_NS1_25CatArrInputTensorMetadataIS5_T0_XT2_EXT3_EEENS1_16TensorSizeStrideIS8_Lj4EEEiS8_.kd
    .uniform_work_group_size: 1
    .uses_dynamic_stack: false
    .vgpr_count:     12
    .vgpr_spill_count: 0
    .wavefront_size: 32
    .workgroup_processor_mode: 1
  - .args:
      - .address_space:  global
        .offset:         0
        .size:           8
        .value_kind:     global_buffer
      - .offset:         8
        .size:           3392
        .value_kind:     by_value
      - .offset:         3400
        .size:           32
        .value_kind:     by_value
      - .offset:         3432
        .size:           4
        .value_kind:     by_value
      - .offset:         3436
        .size:           4
        .value_kind:     by_value
      - .offset:         3440
        .size:           4
        .value_kind:     hidden_block_count_x
      - .offset:         3444
        .size:           4
        .value_kind:     hidden_block_count_y
      - .offset:         3448
        .size:           4
        .value_kind:     hidden_block_count_z
      - .offset:         3452
        .size:           2
        .value_kind:     hidden_group_size_x
      - .offset:         3454
        .size:           2
        .value_kind:     hidden_group_size_y
      - .offset:         3456
        .size:           2
        .value_kind:     hidden_group_size_z
      - .offset:         3458
        .size:           2
        .value_kind:     hidden_remainder_x
      - .offset:         3460
        .size:           2
        .value_kind:     hidden_remainder_y
      - .offset:         3462
        .size:           2
        .value_kind:     hidden_remainder_z
      - .offset:         3480
        .size:           8
        .value_kind:     hidden_global_offset_x
      - .offset:         3488
        .size:           8
        .value_kind:     hidden_global_offset_y
      - .offset:         3496
        .size:           8
        .value_kind:     hidden_global_offset_z
      - .offset:         3504
        .size:           2
        .value_kind:     hidden_grid_dims
    .group_segment_fixed_size: 0
    .kernarg_segment_align: 8
    .kernarg_segment_size: 3696
    .language:       OpenCL C
    .language_version:
      - 2
      - 0
    .max_flat_workgroup_size: 1024
    .name:           _ZN2at6native12_GLOBAL__N_130CatArrayBatchedCopy_vectorizedINS1_10OpaqueTypeILj1EEEjLi4ELi64ELi64ELi16ELi16EEEvPcNS1_25CatArrInputTensorMetadataIT_T0_XT2_EXT3_EEENS1_16TensorSizeStrideIS8_Lj4EEEiS8_
    .private_segment_fixed_size: 0
    .sgpr_count:     22
    .sgpr_spill_count: 0
    .symbol:         _ZN2at6native12_GLOBAL__N_130CatArrayBatchedCopy_vectorizedINS1_10OpaqueTypeILj1EEEjLi4ELi64ELi64ELi16ELi16EEEvPcNS1_25CatArrInputTensorMetadataIT_T0_XT2_EXT3_EEENS1_16TensorSizeStrideIS8_Lj4EEEiS8_.kd
    .uniform_work_group_size: 1
    .uses_dynamic_stack: false
    .vgpr_count:     16
    .vgpr_spill_count: 0
    .wavefront_size: 32
    .workgroup_processor_mode: 1
  - .args:
      - .address_space:  global
        .offset:         0
        .size:           8
        .value_kind:     global_buffer
      - .offset:         8
        .size:           3392
        .value_kind:     by_value
      - .offset:         3400
        .size:           32
        .value_kind:     by_value
      - .offset:         3432
        .size:           4
        .value_kind:     by_value
      - .offset:         3436
        .size:           4
        .value_kind:     by_value
      - .offset:         3440
        .size:           4
        .value_kind:     hidden_block_count_x
      - .offset:         3444
        .size:           4
        .value_kind:     hidden_block_count_y
      - .offset:         3448
        .size:           4
        .value_kind:     hidden_block_count_z
      - .offset:         3452
        .size:           2
        .value_kind:     hidden_group_size_x
      - .offset:         3454
        .size:           2
        .value_kind:     hidden_group_size_y
      - .offset:         3456
        .size:           2
        .value_kind:     hidden_group_size_z
      - .offset:         3458
        .size:           2
        .value_kind:     hidden_remainder_x
      - .offset:         3460
        .size:           2
        .value_kind:     hidden_remainder_y
      - .offset:         3462
        .size:           2
        .value_kind:     hidden_remainder_z
      - .offset:         3480
        .size:           8
        .value_kind:     hidden_global_offset_x
      - .offset:         3488
        .size:           8
        .value_kind:     hidden_global_offset_y
      - .offset:         3496
        .size:           8
        .value_kind:     hidden_global_offset_z
      - .offset:         3504
        .size:           2
        .value_kind:     hidden_grid_dims
    .group_segment_fixed_size: 0
    .kernarg_segment_align: 8
    .kernarg_segment_size: 3696
    .language:       OpenCL C
    .language_version:
      - 2
      - 0
    .max_flat_workgroup_size: 1024
    .name:           _ZN2at6native12_GLOBAL__N_135CatArrayBatchedCopy_alignedK_contigINS1_10OpaqueTypeILj1EEEjLi4ELi64ELi64ELi16EEEvPT_NS1_25CatArrInputTensorMetadataIS5_T0_XT2_EXT3_EEENS1_16TensorSizeStrideIS8_Lj4EEEiS8_
    .private_segment_fixed_size: 0
    .sgpr_count:     27
    .sgpr_spill_count: 0
    .symbol:         _ZN2at6native12_GLOBAL__N_135CatArrayBatchedCopy_alignedK_contigINS1_10OpaqueTypeILj1EEEjLi4ELi64ELi64ELi16EEEvPT_NS1_25CatArrInputTensorMetadataIS5_T0_XT2_EXT3_EEENS1_16TensorSizeStrideIS8_Lj4EEEiS8_.kd
    .uniform_work_group_size: 1
    .uses_dynamic_stack: false
    .vgpr_count:     50
    .vgpr_spill_count: 0
    .wavefront_size: 32
    .workgroup_processor_mode: 1
  - .args:
      - .address_space:  global
        .offset:         0
        .size:           8
        .value_kind:     global_buffer
      - .offset:         8
        .size:           3392
        .value_kind:     by_value
      - .offset:         3400
        .size:           32
        .value_kind:     by_value
      - .offset:         3432
        .size:           4
        .value_kind:     by_value
      - .offset:         3436
        .size:           4
        .value_kind:     by_value
      - .offset:         3440
        .size:           4
        .value_kind:     hidden_block_count_x
      - .offset:         3444
        .size:           4
        .value_kind:     hidden_block_count_y
      - .offset:         3448
        .size:           4
        .value_kind:     hidden_block_count_z
      - .offset:         3452
        .size:           2
        .value_kind:     hidden_group_size_x
      - .offset:         3454
        .size:           2
        .value_kind:     hidden_group_size_y
      - .offset:         3456
        .size:           2
        .value_kind:     hidden_group_size_z
      - .offset:         3458
        .size:           2
        .value_kind:     hidden_remainder_x
      - .offset:         3460
        .size:           2
        .value_kind:     hidden_remainder_y
      - .offset:         3462
        .size:           2
        .value_kind:     hidden_remainder_z
      - .offset:         3480
        .size:           8
        .value_kind:     hidden_global_offset_x
      - .offset:         3488
        .size:           8
        .value_kind:     hidden_global_offset_y
      - .offset:         3496
        .size:           8
        .value_kind:     hidden_global_offset_z
      - .offset:         3504
        .size:           2
        .value_kind:     hidden_grid_dims
    .group_segment_fixed_size: 0
    .kernarg_segment_align: 8
    .kernarg_segment_size: 3696
    .language:       OpenCL C
    .language_version:
      - 2
      - 0
    .max_flat_workgroup_size: 1024
    .name:           _ZN2at6native12_GLOBAL__N_135CatArrayBatchedCopy_alignedK_contigINS1_10OpaqueTypeILj1EEEjLi4ELi64ELi64ELi8EEEvPT_NS1_25CatArrInputTensorMetadataIS5_T0_XT2_EXT3_EEENS1_16TensorSizeStrideIS8_Lj4EEEiS8_
    .private_segment_fixed_size: 0
    .sgpr_count:     27
    .sgpr_spill_count: 0
    .symbol:         _ZN2at6native12_GLOBAL__N_135CatArrayBatchedCopy_alignedK_contigINS1_10OpaqueTypeILj1EEEjLi4ELi64ELi64ELi8EEEvPT_NS1_25CatArrInputTensorMetadataIS5_T0_XT2_EXT3_EEENS1_16TensorSizeStrideIS8_Lj4EEEiS8_.kd
    .uniform_work_group_size: 1
    .uses_dynamic_stack: false
    .vgpr_count:     31
    .vgpr_spill_count: 0
    .wavefront_size: 32
    .workgroup_processor_mode: 1
  - .args:
      - .address_space:  global
        .offset:         0
        .size:           8
        .value_kind:     global_buffer
      - .offset:         8
        .size:           3392
        .value_kind:     by_value
      - .offset:         3400
        .size:           32
        .value_kind:     by_value
      - .offset:         3432
        .size:           4
        .value_kind:     by_value
      - .offset:         3436
        .size:           4
        .value_kind:     by_value
      - .offset:         3440
        .size:           4
        .value_kind:     hidden_block_count_x
      - .offset:         3444
        .size:           4
        .value_kind:     hidden_block_count_y
      - .offset:         3448
        .size:           4
        .value_kind:     hidden_block_count_z
      - .offset:         3452
        .size:           2
        .value_kind:     hidden_group_size_x
      - .offset:         3454
        .size:           2
        .value_kind:     hidden_group_size_y
      - .offset:         3456
        .size:           2
        .value_kind:     hidden_group_size_z
      - .offset:         3458
        .size:           2
        .value_kind:     hidden_remainder_x
      - .offset:         3460
        .size:           2
        .value_kind:     hidden_remainder_y
      - .offset:         3462
        .size:           2
        .value_kind:     hidden_remainder_z
      - .offset:         3480
        .size:           8
        .value_kind:     hidden_global_offset_x
      - .offset:         3488
        .size:           8
        .value_kind:     hidden_global_offset_y
      - .offset:         3496
        .size:           8
        .value_kind:     hidden_global_offset_z
      - .offset:         3504
        .size:           2
        .value_kind:     hidden_grid_dims
    .group_segment_fixed_size: 0
    .kernarg_segment_align: 8
    .kernarg_segment_size: 3696
    .language:       OpenCL C
    .language_version:
      - 2
      - 0
    .max_flat_workgroup_size: 1024
    .name:           _ZN2at6native12_GLOBAL__N_126CatArrayBatchedCopy_contigINS1_10OpaqueTypeILj1EEEjLi4ELi64ELi64EEEvPT_NS1_25CatArrInputTensorMetadataIS5_T0_XT2_EXT3_EEENS1_16TensorSizeStrideIS8_Lj4EEEiS8_
    .private_segment_fixed_size: 0
    .sgpr_count:     24
    .sgpr_spill_count: 0
    .symbol:         _ZN2at6native12_GLOBAL__N_126CatArrayBatchedCopy_contigINS1_10OpaqueTypeILj1EEEjLi4ELi64ELi64EEEvPT_NS1_25CatArrInputTensorMetadataIS5_T0_XT2_EXT3_EEENS1_16TensorSizeStrideIS8_Lj4EEEiS8_.kd
    .uniform_work_group_size: 1
    .uses_dynamic_stack: false
    .vgpr_count:     11
    .vgpr_spill_count: 0
    .wavefront_size: 32
    .workgroup_processor_mode: 1
  - .args:
      - .address_space:  global
        .offset:         0
        .size:           8
        .value_kind:     global_buffer
      - .offset:         8
        .size:           3392
        .value_kind:     by_value
      - .offset:         3400
        .size:           32
        .value_kind:     by_value
      - .offset:         3432
        .size:           4
        .value_kind:     by_value
      - .offset:         3436
        .size:           4
        .value_kind:     by_value
      - .offset:         3440
        .size:           4
        .value_kind:     hidden_block_count_x
      - .offset:         3444
        .size:           4
        .value_kind:     hidden_block_count_y
      - .offset:         3448
        .size:           4
        .value_kind:     hidden_block_count_z
      - .offset:         3452
        .size:           2
        .value_kind:     hidden_group_size_x
      - .offset:         3454
        .size:           2
        .value_kind:     hidden_group_size_y
      - .offset:         3456
        .size:           2
        .value_kind:     hidden_group_size_z
      - .offset:         3458
        .size:           2
        .value_kind:     hidden_remainder_x
      - .offset:         3460
        .size:           2
        .value_kind:     hidden_remainder_y
      - .offset:         3462
        .size:           2
        .value_kind:     hidden_remainder_z
      - .offset:         3480
        .size:           8
        .value_kind:     hidden_global_offset_x
      - .offset:         3488
        .size:           8
        .value_kind:     hidden_global_offset_y
      - .offset:         3496
        .size:           8
        .value_kind:     hidden_global_offset_z
      - .offset:         3504
        .size:           2
        .value_kind:     hidden_grid_dims
    .group_segment_fixed_size: 0
    .kernarg_segment_align: 8
    .kernarg_segment_size: 3696
    .language:       OpenCL C
    .language_version:
      - 2
      - 0
    .max_flat_workgroup_size: 1024
    .name:           _ZN2at6native12_GLOBAL__N_119CatArrayBatchedCopyINS1_10OpaqueTypeILj1EEEjLi4ELi64ELi64EEEvPT_NS1_25CatArrInputTensorMetadataIS5_T0_XT2_EXT3_EEENS1_16TensorSizeStrideIS8_Lj4EEEiS8_
    .private_segment_fixed_size: 0
    .sgpr_count:     34
    .sgpr_spill_count: 0
    .symbol:         _ZN2at6native12_GLOBAL__N_119CatArrayBatchedCopyINS1_10OpaqueTypeILj1EEEjLi4ELi64ELi64EEEvPT_NS1_25CatArrInputTensorMetadataIS5_T0_XT2_EXT3_EEENS1_16TensorSizeStrideIS8_Lj4EEEiS8_.kd
    .uniform_work_group_size: 1
    .uses_dynamic_stack: false
    .vgpr_count:     15
    .vgpr_spill_count: 0
    .wavefront_size: 32
    .workgroup_processor_mode: 1
  - .args:
      - .address_space:  global
        .offset:         0
        .size:           8
        .value_kind:     global_buffer
      - .offset:         8
        .size:           3392
        .value_kind:     by_value
      - .offset:         3400
        .size:           32
        .value_kind:     by_value
      - .offset:         3432
        .size:           4
        .value_kind:     by_value
      - .offset:         3436
        .size:           4
        .value_kind:     by_value
      - .offset:         3440
        .size:           4
        .value_kind:     hidden_block_count_x
      - .offset:         3444
        .size:           4
        .value_kind:     hidden_block_count_y
      - .offset:         3448
        .size:           4
        .value_kind:     hidden_block_count_z
      - .offset:         3452
        .size:           2
        .value_kind:     hidden_group_size_x
      - .offset:         3454
        .size:           2
        .value_kind:     hidden_group_size_y
      - .offset:         3456
        .size:           2
        .value_kind:     hidden_group_size_z
      - .offset:         3458
        .size:           2
        .value_kind:     hidden_remainder_x
      - .offset:         3460
        .size:           2
        .value_kind:     hidden_remainder_y
      - .offset:         3462
        .size:           2
        .value_kind:     hidden_remainder_z
      - .offset:         3480
        .size:           8
        .value_kind:     hidden_global_offset_x
      - .offset:         3488
        .size:           8
        .value_kind:     hidden_global_offset_y
      - .offset:         3496
        .size:           8
        .value_kind:     hidden_global_offset_z
      - .offset:         3504
        .size:           2
        .value_kind:     hidden_grid_dims
    .group_segment_fixed_size: 0
    .kernarg_segment_align: 8
    .kernarg_segment_size: 3696
    .language:       OpenCL C
    .language_version:
      - 2
      - 0
    .max_flat_workgroup_size: 1024
    .name:           _ZN2at6native12_GLOBAL__N_130CatArrayBatchedCopy_vectorizedINS1_10OpaqueTypeILj2EEEjLi1ELi64ELi64ELi16ELi8EEEvPcNS1_25CatArrInputTensorMetadataIT_T0_XT2_EXT3_EEENS1_16TensorSizeStrideIS8_Lj4EEEiS8_
    .private_segment_fixed_size: 0
    .sgpr_count:     16
    .sgpr_spill_count: 0
    .symbol:         _ZN2at6native12_GLOBAL__N_130CatArrayBatchedCopy_vectorizedINS1_10OpaqueTypeILj2EEEjLi1ELi64ELi64ELi16ELi8EEEvPcNS1_25CatArrInputTensorMetadataIT_T0_XT2_EXT3_EEENS1_16TensorSizeStrideIS8_Lj4EEEiS8_.kd
    .uniform_work_group_size: 1
    .uses_dynamic_stack: false
    .vgpr_count:     10
    .vgpr_spill_count: 0
    .wavefront_size: 32
    .workgroup_processor_mode: 1
  - .args:
      - .address_space:  global
        .offset:         0
        .size:           8
        .value_kind:     global_buffer
      - .offset:         8
        .size:           3392
        .value_kind:     by_value
      - .offset:         3400
        .size:           32
        .value_kind:     by_value
      - .offset:         3432
        .size:           4
        .value_kind:     by_value
      - .offset:         3436
        .size:           4
        .value_kind:     by_value
      - .offset:         3440
        .size:           4
        .value_kind:     hidden_block_count_x
      - .offset:         3444
        .size:           4
        .value_kind:     hidden_block_count_y
      - .offset:         3448
        .size:           4
        .value_kind:     hidden_block_count_z
      - .offset:         3452
        .size:           2
        .value_kind:     hidden_group_size_x
      - .offset:         3454
        .size:           2
        .value_kind:     hidden_group_size_y
      - .offset:         3456
        .size:           2
        .value_kind:     hidden_group_size_z
      - .offset:         3458
        .size:           2
        .value_kind:     hidden_remainder_x
      - .offset:         3460
        .size:           2
        .value_kind:     hidden_remainder_y
      - .offset:         3462
        .size:           2
        .value_kind:     hidden_remainder_z
      - .offset:         3480
        .size:           8
        .value_kind:     hidden_global_offset_x
      - .offset:         3488
        .size:           8
        .value_kind:     hidden_global_offset_y
      - .offset:         3496
        .size:           8
        .value_kind:     hidden_global_offset_z
      - .offset:         3504
        .size:           2
        .value_kind:     hidden_grid_dims
    .group_segment_fixed_size: 0
    .kernarg_segment_align: 8
    .kernarg_segment_size: 3696
    .language:       OpenCL C
    .language_version:
      - 2
      - 0
    .max_flat_workgroup_size: 1024
    .name:           _ZN2at6native12_GLOBAL__N_135CatArrayBatchedCopy_alignedK_contigINS1_10OpaqueTypeILj2EEEjLi1ELi64ELi64ELi16EEEvPT_NS1_25CatArrInputTensorMetadataIS5_T0_XT2_EXT3_EEENS1_16TensorSizeStrideIS8_Lj4EEEiS8_
    .private_segment_fixed_size: 0
    .sgpr_count:     16
    .sgpr_spill_count: 0
    .symbol:         _ZN2at6native12_GLOBAL__N_135CatArrayBatchedCopy_alignedK_contigINS1_10OpaqueTypeILj2EEEjLi1ELi64ELi64ELi16EEEvPT_NS1_25CatArrInputTensorMetadataIS5_T0_XT2_EXT3_EEENS1_16TensorSizeStrideIS8_Lj4EEEiS8_.kd
    .uniform_work_group_size: 1
    .uses_dynamic_stack: false
    .vgpr_count:     31
    .vgpr_spill_count: 0
    .wavefront_size: 32
    .workgroup_processor_mode: 1
  - .args:
      - .address_space:  global
        .offset:         0
        .size:           8
        .value_kind:     global_buffer
      - .offset:         8
        .size:           3392
        .value_kind:     by_value
      - .offset:         3400
        .size:           32
        .value_kind:     by_value
      - .offset:         3432
        .size:           4
        .value_kind:     by_value
      - .offset:         3436
        .size:           4
        .value_kind:     by_value
      - .offset:         3440
        .size:           4
        .value_kind:     hidden_block_count_x
      - .offset:         3444
        .size:           4
        .value_kind:     hidden_block_count_y
      - .offset:         3448
        .size:           4
        .value_kind:     hidden_block_count_z
      - .offset:         3452
        .size:           2
        .value_kind:     hidden_group_size_x
      - .offset:         3454
        .size:           2
        .value_kind:     hidden_group_size_y
      - .offset:         3456
        .size:           2
        .value_kind:     hidden_group_size_z
      - .offset:         3458
        .size:           2
        .value_kind:     hidden_remainder_x
      - .offset:         3460
        .size:           2
        .value_kind:     hidden_remainder_y
      - .offset:         3462
        .size:           2
        .value_kind:     hidden_remainder_z
      - .offset:         3480
        .size:           8
        .value_kind:     hidden_global_offset_x
      - .offset:         3488
        .size:           8
        .value_kind:     hidden_global_offset_y
      - .offset:         3496
        .size:           8
        .value_kind:     hidden_global_offset_z
      - .offset:         3504
        .size:           2
        .value_kind:     hidden_grid_dims
    .group_segment_fixed_size: 0
    .kernarg_segment_align: 8
    .kernarg_segment_size: 3696
    .language:       OpenCL C
    .language_version:
      - 2
      - 0
    .max_flat_workgroup_size: 1024
    .name:           _ZN2at6native12_GLOBAL__N_135CatArrayBatchedCopy_alignedK_contigINS1_10OpaqueTypeILj2EEEjLi1ELi64ELi64ELi8EEEvPT_NS1_25CatArrInputTensorMetadataIS5_T0_XT2_EXT3_EEENS1_16TensorSizeStrideIS8_Lj4EEEiS8_
    .private_segment_fixed_size: 0
    .sgpr_count:     16
    .sgpr_spill_count: 0
    .symbol:         _ZN2at6native12_GLOBAL__N_135CatArrayBatchedCopy_alignedK_contigINS1_10OpaqueTypeILj2EEEjLi1ELi64ELi64ELi8EEEvPT_NS1_25CatArrInputTensorMetadataIS5_T0_XT2_EXT3_EEENS1_16TensorSizeStrideIS8_Lj4EEEiS8_.kd
    .uniform_work_group_size: 1
    .uses_dynamic_stack: false
    .vgpr_count:     17
    .vgpr_spill_count: 0
    .wavefront_size: 32
    .workgroup_processor_mode: 1
  - .args:
      - .address_space:  global
        .offset:         0
        .size:           8
        .value_kind:     global_buffer
      - .offset:         8
        .size:           3392
        .value_kind:     by_value
      - .offset:         3400
        .size:           32
        .value_kind:     by_value
      - .offset:         3432
        .size:           4
        .value_kind:     by_value
      - .offset:         3436
        .size:           4
        .value_kind:     by_value
      - .offset:         3440
        .size:           4
        .value_kind:     hidden_block_count_x
      - .offset:         3444
        .size:           4
        .value_kind:     hidden_block_count_y
      - .offset:         3448
        .size:           4
        .value_kind:     hidden_block_count_z
      - .offset:         3452
        .size:           2
        .value_kind:     hidden_group_size_x
      - .offset:         3454
        .size:           2
        .value_kind:     hidden_group_size_y
      - .offset:         3456
        .size:           2
        .value_kind:     hidden_group_size_z
      - .offset:         3458
        .size:           2
        .value_kind:     hidden_remainder_x
      - .offset:         3460
        .size:           2
        .value_kind:     hidden_remainder_y
      - .offset:         3462
        .size:           2
        .value_kind:     hidden_remainder_z
      - .offset:         3480
        .size:           8
        .value_kind:     hidden_global_offset_x
      - .offset:         3488
        .size:           8
        .value_kind:     hidden_global_offset_y
      - .offset:         3496
        .size:           8
        .value_kind:     hidden_global_offset_z
      - .offset:         3504
        .size:           2
        .value_kind:     hidden_grid_dims
    .group_segment_fixed_size: 0
    .kernarg_segment_align: 8
    .kernarg_segment_size: 3696
    .language:       OpenCL C
    .language_version:
      - 2
      - 0
    .max_flat_workgroup_size: 1024
    .name:           _ZN2at6native12_GLOBAL__N_126CatArrayBatchedCopy_contigINS1_10OpaqueTypeILj2EEEjLi1ELi64ELi64EEEvPT_NS1_25CatArrInputTensorMetadataIS5_T0_XT2_EXT3_EEENS1_16TensorSizeStrideIS8_Lj4EEEiS8_
    .private_segment_fixed_size: 0
    .sgpr_count:     17
    .sgpr_spill_count: 0
    .symbol:         _ZN2at6native12_GLOBAL__N_126CatArrayBatchedCopy_contigINS1_10OpaqueTypeILj2EEEjLi1ELi64ELi64EEEvPT_NS1_25CatArrInputTensorMetadataIS5_T0_XT2_EXT3_EEENS1_16TensorSizeStrideIS8_Lj4EEEiS8_.kd
    .uniform_work_group_size: 1
    .uses_dynamic_stack: false
    .vgpr_count:     6
    .vgpr_spill_count: 0
    .wavefront_size: 32
    .workgroup_processor_mode: 1
  - .args:
      - .address_space:  global
        .offset:         0
        .size:           8
        .value_kind:     global_buffer
      - .offset:         8
        .size:           3392
        .value_kind:     by_value
      - .offset:         3400
        .size:           32
        .value_kind:     by_value
      - .offset:         3432
        .size:           4
        .value_kind:     by_value
      - .offset:         3436
        .size:           4
        .value_kind:     by_value
      - .offset:         3440
        .size:           4
        .value_kind:     hidden_block_count_x
      - .offset:         3444
        .size:           4
        .value_kind:     hidden_block_count_y
      - .offset:         3448
        .size:           4
        .value_kind:     hidden_block_count_z
      - .offset:         3452
        .size:           2
        .value_kind:     hidden_group_size_x
      - .offset:         3454
        .size:           2
        .value_kind:     hidden_group_size_y
      - .offset:         3456
        .size:           2
        .value_kind:     hidden_group_size_z
      - .offset:         3458
        .size:           2
        .value_kind:     hidden_remainder_x
      - .offset:         3460
        .size:           2
        .value_kind:     hidden_remainder_y
      - .offset:         3462
        .size:           2
        .value_kind:     hidden_remainder_z
      - .offset:         3480
        .size:           8
        .value_kind:     hidden_global_offset_x
      - .offset:         3488
        .size:           8
        .value_kind:     hidden_global_offset_y
      - .offset:         3496
        .size:           8
        .value_kind:     hidden_global_offset_z
      - .offset:         3504
        .size:           2
        .value_kind:     hidden_grid_dims
    .group_segment_fixed_size: 0
    .kernarg_segment_align: 8
    .kernarg_segment_size: 3696
    .language:       OpenCL C
    .language_version:
      - 2
      - 0
    .max_flat_workgroup_size: 1024
    .name:           _ZN2at6native12_GLOBAL__N_119CatArrayBatchedCopyINS1_10OpaqueTypeILj2EEEjLi1ELi64ELi64EEEvPT_NS1_25CatArrInputTensorMetadataIS5_T0_XT2_EXT3_EEENS1_16TensorSizeStrideIS8_Lj4EEEiS8_
    .private_segment_fixed_size: 0
    .sgpr_count:     20
    .sgpr_spill_count: 0
    .symbol:         _ZN2at6native12_GLOBAL__N_119CatArrayBatchedCopyINS1_10OpaqueTypeILj2EEEjLi1ELi64ELi64EEEvPT_NS1_25CatArrInputTensorMetadataIS5_T0_XT2_EXT3_EEENS1_16TensorSizeStrideIS8_Lj4EEEiS8_.kd
    .uniform_work_group_size: 1
    .uses_dynamic_stack: false
    .vgpr_count:     7
    .vgpr_spill_count: 0
    .wavefront_size: 32
    .workgroup_processor_mode: 1
  - .args:
      - .address_space:  global
        .offset:         0
        .size:           8
        .value_kind:     global_buffer
      - .offset:         8
        .size:           3392
        .value_kind:     by_value
      - .offset:         3400
        .size:           32
        .value_kind:     by_value
      - .offset:         3432
        .size:           4
        .value_kind:     by_value
      - .offset:         3436
        .size:           4
        .value_kind:     by_value
      - .offset:         3440
        .size:           4
        .value_kind:     hidden_block_count_x
      - .offset:         3444
        .size:           4
        .value_kind:     hidden_block_count_y
      - .offset:         3448
        .size:           4
        .value_kind:     hidden_block_count_z
      - .offset:         3452
        .size:           2
        .value_kind:     hidden_group_size_x
      - .offset:         3454
        .size:           2
        .value_kind:     hidden_group_size_y
      - .offset:         3456
        .size:           2
        .value_kind:     hidden_group_size_z
      - .offset:         3458
        .size:           2
        .value_kind:     hidden_remainder_x
      - .offset:         3460
        .size:           2
        .value_kind:     hidden_remainder_y
      - .offset:         3462
        .size:           2
        .value_kind:     hidden_remainder_z
      - .offset:         3480
        .size:           8
        .value_kind:     hidden_global_offset_x
      - .offset:         3488
        .size:           8
        .value_kind:     hidden_global_offset_y
      - .offset:         3496
        .size:           8
        .value_kind:     hidden_global_offset_z
      - .offset:         3504
        .size:           2
        .value_kind:     hidden_grid_dims
    .group_segment_fixed_size: 0
    .kernarg_segment_align: 8
    .kernarg_segment_size: 3696
    .language:       OpenCL C
    .language_version:
      - 2
      - 0
    .max_flat_workgroup_size: 1024
    .name:           _ZN2at6native12_GLOBAL__N_130CatArrayBatchedCopy_vectorizedINS1_10OpaqueTypeILj2EEEjLi2ELi64ELi64ELi16ELi8EEEvPcNS1_25CatArrInputTensorMetadataIT_T0_XT2_EXT3_EEENS1_16TensorSizeStrideIS8_Lj4EEEiS8_
    .private_segment_fixed_size: 0
    .sgpr_count:     20
    .sgpr_spill_count: 0
    .symbol:         _ZN2at6native12_GLOBAL__N_130CatArrayBatchedCopy_vectorizedINS1_10OpaqueTypeILj2EEEjLi2ELi64ELi64ELi16ELi8EEEvPcNS1_25CatArrInputTensorMetadataIT_T0_XT2_EXT3_EEENS1_16TensorSizeStrideIS8_Lj4EEEiS8_.kd
    .uniform_work_group_size: 1
    .uses_dynamic_stack: false
    .vgpr_count:     12
    .vgpr_spill_count: 0
    .wavefront_size: 32
    .workgroup_processor_mode: 1
  - .args:
      - .address_space:  global
        .offset:         0
        .size:           8
        .value_kind:     global_buffer
      - .offset:         8
        .size:           3392
        .value_kind:     by_value
      - .offset:         3400
        .size:           32
        .value_kind:     by_value
      - .offset:         3432
        .size:           4
        .value_kind:     by_value
      - .offset:         3436
        .size:           4
        .value_kind:     by_value
      - .offset:         3440
        .size:           4
        .value_kind:     hidden_block_count_x
      - .offset:         3444
        .size:           4
        .value_kind:     hidden_block_count_y
      - .offset:         3448
        .size:           4
        .value_kind:     hidden_block_count_z
      - .offset:         3452
        .size:           2
        .value_kind:     hidden_group_size_x
      - .offset:         3454
        .size:           2
        .value_kind:     hidden_group_size_y
      - .offset:         3456
        .size:           2
        .value_kind:     hidden_group_size_z
      - .offset:         3458
        .size:           2
        .value_kind:     hidden_remainder_x
      - .offset:         3460
        .size:           2
        .value_kind:     hidden_remainder_y
      - .offset:         3462
        .size:           2
        .value_kind:     hidden_remainder_z
      - .offset:         3480
        .size:           8
        .value_kind:     hidden_global_offset_x
      - .offset:         3488
        .size:           8
        .value_kind:     hidden_global_offset_y
      - .offset:         3496
        .size:           8
        .value_kind:     hidden_global_offset_z
      - .offset:         3504
        .size:           2
        .value_kind:     hidden_grid_dims
    .group_segment_fixed_size: 0
    .kernarg_segment_align: 8
    .kernarg_segment_size: 3696
    .language:       OpenCL C
    .language_version:
      - 2
      - 0
    .max_flat_workgroup_size: 1024
    .name:           _ZN2at6native12_GLOBAL__N_135CatArrayBatchedCopy_alignedK_contigINS1_10OpaqueTypeILj2EEEjLi2ELi64ELi64ELi16EEEvPT_NS1_25CatArrInputTensorMetadataIS5_T0_XT2_EXT3_EEENS1_16TensorSizeStrideIS8_Lj4EEEiS8_
    .private_segment_fixed_size: 0
    .sgpr_count:     25
    .sgpr_spill_count: 0
    .symbol:         _ZN2at6native12_GLOBAL__N_135CatArrayBatchedCopy_alignedK_contigINS1_10OpaqueTypeILj2EEEjLi2ELi64ELi64ELi16EEEvPT_NS1_25CatArrInputTensorMetadataIS5_T0_XT2_EXT3_EEENS1_16TensorSizeStrideIS8_Lj4EEEiS8_.kd
    .uniform_work_group_size: 1
    .uses_dynamic_stack: false
    .vgpr_count:     47
    .vgpr_spill_count: 0
    .wavefront_size: 32
    .workgroup_processor_mode: 1
  - .args:
      - .address_space:  global
        .offset:         0
        .size:           8
        .value_kind:     global_buffer
      - .offset:         8
        .size:           3392
        .value_kind:     by_value
      - .offset:         3400
        .size:           32
        .value_kind:     by_value
      - .offset:         3432
        .size:           4
        .value_kind:     by_value
      - .offset:         3436
        .size:           4
        .value_kind:     by_value
      - .offset:         3440
        .size:           4
        .value_kind:     hidden_block_count_x
      - .offset:         3444
        .size:           4
        .value_kind:     hidden_block_count_y
      - .offset:         3448
        .size:           4
        .value_kind:     hidden_block_count_z
      - .offset:         3452
        .size:           2
        .value_kind:     hidden_group_size_x
      - .offset:         3454
        .size:           2
        .value_kind:     hidden_group_size_y
      - .offset:         3456
        .size:           2
        .value_kind:     hidden_group_size_z
      - .offset:         3458
        .size:           2
        .value_kind:     hidden_remainder_x
      - .offset:         3460
        .size:           2
        .value_kind:     hidden_remainder_y
      - .offset:         3462
        .size:           2
        .value_kind:     hidden_remainder_z
      - .offset:         3480
        .size:           8
        .value_kind:     hidden_global_offset_x
      - .offset:         3488
        .size:           8
        .value_kind:     hidden_global_offset_y
      - .offset:         3496
        .size:           8
        .value_kind:     hidden_global_offset_z
      - .offset:         3504
        .size:           2
        .value_kind:     hidden_grid_dims
    .group_segment_fixed_size: 0
    .kernarg_segment_align: 8
    .kernarg_segment_size: 3696
    .language:       OpenCL C
    .language_version:
      - 2
      - 0
    .max_flat_workgroup_size: 1024
    .name:           _ZN2at6native12_GLOBAL__N_135CatArrayBatchedCopy_alignedK_contigINS1_10OpaqueTypeILj2EEEjLi2ELi64ELi64ELi8EEEvPT_NS1_25CatArrInputTensorMetadataIS5_T0_XT2_EXT3_EEENS1_16TensorSizeStrideIS8_Lj4EEEiS8_
    .private_segment_fixed_size: 0
    .sgpr_count:     22
    .sgpr_spill_count: 0
    .symbol:         _ZN2at6native12_GLOBAL__N_135CatArrayBatchedCopy_alignedK_contigINS1_10OpaqueTypeILj2EEEjLi2ELi64ELi64ELi8EEEvPT_NS1_25CatArrInputTensorMetadataIS5_T0_XT2_EXT3_EEENS1_16TensorSizeStrideIS8_Lj4EEEiS8_.kd
    .uniform_work_group_size: 1
    .uses_dynamic_stack: false
    .vgpr_count:     31
    .vgpr_spill_count: 0
    .wavefront_size: 32
    .workgroup_processor_mode: 1
  - .args:
      - .address_space:  global
        .offset:         0
        .size:           8
        .value_kind:     global_buffer
      - .offset:         8
        .size:           3392
        .value_kind:     by_value
      - .offset:         3400
        .size:           32
        .value_kind:     by_value
      - .offset:         3432
        .size:           4
        .value_kind:     by_value
      - .offset:         3436
        .size:           4
        .value_kind:     by_value
      - .offset:         3440
        .size:           4
        .value_kind:     hidden_block_count_x
      - .offset:         3444
        .size:           4
        .value_kind:     hidden_block_count_y
      - .offset:         3448
        .size:           4
        .value_kind:     hidden_block_count_z
      - .offset:         3452
        .size:           2
        .value_kind:     hidden_group_size_x
      - .offset:         3454
        .size:           2
        .value_kind:     hidden_group_size_y
      - .offset:         3456
        .size:           2
        .value_kind:     hidden_group_size_z
      - .offset:         3458
        .size:           2
        .value_kind:     hidden_remainder_x
      - .offset:         3460
        .size:           2
        .value_kind:     hidden_remainder_y
      - .offset:         3462
        .size:           2
        .value_kind:     hidden_remainder_z
      - .offset:         3480
        .size:           8
        .value_kind:     hidden_global_offset_x
      - .offset:         3488
        .size:           8
        .value_kind:     hidden_global_offset_y
      - .offset:         3496
        .size:           8
        .value_kind:     hidden_global_offset_z
      - .offset:         3504
        .size:           2
        .value_kind:     hidden_grid_dims
    .group_segment_fixed_size: 0
    .kernarg_segment_align: 8
    .kernarg_segment_size: 3696
    .language:       OpenCL C
    .language_version:
      - 2
      - 0
    .max_flat_workgroup_size: 1024
    .name:           _ZN2at6native12_GLOBAL__N_126CatArrayBatchedCopy_contigINS1_10OpaqueTypeILj2EEEjLi2ELi64ELi64EEEvPT_NS1_25CatArrInputTensorMetadataIS5_T0_XT2_EXT3_EEENS1_16TensorSizeStrideIS8_Lj4EEEiS8_
    .private_segment_fixed_size: 0
    .sgpr_count:     19
    .sgpr_spill_count: 0
    .symbol:         _ZN2at6native12_GLOBAL__N_126CatArrayBatchedCopy_contigINS1_10OpaqueTypeILj2EEEjLi2ELi64ELi64EEEvPT_NS1_25CatArrInputTensorMetadataIS5_T0_XT2_EXT3_EEENS1_16TensorSizeStrideIS8_Lj4EEEiS8_.kd
    .uniform_work_group_size: 1
    .uses_dynamic_stack: false
    .vgpr_count:     9
    .vgpr_spill_count: 0
    .wavefront_size: 32
    .workgroup_processor_mode: 1
  - .args:
      - .address_space:  global
        .offset:         0
        .size:           8
        .value_kind:     global_buffer
      - .offset:         8
        .size:           3392
        .value_kind:     by_value
      - .offset:         3400
        .size:           32
        .value_kind:     by_value
      - .offset:         3432
        .size:           4
        .value_kind:     by_value
      - .offset:         3436
        .size:           4
        .value_kind:     by_value
      - .offset:         3440
        .size:           4
        .value_kind:     hidden_block_count_x
      - .offset:         3444
        .size:           4
        .value_kind:     hidden_block_count_y
      - .offset:         3448
        .size:           4
        .value_kind:     hidden_block_count_z
      - .offset:         3452
        .size:           2
        .value_kind:     hidden_group_size_x
      - .offset:         3454
        .size:           2
        .value_kind:     hidden_group_size_y
      - .offset:         3456
        .size:           2
        .value_kind:     hidden_group_size_z
      - .offset:         3458
        .size:           2
        .value_kind:     hidden_remainder_x
      - .offset:         3460
        .size:           2
        .value_kind:     hidden_remainder_y
      - .offset:         3462
        .size:           2
        .value_kind:     hidden_remainder_z
      - .offset:         3480
        .size:           8
        .value_kind:     hidden_global_offset_x
      - .offset:         3488
        .size:           8
        .value_kind:     hidden_global_offset_y
      - .offset:         3496
        .size:           8
        .value_kind:     hidden_global_offset_z
      - .offset:         3504
        .size:           2
        .value_kind:     hidden_grid_dims
    .group_segment_fixed_size: 0
    .kernarg_segment_align: 8
    .kernarg_segment_size: 3696
    .language:       OpenCL C
    .language_version:
      - 2
      - 0
    .max_flat_workgroup_size: 1024
    .name:           _ZN2at6native12_GLOBAL__N_119CatArrayBatchedCopyINS1_10OpaqueTypeILj2EEEjLi2ELi64ELi64EEEvPT_NS1_25CatArrInputTensorMetadataIS5_T0_XT2_EXT3_EEENS1_16TensorSizeStrideIS8_Lj4EEEiS8_
    .private_segment_fixed_size: 0
    .sgpr_count:     25
    .sgpr_spill_count: 0
    .symbol:         _ZN2at6native12_GLOBAL__N_119CatArrayBatchedCopyINS1_10OpaqueTypeILj2EEEjLi2ELi64ELi64EEEvPT_NS1_25CatArrInputTensorMetadataIS5_T0_XT2_EXT3_EEENS1_16TensorSizeStrideIS8_Lj4EEEiS8_.kd
    .uniform_work_group_size: 1
    .uses_dynamic_stack: false
    .vgpr_count:     10
    .vgpr_spill_count: 0
    .wavefront_size: 32
    .workgroup_processor_mode: 1
  - .args:
      - .address_space:  global
        .offset:         0
        .size:           8
        .value_kind:     global_buffer
      - .offset:         8
        .size:           3392
        .value_kind:     by_value
      - .offset:         3400
        .size:           32
        .value_kind:     by_value
      - .offset:         3432
        .size:           4
        .value_kind:     by_value
      - .offset:         3436
        .size:           4
        .value_kind:     by_value
      - .offset:         3440
        .size:           4
        .value_kind:     hidden_block_count_x
      - .offset:         3444
        .size:           4
        .value_kind:     hidden_block_count_y
      - .offset:         3448
        .size:           4
        .value_kind:     hidden_block_count_z
      - .offset:         3452
        .size:           2
        .value_kind:     hidden_group_size_x
      - .offset:         3454
        .size:           2
        .value_kind:     hidden_group_size_y
      - .offset:         3456
        .size:           2
        .value_kind:     hidden_group_size_z
      - .offset:         3458
        .size:           2
        .value_kind:     hidden_remainder_x
      - .offset:         3460
        .size:           2
        .value_kind:     hidden_remainder_y
      - .offset:         3462
        .size:           2
        .value_kind:     hidden_remainder_z
      - .offset:         3480
        .size:           8
        .value_kind:     hidden_global_offset_x
      - .offset:         3488
        .size:           8
        .value_kind:     hidden_global_offset_y
      - .offset:         3496
        .size:           8
        .value_kind:     hidden_global_offset_z
      - .offset:         3504
        .size:           2
        .value_kind:     hidden_grid_dims
    .group_segment_fixed_size: 0
    .kernarg_segment_align: 8
    .kernarg_segment_size: 3696
    .language:       OpenCL C
    .language_version:
      - 2
      - 0
    .max_flat_workgroup_size: 1024
    .name:           _ZN2at6native12_GLOBAL__N_130CatArrayBatchedCopy_vectorizedINS1_10OpaqueTypeILj2EEEjLi3ELi64ELi64ELi16ELi8EEEvPcNS1_25CatArrInputTensorMetadataIT_T0_XT2_EXT3_EEENS1_16TensorSizeStrideIS8_Lj4EEEiS8_
    .private_segment_fixed_size: 0
    .sgpr_count:     26
    .sgpr_spill_count: 0
    .symbol:         _ZN2at6native12_GLOBAL__N_130CatArrayBatchedCopy_vectorizedINS1_10OpaqueTypeILj2EEEjLi3ELi64ELi64ELi16ELi8EEEvPcNS1_25CatArrInputTensorMetadataIT_T0_XT2_EXT3_EEENS1_16TensorSizeStrideIS8_Lj4EEEiS8_.kd
    .uniform_work_group_size: 1
    .uses_dynamic_stack: false
    .vgpr_count:     13
    .vgpr_spill_count: 0
    .wavefront_size: 32
    .workgroup_processor_mode: 1
  - .args:
      - .address_space:  global
        .offset:         0
        .size:           8
        .value_kind:     global_buffer
      - .offset:         8
        .size:           3392
        .value_kind:     by_value
      - .offset:         3400
        .size:           32
        .value_kind:     by_value
      - .offset:         3432
        .size:           4
        .value_kind:     by_value
      - .offset:         3436
        .size:           4
        .value_kind:     by_value
      - .offset:         3440
        .size:           4
        .value_kind:     hidden_block_count_x
      - .offset:         3444
        .size:           4
        .value_kind:     hidden_block_count_y
      - .offset:         3448
        .size:           4
        .value_kind:     hidden_block_count_z
      - .offset:         3452
        .size:           2
        .value_kind:     hidden_group_size_x
      - .offset:         3454
        .size:           2
        .value_kind:     hidden_group_size_y
      - .offset:         3456
        .size:           2
        .value_kind:     hidden_group_size_z
      - .offset:         3458
        .size:           2
        .value_kind:     hidden_remainder_x
      - .offset:         3460
        .size:           2
        .value_kind:     hidden_remainder_y
      - .offset:         3462
        .size:           2
        .value_kind:     hidden_remainder_z
      - .offset:         3480
        .size:           8
        .value_kind:     hidden_global_offset_x
      - .offset:         3488
        .size:           8
        .value_kind:     hidden_global_offset_y
      - .offset:         3496
        .size:           8
        .value_kind:     hidden_global_offset_z
      - .offset:         3504
        .size:           2
        .value_kind:     hidden_grid_dims
    .group_segment_fixed_size: 0
    .kernarg_segment_align: 8
    .kernarg_segment_size: 3696
    .language:       OpenCL C
    .language_version:
      - 2
      - 0
    .max_flat_workgroup_size: 1024
    .name:           _ZN2at6native12_GLOBAL__N_135CatArrayBatchedCopy_alignedK_contigINS1_10OpaqueTypeILj2EEEjLi3ELi64ELi64ELi16EEEvPT_NS1_25CatArrInputTensorMetadataIS5_T0_XT2_EXT3_EEENS1_16TensorSizeStrideIS8_Lj4EEEiS8_
    .private_segment_fixed_size: 0
    .sgpr_count:     29
    .sgpr_spill_count: 0
    .symbol:         _ZN2at6native12_GLOBAL__N_135CatArrayBatchedCopy_alignedK_contigINS1_10OpaqueTypeILj2EEEjLi3ELi64ELi64ELi16EEEvPT_NS1_25CatArrInputTensorMetadataIS5_T0_XT2_EXT3_EEENS1_16TensorSizeStrideIS8_Lj4EEEiS8_.kd
    .uniform_work_group_size: 1
    .uses_dynamic_stack: false
    .vgpr_count:     52
    .vgpr_spill_count: 0
    .wavefront_size: 32
    .workgroup_processor_mode: 1
  - .args:
      - .address_space:  global
        .offset:         0
        .size:           8
        .value_kind:     global_buffer
      - .offset:         8
        .size:           3392
        .value_kind:     by_value
      - .offset:         3400
        .size:           32
        .value_kind:     by_value
      - .offset:         3432
        .size:           4
        .value_kind:     by_value
      - .offset:         3436
        .size:           4
        .value_kind:     by_value
      - .offset:         3440
        .size:           4
        .value_kind:     hidden_block_count_x
      - .offset:         3444
        .size:           4
        .value_kind:     hidden_block_count_y
      - .offset:         3448
        .size:           4
        .value_kind:     hidden_block_count_z
      - .offset:         3452
        .size:           2
        .value_kind:     hidden_group_size_x
      - .offset:         3454
        .size:           2
        .value_kind:     hidden_group_size_y
      - .offset:         3456
        .size:           2
        .value_kind:     hidden_group_size_z
      - .offset:         3458
        .size:           2
        .value_kind:     hidden_remainder_x
      - .offset:         3460
        .size:           2
        .value_kind:     hidden_remainder_y
      - .offset:         3462
        .size:           2
        .value_kind:     hidden_remainder_z
      - .offset:         3480
        .size:           8
        .value_kind:     hidden_global_offset_x
      - .offset:         3488
        .size:           8
        .value_kind:     hidden_global_offset_y
      - .offset:         3496
        .size:           8
        .value_kind:     hidden_global_offset_z
      - .offset:         3504
        .size:           2
        .value_kind:     hidden_grid_dims
    .group_segment_fixed_size: 0
    .kernarg_segment_align: 8
    .kernarg_segment_size: 3696
    .language:       OpenCL C
    .language_version:
      - 2
      - 0
    .max_flat_workgroup_size: 1024
    .name:           _ZN2at6native12_GLOBAL__N_135CatArrayBatchedCopy_alignedK_contigINS1_10OpaqueTypeILj2EEEjLi3ELi64ELi64ELi8EEEvPT_NS1_25CatArrInputTensorMetadataIS5_T0_XT2_EXT3_EEENS1_16TensorSizeStrideIS8_Lj4EEEiS8_
    .private_segment_fixed_size: 0
    .sgpr_count:     25
    .sgpr_spill_count: 0
    .symbol:         _ZN2at6native12_GLOBAL__N_135CatArrayBatchedCopy_alignedK_contigINS1_10OpaqueTypeILj2EEEjLi3ELi64ELi64ELi8EEEvPT_NS1_25CatArrInputTensorMetadataIS5_T0_XT2_EXT3_EEENS1_16TensorSizeStrideIS8_Lj4EEEiS8_.kd
    .uniform_work_group_size: 1
    .uses_dynamic_stack: false
    .vgpr_count:     34
    .vgpr_spill_count: 0
    .wavefront_size: 32
    .workgroup_processor_mode: 1
  - .args:
      - .address_space:  global
        .offset:         0
        .size:           8
        .value_kind:     global_buffer
      - .offset:         8
        .size:           3392
        .value_kind:     by_value
      - .offset:         3400
        .size:           32
        .value_kind:     by_value
      - .offset:         3432
        .size:           4
        .value_kind:     by_value
      - .offset:         3436
        .size:           4
        .value_kind:     by_value
      - .offset:         3440
        .size:           4
        .value_kind:     hidden_block_count_x
      - .offset:         3444
        .size:           4
        .value_kind:     hidden_block_count_y
      - .offset:         3448
        .size:           4
        .value_kind:     hidden_block_count_z
      - .offset:         3452
        .size:           2
        .value_kind:     hidden_group_size_x
      - .offset:         3454
        .size:           2
        .value_kind:     hidden_group_size_y
      - .offset:         3456
        .size:           2
        .value_kind:     hidden_group_size_z
      - .offset:         3458
        .size:           2
        .value_kind:     hidden_remainder_x
      - .offset:         3460
        .size:           2
        .value_kind:     hidden_remainder_y
      - .offset:         3462
        .size:           2
        .value_kind:     hidden_remainder_z
      - .offset:         3480
        .size:           8
        .value_kind:     hidden_global_offset_x
      - .offset:         3488
        .size:           8
        .value_kind:     hidden_global_offset_y
      - .offset:         3496
        .size:           8
        .value_kind:     hidden_global_offset_z
      - .offset:         3504
        .size:           2
        .value_kind:     hidden_grid_dims
    .group_segment_fixed_size: 0
    .kernarg_segment_align: 8
    .kernarg_segment_size: 3696
    .language:       OpenCL C
    .language_version:
      - 2
      - 0
    .max_flat_workgroup_size: 1024
    .name:           _ZN2at6native12_GLOBAL__N_126CatArrayBatchedCopy_contigINS1_10OpaqueTypeILj2EEEjLi3ELi64ELi64EEEvPT_NS1_25CatArrInputTensorMetadataIS5_T0_XT2_EXT3_EEENS1_16TensorSizeStrideIS8_Lj4EEEiS8_
    .private_segment_fixed_size: 0
    .sgpr_count:     24
    .sgpr_spill_count: 0
    .symbol:         _ZN2at6native12_GLOBAL__N_126CatArrayBatchedCopy_contigINS1_10OpaqueTypeILj2EEEjLi3ELi64ELi64EEEvPT_NS1_25CatArrInputTensorMetadataIS5_T0_XT2_EXT3_EEENS1_16TensorSizeStrideIS8_Lj4EEEiS8_.kd
    .uniform_work_group_size: 1
    .uses_dynamic_stack: false
    .vgpr_count:     11
    .vgpr_spill_count: 0
    .wavefront_size: 32
    .workgroup_processor_mode: 1
  - .args:
      - .address_space:  global
        .offset:         0
        .size:           8
        .value_kind:     global_buffer
      - .offset:         8
        .size:           3392
        .value_kind:     by_value
      - .offset:         3400
        .size:           32
        .value_kind:     by_value
      - .offset:         3432
        .size:           4
        .value_kind:     by_value
      - .offset:         3436
        .size:           4
        .value_kind:     by_value
      - .offset:         3440
        .size:           4
        .value_kind:     hidden_block_count_x
      - .offset:         3444
        .size:           4
        .value_kind:     hidden_block_count_y
      - .offset:         3448
        .size:           4
        .value_kind:     hidden_block_count_z
      - .offset:         3452
        .size:           2
        .value_kind:     hidden_group_size_x
      - .offset:         3454
        .size:           2
        .value_kind:     hidden_group_size_y
      - .offset:         3456
        .size:           2
        .value_kind:     hidden_group_size_z
      - .offset:         3458
        .size:           2
        .value_kind:     hidden_remainder_x
      - .offset:         3460
        .size:           2
        .value_kind:     hidden_remainder_y
      - .offset:         3462
        .size:           2
        .value_kind:     hidden_remainder_z
      - .offset:         3480
        .size:           8
        .value_kind:     hidden_global_offset_x
      - .offset:         3488
        .size:           8
        .value_kind:     hidden_global_offset_y
      - .offset:         3496
        .size:           8
        .value_kind:     hidden_global_offset_z
      - .offset:         3504
        .size:           2
        .value_kind:     hidden_grid_dims
    .group_segment_fixed_size: 0
    .kernarg_segment_align: 8
    .kernarg_segment_size: 3696
    .language:       OpenCL C
    .language_version:
      - 2
      - 0
    .max_flat_workgroup_size: 1024
    .name:           _ZN2at6native12_GLOBAL__N_119CatArrayBatchedCopyINS1_10OpaqueTypeILj2EEEjLi3ELi64ELi64EEEvPT_NS1_25CatArrInputTensorMetadataIS5_T0_XT2_EXT3_EEENS1_16TensorSizeStrideIS8_Lj4EEEiS8_
    .private_segment_fixed_size: 0
    .sgpr_count:     30
    .sgpr_spill_count: 0
    .symbol:         _ZN2at6native12_GLOBAL__N_119CatArrayBatchedCopyINS1_10OpaqueTypeILj2EEEjLi3ELi64ELi64EEEvPT_NS1_25CatArrInputTensorMetadataIS5_T0_XT2_EXT3_EEENS1_16TensorSizeStrideIS8_Lj4EEEiS8_.kd
    .uniform_work_group_size: 1
    .uses_dynamic_stack: false
    .vgpr_count:     12
    .vgpr_spill_count: 0
    .wavefront_size: 32
    .workgroup_processor_mode: 1
  - .args:
      - .address_space:  global
        .offset:         0
        .size:           8
        .value_kind:     global_buffer
      - .offset:         8
        .size:           3392
        .value_kind:     by_value
      - .offset:         3400
        .size:           32
        .value_kind:     by_value
      - .offset:         3432
        .size:           4
        .value_kind:     by_value
      - .offset:         3436
        .size:           4
        .value_kind:     by_value
      - .offset:         3440
        .size:           4
        .value_kind:     hidden_block_count_x
      - .offset:         3444
        .size:           4
        .value_kind:     hidden_block_count_y
      - .offset:         3448
        .size:           4
        .value_kind:     hidden_block_count_z
      - .offset:         3452
        .size:           2
        .value_kind:     hidden_group_size_x
      - .offset:         3454
        .size:           2
        .value_kind:     hidden_group_size_y
      - .offset:         3456
        .size:           2
        .value_kind:     hidden_group_size_z
      - .offset:         3458
        .size:           2
        .value_kind:     hidden_remainder_x
      - .offset:         3460
        .size:           2
        .value_kind:     hidden_remainder_y
      - .offset:         3462
        .size:           2
        .value_kind:     hidden_remainder_z
      - .offset:         3480
        .size:           8
        .value_kind:     hidden_global_offset_x
      - .offset:         3488
        .size:           8
        .value_kind:     hidden_global_offset_y
      - .offset:         3496
        .size:           8
        .value_kind:     hidden_global_offset_z
      - .offset:         3504
        .size:           2
        .value_kind:     hidden_grid_dims
    .group_segment_fixed_size: 0
    .kernarg_segment_align: 8
    .kernarg_segment_size: 3696
    .language:       OpenCL C
    .language_version:
      - 2
      - 0
    .max_flat_workgroup_size: 1024
    .name:           _ZN2at6native12_GLOBAL__N_130CatArrayBatchedCopy_vectorizedINS1_10OpaqueTypeILj2EEEjLi4ELi64ELi64ELi16ELi8EEEvPcNS1_25CatArrInputTensorMetadataIT_T0_XT2_EXT3_EEENS1_16TensorSizeStrideIS8_Lj4EEEiS8_
    .private_segment_fixed_size: 0
    .sgpr_count:     26
    .sgpr_spill_count: 0
    .symbol:         _ZN2at6native12_GLOBAL__N_130CatArrayBatchedCopy_vectorizedINS1_10OpaqueTypeILj2EEEjLi4ELi64ELi64ELi16ELi8EEEvPcNS1_25CatArrInputTensorMetadataIT_T0_XT2_EXT3_EEENS1_16TensorSizeStrideIS8_Lj4EEEiS8_.kd
    .uniform_work_group_size: 1
    .uses_dynamic_stack: false
    .vgpr_count:     16
    .vgpr_spill_count: 0
    .wavefront_size: 32
    .workgroup_processor_mode: 1
  - .args:
      - .address_space:  global
        .offset:         0
        .size:           8
        .value_kind:     global_buffer
      - .offset:         8
        .size:           3392
        .value_kind:     by_value
      - .offset:         3400
        .size:           32
        .value_kind:     by_value
      - .offset:         3432
        .size:           4
        .value_kind:     by_value
      - .offset:         3436
        .size:           4
        .value_kind:     by_value
      - .offset:         3440
        .size:           4
        .value_kind:     hidden_block_count_x
      - .offset:         3444
        .size:           4
        .value_kind:     hidden_block_count_y
      - .offset:         3448
        .size:           4
        .value_kind:     hidden_block_count_z
      - .offset:         3452
        .size:           2
        .value_kind:     hidden_group_size_x
      - .offset:         3454
        .size:           2
        .value_kind:     hidden_group_size_y
      - .offset:         3456
        .size:           2
        .value_kind:     hidden_group_size_z
      - .offset:         3458
        .size:           2
        .value_kind:     hidden_remainder_x
      - .offset:         3460
        .size:           2
        .value_kind:     hidden_remainder_y
      - .offset:         3462
        .size:           2
        .value_kind:     hidden_remainder_z
      - .offset:         3480
        .size:           8
        .value_kind:     hidden_global_offset_x
      - .offset:         3488
        .size:           8
        .value_kind:     hidden_global_offset_y
      - .offset:         3496
        .size:           8
        .value_kind:     hidden_global_offset_z
      - .offset:         3504
        .size:           2
        .value_kind:     hidden_grid_dims
    .group_segment_fixed_size: 0
    .kernarg_segment_align: 8
    .kernarg_segment_size: 3696
    .language:       OpenCL C
    .language_version:
      - 2
      - 0
    .max_flat_workgroup_size: 1024
    .name:           _ZN2at6native12_GLOBAL__N_135CatArrayBatchedCopy_alignedK_contigINS1_10OpaqueTypeILj2EEEjLi4ELi64ELi64ELi16EEEvPT_NS1_25CatArrInputTensorMetadataIS5_T0_XT2_EXT3_EEENS1_16TensorSizeStrideIS8_Lj4EEEiS8_
    .private_segment_fixed_size: 0
    .sgpr_count:     27
    .sgpr_spill_count: 0
    .symbol:         _ZN2at6native12_GLOBAL__N_135CatArrayBatchedCopy_alignedK_contigINS1_10OpaqueTypeILj2EEEjLi4ELi64ELi64ELi16EEEvPT_NS1_25CatArrInputTensorMetadataIS5_T0_XT2_EXT3_EEENS1_16TensorSizeStrideIS8_Lj4EEEiS8_.kd
    .uniform_work_group_size: 1
    .uses_dynamic_stack: false
    .vgpr_count:     36
    .vgpr_spill_count: 0
    .wavefront_size: 32
    .workgroup_processor_mode: 1
  - .args:
      - .address_space:  global
        .offset:         0
        .size:           8
        .value_kind:     global_buffer
      - .offset:         8
        .size:           3392
        .value_kind:     by_value
      - .offset:         3400
        .size:           32
        .value_kind:     by_value
      - .offset:         3432
        .size:           4
        .value_kind:     by_value
      - .offset:         3436
        .size:           4
        .value_kind:     by_value
      - .offset:         3440
        .size:           4
        .value_kind:     hidden_block_count_x
      - .offset:         3444
        .size:           4
        .value_kind:     hidden_block_count_y
      - .offset:         3448
        .size:           4
        .value_kind:     hidden_block_count_z
      - .offset:         3452
        .size:           2
        .value_kind:     hidden_group_size_x
      - .offset:         3454
        .size:           2
        .value_kind:     hidden_group_size_y
      - .offset:         3456
        .size:           2
        .value_kind:     hidden_group_size_z
      - .offset:         3458
        .size:           2
        .value_kind:     hidden_remainder_x
      - .offset:         3460
        .size:           2
        .value_kind:     hidden_remainder_y
      - .offset:         3462
        .size:           2
        .value_kind:     hidden_remainder_z
      - .offset:         3480
        .size:           8
        .value_kind:     hidden_global_offset_x
      - .offset:         3488
        .size:           8
        .value_kind:     hidden_global_offset_y
      - .offset:         3496
        .size:           8
        .value_kind:     hidden_global_offset_z
      - .offset:         3504
        .size:           2
        .value_kind:     hidden_grid_dims
    .group_segment_fixed_size: 0
    .kernarg_segment_align: 8
    .kernarg_segment_size: 3696
    .language:       OpenCL C
    .language_version:
      - 2
      - 0
    .max_flat_workgroup_size: 1024
    .name:           _ZN2at6native12_GLOBAL__N_135CatArrayBatchedCopy_alignedK_contigINS1_10OpaqueTypeILj2EEEjLi4ELi64ELi64ELi8EEEvPT_NS1_25CatArrInputTensorMetadataIS5_T0_XT2_EXT3_EEENS1_16TensorSizeStrideIS8_Lj4EEEiS8_
    .private_segment_fixed_size: 0
    .sgpr_count:     28
    .sgpr_spill_count: 0
    .symbol:         _ZN2at6native12_GLOBAL__N_135CatArrayBatchedCopy_alignedK_contigINS1_10OpaqueTypeILj2EEEjLi4ELi64ELi64ELi8EEEvPT_NS1_25CatArrInputTensorMetadataIS5_T0_XT2_EXT3_EEENS1_16TensorSizeStrideIS8_Lj4EEEiS8_.kd
    .uniform_work_group_size: 1
    .uses_dynamic_stack: false
    .vgpr_count:     38
    .vgpr_spill_count: 0
    .wavefront_size: 32
    .workgroup_processor_mode: 1
  - .args:
      - .address_space:  global
        .offset:         0
        .size:           8
        .value_kind:     global_buffer
      - .offset:         8
        .size:           3392
        .value_kind:     by_value
      - .offset:         3400
        .size:           32
        .value_kind:     by_value
      - .offset:         3432
        .size:           4
        .value_kind:     by_value
      - .offset:         3436
        .size:           4
        .value_kind:     by_value
      - .offset:         3440
        .size:           4
        .value_kind:     hidden_block_count_x
      - .offset:         3444
        .size:           4
        .value_kind:     hidden_block_count_y
      - .offset:         3448
        .size:           4
        .value_kind:     hidden_block_count_z
      - .offset:         3452
        .size:           2
        .value_kind:     hidden_group_size_x
      - .offset:         3454
        .size:           2
        .value_kind:     hidden_group_size_y
      - .offset:         3456
        .size:           2
        .value_kind:     hidden_group_size_z
      - .offset:         3458
        .size:           2
        .value_kind:     hidden_remainder_x
      - .offset:         3460
        .size:           2
        .value_kind:     hidden_remainder_y
      - .offset:         3462
        .size:           2
        .value_kind:     hidden_remainder_z
      - .offset:         3480
        .size:           8
        .value_kind:     hidden_global_offset_x
      - .offset:         3488
        .size:           8
        .value_kind:     hidden_global_offset_y
      - .offset:         3496
        .size:           8
        .value_kind:     hidden_global_offset_z
      - .offset:         3504
        .size:           2
        .value_kind:     hidden_grid_dims
    .group_segment_fixed_size: 0
    .kernarg_segment_align: 8
    .kernarg_segment_size: 3696
    .language:       OpenCL C
    .language_version:
      - 2
      - 0
    .max_flat_workgroup_size: 1024
    .name:           _ZN2at6native12_GLOBAL__N_126CatArrayBatchedCopy_contigINS1_10OpaqueTypeILj2EEEjLi4ELi64ELi64EEEvPT_NS1_25CatArrInputTensorMetadataIS5_T0_XT2_EXT3_EEENS1_16TensorSizeStrideIS8_Lj4EEEiS8_
    .private_segment_fixed_size: 0
    .sgpr_count:     26
    .sgpr_spill_count: 0
    .symbol:         _ZN2at6native12_GLOBAL__N_126CatArrayBatchedCopy_contigINS1_10OpaqueTypeILj2EEEjLi4ELi64ELi64EEEvPT_NS1_25CatArrInputTensorMetadataIS5_T0_XT2_EXT3_EEENS1_16TensorSizeStrideIS8_Lj4EEEiS8_.kd
    .uniform_work_group_size: 1
    .uses_dynamic_stack: false
    .vgpr_count:     13
    .vgpr_spill_count: 0
    .wavefront_size: 32
    .workgroup_processor_mode: 1
  - .args:
      - .address_space:  global
        .offset:         0
        .size:           8
        .value_kind:     global_buffer
      - .offset:         8
        .size:           3392
        .value_kind:     by_value
      - .offset:         3400
        .size:           32
        .value_kind:     by_value
      - .offset:         3432
        .size:           4
        .value_kind:     by_value
      - .offset:         3436
        .size:           4
        .value_kind:     by_value
      - .offset:         3440
        .size:           4
        .value_kind:     hidden_block_count_x
      - .offset:         3444
        .size:           4
        .value_kind:     hidden_block_count_y
      - .offset:         3448
        .size:           4
        .value_kind:     hidden_block_count_z
      - .offset:         3452
        .size:           2
        .value_kind:     hidden_group_size_x
      - .offset:         3454
        .size:           2
        .value_kind:     hidden_group_size_y
      - .offset:         3456
        .size:           2
        .value_kind:     hidden_group_size_z
      - .offset:         3458
        .size:           2
        .value_kind:     hidden_remainder_x
      - .offset:         3460
        .size:           2
        .value_kind:     hidden_remainder_y
      - .offset:         3462
        .size:           2
        .value_kind:     hidden_remainder_z
      - .offset:         3480
        .size:           8
        .value_kind:     hidden_global_offset_x
      - .offset:         3488
        .size:           8
        .value_kind:     hidden_global_offset_y
      - .offset:         3496
        .size:           8
        .value_kind:     hidden_global_offset_z
      - .offset:         3504
        .size:           2
        .value_kind:     hidden_grid_dims
    .group_segment_fixed_size: 0
    .kernarg_segment_align: 8
    .kernarg_segment_size: 3696
    .language:       OpenCL C
    .language_version:
      - 2
      - 0
    .max_flat_workgroup_size: 1024
    .name:           _ZN2at6native12_GLOBAL__N_119CatArrayBatchedCopyINS1_10OpaqueTypeILj2EEEjLi4ELi64ELi64EEEvPT_NS1_25CatArrInputTensorMetadataIS5_T0_XT2_EXT3_EEENS1_16TensorSizeStrideIS8_Lj4EEEiS8_
    .private_segment_fixed_size: 0
    .sgpr_count:     34
    .sgpr_spill_count: 0
    .symbol:         _ZN2at6native12_GLOBAL__N_119CatArrayBatchedCopyINS1_10OpaqueTypeILj2EEEjLi4ELi64ELi64EEEvPT_NS1_25CatArrInputTensorMetadataIS5_T0_XT2_EXT3_EEENS1_16TensorSizeStrideIS8_Lj4EEEiS8_.kd
    .uniform_work_group_size: 1
    .uses_dynamic_stack: false
    .vgpr_count:     15
    .vgpr_spill_count: 0
    .wavefront_size: 32
    .workgroup_processor_mode: 1
  - .args:
      - .address_space:  global
        .offset:         0
        .size:           8
        .value_kind:     global_buffer
      - .offset:         8
        .size:           3392
        .value_kind:     by_value
      - .offset:         3400
        .size:           32
        .value_kind:     by_value
      - .offset:         3432
        .size:           4
        .value_kind:     by_value
      - .offset:         3436
        .size:           4
        .value_kind:     by_value
      - .offset:         3440
        .size:           4
        .value_kind:     hidden_block_count_x
      - .offset:         3444
        .size:           4
        .value_kind:     hidden_block_count_y
      - .offset:         3448
        .size:           4
        .value_kind:     hidden_block_count_z
      - .offset:         3452
        .size:           2
        .value_kind:     hidden_group_size_x
      - .offset:         3454
        .size:           2
        .value_kind:     hidden_group_size_y
      - .offset:         3456
        .size:           2
        .value_kind:     hidden_group_size_z
      - .offset:         3458
        .size:           2
        .value_kind:     hidden_remainder_x
      - .offset:         3460
        .size:           2
        .value_kind:     hidden_remainder_y
      - .offset:         3462
        .size:           2
        .value_kind:     hidden_remainder_z
      - .offset:         3480
        .size:           8
        .value_kind:     hidden_global_offset_x
      - .offset:         3488
        .size:           8
        .value_kind:     hidden_global_offset_y
      - .offset:         3496
        .size:           8
        .value_kind:     hidden_global_offset_z
      - .offset:         3504
        .size:           2
        .value_kind:     hidden_grid_dims
    .group_segment_fixed_size: 0
    .kernarg_segment_align: 8
    .kernarg_segment_size: 3696
    .language:       OpenCL C
    .language_version:
      - 2
      - 0
    .max_flat_workgroup_size: 1024
    .name:           _ZN2at6native12_GLOBAL__N_130CatArrayBatchedCopy_vectorizedINS1_10OpaqueTypeILj4EEEjLi1ELi64ELi64ELi16ELi4EEEvPcNS1_25CatArrInputTensorMetadataIT_T0_XT2_EXT3_EEENS1_16TensorSizeStrideIS8_Lj4EEEiS8_
    .private_segment_fixed_size: 0
    .sgpr_count:     16
    .sgpr_spill_count: 0
    .symbol:         _ZN2at6native12_GLOBAL__N_130CatArrayBatchedCopy_vectorizedINS1_10OpaqueTypeILj4EEEjLi1ELi64ELi64ELi16ELi4EEEvPcNS1_25CatArrInputTensorMetadataIT_T0_XT2_EXT3_EEENS1_16TensorSizeStrideIS8_Lj4EEEiS8_.kd
    .uniform_work_group_size: 1
    .uses_dynamic_stack: false
    .vgpr_count:     10
    .vgpr_spill_count: 0
    .wavefront_size: 32
    .workgroup_processor_mode: 1
  - .args:
      - .address_space:  global
        .offset:         0
        .size:           8
        .value_kind:     global_buffer
      - .offset:         8
        .size:           3392
        .value_kind:     by_value
      - .offset:         3400
        .size:           32
        .value_kind:     by_value
      - .offset:         3432
        .size:           4
        .value_kind:     by_value
      - .offset:         3436
        .size:           4
        .value_kind:     by_value
      - .offset:         3440
        .size:           4
        .value_kind:     hidden_block_count_x
      - .offset:         3444
        .size:           4
        .value_kind:     hidden_block_count_y
      - .offset:         3448
        .size:           4
        .value_kind:     hidden_block_count_z
      - .offset:         3452
        .size:           2
        .value_kind:     hidden_group_size_x
      - .offset:         3454
        .size:           2
        .value_kind:     hidden_group_size_y
      - .offset:         3456
        .size:           2
        .value_kind:     hidden_group_size_z
      - .offset:         3458
        .size:           2
        .value_kind:     hidden_remainder_x
      - .offset:         3460
        .size:           2
        .value_kind:     hidden_remainder_y
      - .offset:         3462
        .size:           2
        .value_kind:     hidden_remainder_z
      - .offset:         3480
        .size:           8
        .value_kind:     hidden_global_offset_x
      - .offset:         3488
        .size:           8
        .value_kind:     hidden_global_offset_y
      - .offset:         3496
        .size:           8
        .value_kind:     hidden_global_offset_z
      - .offset:         3504
        .size:           2
        .value_kind:     hidden_grid_dims
    .group_segment_fixed_size: 0
    .kernarg_segment_align: 8
    .kernarg_segment_size: 3696
    .language:       OpenCL C
    .language_version:
      - 2
      - 0
    .max_flat_workgroup_size: 1024
    .name:           _ZN2at6native12_GLOBAL__N_135CatArrayBatchedCopy_alignedK_contigINS1_10OpaqueTypeILj4EEEjLi1ELi64ELi64ELi16EEEvPT_NS1_25CatArrInputTensorMetadataIS5_T0_XT2_EXT3_EEENS1_16TensorSizeStrideIS8_Lj4EEEiS8_
    .private_segment_fixed_size: 0
    .sgpr_count:     16
    .sgpr_spill_count: 0
    .symbol:         _ZN2at6native12_GLOBAL__N_135CatArrayBatchedCopy_alignedK_contigINS1_10OpaqueTypeILj4EEEjLi1ELi64ELi64ELi16EEEvPT_NS1_25CatArrInputTensorMetadataIS5_T0_XT2_EXT3_EEENS1_16TensorSizeStrideIS8_Lj4EEEiS8_.kd
    .uniform_work_group_size: 1
    .uses_dynamic_stack: false
    .vgpr_count:     19
    .vgpr_spill_count: 0
    .wavefront_size: 32
    .workgroup_processor_mode: 1
  - .args:
      - .address_space:  global
        .offset:         0
        .size:           8
        .value_kind:     global_buffer
      - .offset:         8
        .size:           3392
        .value_kind:     by_value
      - .offset:         3400
        .size:           32
        .value_kind:     by_value
      - .offset:         3432
        .size:           4
        .value_kind:     by_value
      - .offset:         3436
        .size:           4
        .value_kind:     by_value
      - .offset:         3440
        .size:           4
        .value_kind:     hidden_block_count_x
      - .offset:         3444
        .size:           4
        .value_kind:     hidden_block_count_y
      - .offset:         3448
        .size:           4
        .value_kind:     hidden_block_count_z
      - .offset:         3452
        .size:           2
        .value_kind:     hidden_group_size_x
      - .offset:         3454
        .size:           2
        .value_kind:     hidden_group_size_y
      - .offset:         3456
        .size:           2
        .value_kind:     hidden_group_size_z
      - .offset:         3458
        .size:           2
        .value_kind:     hidden_remainder_x
      - .offset:         3460
        .size:           2
        .value_kind:     hidden_remainder_y
      - .offset:         3462
        .size:           2
        .value_kind:     hidden_remainder_z
      - .offset:         3480
        .size:           8
        .value_kind:     hidden_global_offset_x
      - .offset:         3488
        .size:           8
        .value_kind:     hidden_global_offset_y
      - .offset:         3496
        .size:           8
        .value_kind:     hidden_global_offset_z
      - .offset:         3504
        .size:           2
        .value_kind:     hidden_grid_dims
    .group_segment_fixed_size: 0
    .kernarg_segment_align: 8
    .kernarg_segment_size: 3696
    .language:       OpenCL C
    .language_version:
      - 2
      - 0
    .max_flat_workgroup_size: 1024
    .name:           _ZN2at6native12_GLOBAL__N_135CatArrayBatchedCopy_alignedK_contigINS1_10OpaqueTypeILj4EEEjLi1ELi64ELi64ELi8EEEvPT_NS1_25CatArrInputTensorMetadataIS5_T0_XT2_EXT3_EEENS1_16TensorSizeStrideIS8_Lj4EEEiS8_
    .private_segment_fixed_size: 0
    .sgpr_count:     16
    .sgpr_spill_count: 0
    .symbol:         _ZN2at6native12_GLOBAL__N_135CatArrayBatchedCopy_alignedK_contigINS1_10OpaqueTypeILj4EEEjLi1ELi64ELi64ELi8EEEvPT_NS1_25CatArrInputTensorMetadataIS5_T0_XT2_EXT3_EEENS1_16TensorSizeStrideIS8_Lj4EEEiS8_.kd
    .uniform_work_group_size: 1
    .uses_dynamic_stack: false
    .vgpr_count:     11
    .vgpr_spill_count: 0
    .wavefront_size: 32
    .workgroup_processor_mode: 1
  - .args:
      - .address_space:  global
        .offset:         0
        .size:           8
        .value_kind:     global_buffer
      - .offset:         8
        .size:           3392
        .value_kind:     by_value
      - .offset:         3400
        .size:           32
        .value_kind:     by_value
      - .offset:         3432
        .size:           4
        .value_kind:     by_value
      - .offset:         3436
        .size:           4
        .value_kind:     by_value
      - .offset:         3440
        .size:           4
        .value_kind:     hidden_block_count_x
      - .offset:         3444
        .size:           4
        .value_kind:     hidden_block_count_y
      - .offset:         3448
        .size:           4
        .value_kind:     hidden_block_count_z
      - .offset:         3452
        .size:           2
        .value_kind:     hidden_group_size_x
      - .offset:         3454
        .size:           2
        .value_kind:     hidden_group_size_y
      - .offset:         3456
        .size:           2
        .value_kind:     hidden_group_size_z
      - .offset:         3458
        .size:           2
        .value_kind:     hidden_remainder_x
      - .offset:         3460
        .size:           2
        .value_kind:     hidden_remainder_y
      - .offset:         3462
        .size:           2
        .value_kind:     hidden_remainder_z
      - .offset:         3480
        .size:           8
        .value_kind:     hidden_global_offset_x
      - .offset:         3488
        .size:           8
        .value_kind:     hidden_global_offset_y
      - .offset:         3496
        .size:           8
        .value_kind:     hidden_global_offset_z
      - .offset:         3504
        .size:           2
        .value_kind:     hidden_grid_dims
    .group_segment_fixed_size: 0
    .kernarg_segment_align: 8
    .kernarg_segment_size: 3696
    .language:       OpenCL C
    .language_version:
      - 2
      - 0
    .max_flat_workgroup_size: 1024
    .name:           _ZN2at6native12_GLOBAL__N_126CatArrayBatchedCopy_contigINS1_10OpaqueTypeILj4EEEjLi1ELi64ELi64EEEvPT_NS1_25CatArrInputTensorMetadataIS5_T0_XT2_EXT3_EEENS1_16TensorSizeStrideIS8_Lj4EEEiS8_
    .private_segment_fixed_size: 0
    .sgpr_count:     17
    .sgpr_spill_count: 0
    .symbol:         _ZN2at6native12_GLOBAL__N_126CatArrayBatchedCopy_contigINS1_10OpaqueTypeILj4EEEjLi1ELi64ELi64EEEvPT_NS1_25CatArrInputTensorMetadataIS5_T0_XT2_EXT3_EEENS1_16TensorSizeStrideIS8_Lj4EEEiS8_.kd
    .uniform_work_group_size: 1
    .uses_dynamic_stack: false
    .vgpr_count:     6
    .vgpr_spill_count: 0
    .wavefront_size: 32
    .workgroup_processor_mode: 1
  - .args:
      - .address_space:  global
        .offset:         0
        .size:           8
        .value_kind:     global_buffer
      - .offset:         8
        .size:           3392
        .value_kind:     by_value
      - .offset:         3400
        .size:           32
        .value_kind:     by_value
      - .offset:         3432
        .size:           4
        .value_kind:     by_value
      - .offset:         3436
        .size:           4
        .value_kind:     by_value
      - .offset:         3440
        .size:           4
        .value_kind:     hidden_block_count_x
      - .offset:         3444
        .size:           4
        .value_kind:     hidden_block_count_y
      - .offset:         3448
        .size:           4
        .value_kind:     hidden_block_count_z
      - .offset:         3452
        .size:           2
        .value_kind:     hidden_group_size_x
      - .offset:         3454
        .size:           2
        .value_kind:     hidden_group_size_y
      - .offset:         3456
        .size:           2
        .value_kind:     hidden_group_size_z
      - .offset:         3458
        .size:           2
        .value_kind:     hidden_remainder_x
      - .offset:         3460
        .size:           2
        .value_kind:     hidden_remainder_y
      - .offset:         3462
        .size:           2
        .value_kind:     hidden_remainder_z
      - .offset:         3480
        .size:           8
        .value_kind:     hidden_global_offset_x
      - .offset:         3488
        .size:           8
        .value_kind:     hidden_global_offset_y
      - .offset:         3496
        .size:           8
        .value_kind:     hidden_global_offset_z
      - .offset:         3504
        .size:           2
        .value_kind:     hidden_grid_dims
    .group_segment_fixed_size: 0
    .kernarg_segment_align: 8
    .kernarg_segment_size: 3696
    .language:       OpenCL C
    .language_version:
      - 2
      - 0
    .max_flat_workgroup_size: 1024
    .name:           _ZN2at6native12_GLOBAL__N_119CatArrayBatchedCopyINS1_10OpaqueTypeILj4EEEjLi1ELi64ELi64EEEvPT_NS1_25CatArrInputTensorMetadataIS5_T0_XT2_EXT3_EEENS1_16TensorSizeStrideIS8_Lj4EEEiS8_
    .private_segment_fixed_size: 0
    .sgpr_count:     20
    .sgpr_spill_count: 0
    .symbol:         _ZN2at6native12_GLOBAL__N_119CatArrayBatchedCopyINS1_10OpaqueTypeILj4EEEjLi1ELi64ELi64EEEvPT_NS1_25CatArrInputTensorMetadataIS5_T0_XT2_EXT3_EEENS1_16TensorSizeStrideIS8_Lj4EEEiS8_.kd
    .uniform_work_group_size: 1
    .uses_dynamic_stack: false
    .vgpr_count:     7
    .vgpr_spill_count: 0
    .wavefront_size: 32
    .workgroup_processor_mode: 1
  - .args:
      - .address_space:  global
        .offset:         0
        .size:           8
        .value_kind:     global_buffer
      - .offset:         8
        .size:           3392
        .value_kind:     by_value
      - .offset:         3400
        .size:           32
        .value_kind:     by_value
      - .offset:         3432
        .size:           4
        .value_kind:     by_value
      - .offset:         3436
        .size:           4
        .value_kind:     by_value
      - .offset:         3440
        .size:           4
        .value_kind:     hidden_block_count_x
      - .offset:         3444
        .size:           4
        .value_kind:     hidden_block_count_y
      - .offset:         3448
        .size:           4
        .value_kind:     hidden_block_count_z
      - .offset:         3452
        .size:           2
        .value_kind:     hidden_group_size_x
      - .offset:         3454
        .size:           2
        .value_kind:     hidden_group_size_y
      - .offset:         3456
        .size:           2
        .value_kind:     hidden_group_size_z
      - .offset:         3458
        .size:           2
        .value_kind:     hidden_remainder_x
      - .offset:         3460
        .size:           2
        .value_kind:     hidden_remainder_y
      - .offset:         3462
        .size:           2
        .value_kind:     hidden_remainder_z
      - .offset:         3480
        .size:           8
        .value_kind:     hidden_global_offset_x
      - .offset:         3488
        .size:           8
        .value_kind:     hidden_global_offset_y
      - .offset:         3496
        .size:           8
        .value_kind:     hidden_global_offset_z
      - .offset:         3504
        .size:           2
        .value_kind:     hidden_grid_dims
    .group_segment_fixed_size: 0
    .kernarg_segment_align: 8
    .kernarg_segment_size: 3696
    .language:       OpenCL C
    .language_version:
      - 2
      - 0
    .max_flat_workgroup_size: 1024
    .name:           _ZN2at6native12_GLOBAL__N_130CatArrayBatchedCopy_vectorizedINS1_10OpaqueTypeILj4EEEjLi2ELi64ELi64ELi16ELi4EEEvPcNS1_25CatArrInputTensorMetadataIT_T0_XT2_EXT3_EEENS1_16TensorSizeStrideIS8_Lj4EEEiS8_
    .private_segment_fixed_size: 0
    .sgpr_count:     20
    .sgpr_spill_count: 0
    .symbol:         _ZN2at6native12_GLOBAL__N_130CatArrayBatchedCopy_vectorizedINS1_10OpaqueTypeILj4EEEjLi2ELi64ELi64ELi16ELi4EEEvPcNS1_25CatArrInputTensorMetadataIT_T0_XT2_EXT3_EEENS1_16TensorSizeStrideIS8_Lj4EEEiS8_.kd
    .uniform_work_group_size: 1
    .uses_dynamic_stack: false
    .vgpr_count:     12
    .vgpr_spill_count: 0
    .wavefront_size: 32
    .workgroup_processor_mode: 1
  - .args:
      - .address_space:  global
        .offset:         0
        .size:           8
        .value_kind:     global_buffer
      - .offset:         8
        .size:           3392
        .value_kind:     by_value
      - .offset:         3400
        .size:           32
        .value_kind:     by_value
      - .offset:         3432
        .size:           4
        .value_kind:     by_value
      - .offset:         3436
        .size:           4
        .value_kind:     by_value
      - .offset:         3440
        .size:           4
        .value_kind:     hidden_block_count_x
      - .offset:         3444
        .size:           4
        .value_kind:     hidden_block_count_y
      - .offset:         3448
        .size:           4
        .value_kind:     hidden_block_count_z
      - .offset:         3452
        .size:           2
        .value_kind:     hidden_group_size_x
      - .offset:         3454
        .size:           2
        .value_kind:     hidden_group_size_y
      - .offset:         3456
        .size:           2
        .value_kind:     hidden_group_size_z
      - .offset:         3458
        .size:           2
        .value_kind:     hidden_remainder_x
      - .offset:         3460
        .size:           2
        .value_kind:     hidden_remainder_y
      - .offset:         3462
        .size:           2
        .value_kind:     hidden_remainder_z
      - .offset:         3480
        .size:           8
        .value_kind:     hidden_global_offset_x
      - .offset:         3488
        .size:           8
        .value_kind:     hidden_global_offset_y
      - .offset:         3496
        .size:           8
        .value_kind:     hidden_global_offset_z
      - .offset:         3504
        .size:           2
        .value_kind:     hidden_grid_dims
    .group_segment_fixed_size: 0
    .kernarg_segment_align: 8
    .kernarg_segment_size: 3696
    .language:       OpenCL C
    .language_version:
      - 2
      - 0
    .max_flat_workgroup_size: 1024
    .name:           _ZN2at6native12_GLOBAL__N_135CatArrayBatchedCopy_alignedK_contigINS1_10OpaqueTypeILj4EEEjLi2ELi64ELi64ELi16EEEvPT_NS1_25CatArrInputTensorMetadataIS5_T0_XT2_EXT3_EEENS1_16TensorSizeStrideIS8_Lj4EEEiS8_
    .private_segment_fixed_size: 0
    .sgpr_count:     22
    .sgpr_spill_count: 0
    .symbol:         _ZN2at6native12_GLOBAL__N_135CatArrayBatchedCopy_alignedK_contigINS1_10OpaqueTypeILj4EEEjLi2ELi64ELi64ELi16EEEvPT_NS1_25CatArrInputTensorMetadataIS5_T0_XT2_EXT3_EEENS1_16TensorSizeStrideIS8_Lj4EEEiS8_.kd
    .uniform_work_group_size: 1
    .uses_dynamic_stack: false
    .vgpr_count:     33
    .vgpr_spill_count: 0
    .wavefront_size: 32
    .workgroup_processor_mode: 1
  - .args:
      - .address_space:  global
        .offset:         0
        .size:           8
        .value_kind:     global_buffer
      - .offset:         8
        .size:           3392
        .value_kind:     by_value
      - .offset:         3400
        .size:           32
        .value_kind:     by_value
      - .offset:         3432
        .size:           4
        .value_kind:     by_value
      - .offset:         3436
        .size:           4
        .value_kind:     by_value
      - .offset:         3440
        .size:           4
        .value_kind:     hidden_block_count_x
      - .offset:         3444
        .size:           4
        .value_kind:     hidden_block_count_y
      - .offset:         3448
        .size:           4
        .value_kind:     hidden_block_count_z
      - .offset:         3452
        .size:           2
        .value_kind:     hidden_group_size_x
      - .offset:         3454
        .size:           2
        .value_kind:     hidden_group_size_y
      - .offset:         3456
        .size:           2
        .value_kind:     hidden_group_size_z
      - .offset:         3458
        .size:           2
        .value_kind:     hidden_remainder_x
      - .offset:         3460
        .size:           2
        .value_kind:     hidden_remainder_y
      - .offset:         3462
        .size:           2
        .value_kind:     hidden_remainder_z
      - .offset:         3480
        .size:           8
        .value_kind:     hidden_global_offset_x
      - .offset:         3488
        .size:           8
        .value_kind:     hidden_global_offset_y
      - .offset:         3496
        .size:           8
        .value_kind:     hidden_global_offset_z
      - .offset:         3504
        .size:           2
        .value_kind:     hidden_grid_dims
    .group_segment_fixed_size: 0
    .kernarg_segment_align: 8
    .kernarg_segment_size: 3696
    .language:       OpenCL C
    .language_version:
      - 2
      - 0
    .max_flat_workgroup_size: 1024
    .name:           _ZN2at6native12_GLOBAL__N_135CatArrayBatchedCopy_alignedK_contigINS1_10OpaqueTypeILj4EEEjLi2ELi64ELi64ELi8EEEvPT_NS1_25CatArrInputTensorMetadataIS5_T0_XT2_EXT3_EEENS1_16TensorSizeStrideIS8_Lj4EEEiS8_
    .private_segment_fixed_size: 0
    .sgpr_count:     20
    .sgpr_spill_count: 0
    .symbol:         _ZN2at6native12_GLOBAL__N_135CatArrayBatchedCopy_alignedK_contigINS1_10OpaqueTypeILj4EEEjLi2ELi64ELi64ELi8EEEvPT_NS1_25CatArrInputTensorMetadataIS5_T0_XT2_EXT3_EEENS1_16TensorSizeStrideIS8_Lj4EEEiS8_.kd
    .uniform_work_group_size: 1
    .uses_dynamic_stack: false
    .vgpr_count:     18
    .vgpr_spill_count: 0
    .wavefront_size: 32
    .workgroup_processor_mode: 1
  - .args:
      - .address_space:  global
        .offset:         0
        .size:           8
        .value_kind:     global_buffer
      - .offset:         8
        .size:           3392
        .value_kind:     by_value
      - .offset:         3400
        .size:           32
        .value_kind:     by_value
      - .offset:         3432
        .size:           4
        .value_kind:     by_value
      - .offset:         3436
        .size:           4
        .value_kind:     by_value
      - .offset:         3440
        .size:           4
        .value_kind:     hidden_block_count_x
      - .offset:         3444
        .size:           4
        .value_kind:     hidden_block_count_y
      - .offset:         3448
        .size:           4
        .value_kind:     hidden_block_count_z
      - .offset:         3452
        .size:           2
        .value_kind:     hidden_group_size_x
      - .offset:         3454
        .size:           2
        .value_kind:     hidden_group_size_y
      - .offset:         3456
        .size:           2
        .value_kind:     hidden_group_size_z
      - .offset:         3458
        .size:           2
        .value_kind:     hidden_remainder_x
      - .offset:         3460
        .size:           2
        .value_kind:     hidden_remainder_y
      - .offset:         3462
        .size:           2
        .value_kind:     hidden_remainder_z
      - .offset:         3480
        .size:           8
        .value_kind:     hidden_global_offset_x
      - .offset:         3488
        .size:           8
        .value_kind:     hidden_global_offset_y
      - .offset:         3496
        .size:           8
        .value_kind:     hidden_global_offset_z
      - .offset:         3504
        .size:           2
        .value_kind:     hidden_grid_dims
    .group_segment_fixed_size: 0
    .kernarg_segment_align: 8
    .kernarg_segment_size: 3696
    .language:       OpenCL C
    .language_version:
      - 2
      - 0
    .max_flat_workgroup_size: 1024
    .name:           _ZN2at6native12_GLOBAL__N_126CatArrayBatchedCopy_contigINS1_10OpaqueTypeILj4EEEjLi2ELi64ELi64EEEvPT_NS1_25CatArrInputTensorMetadataIS5_T0_XT2_EXT3_EEENS1_16TensorSizeStrideIS8_Lj4EEEiS8_
    .private_segment_fixed_size: 0
    .sgpr_count:     19
    .sgpr_spill_count: 0
    .symbol:         _ZN2at6native12_GLOBAL__N_126CatArrayBatchedCopy_contigINS1_10OpaqueTypeILj4EEEjLi2ELi64ELi64EEEvPT_NS1_25CatArrInputTensorMetadataIS5_T0_XT2_EXT3_EEENS1_16TensorSizeStrideIS8_Lj4EEEiS8_.kd
    .uniform_work_group_size: 1
    .uses_dynamic_stack: false
    .vgpr_count:     9
    .vgpr_spill_count: 0
    .wavefront_size: 32
    .workgroup_processor_mode: 1
  - .args:
      - .address_space:  global
        .offset:         0
        .size:           8
        .value_kind:     global_buffer
      - .offset:         8
        .size:           3392
        .value_kind:     by_value
      - .offset:         3400
        .size:           32
        .value_kind:     by_value
      - .offset:         3432
        .size:           4
        .value_kind:     by_value
      - .offset:         3436
        .size:           4
        .value_kind:     by_value
      - .offset:         3440
        .size:           4
        .value_kind:     hidden_block_count_x
      - .offset:         3444
        .size:           4
        .value_kind:     hidden_block_count_y
      - .offset:         3448
        .size:           4
        .value_kind:     hidden_block_count_z
      - .offset:         3452
        .size:           2
        .value_kind:     hidden_group_size_x
      - .offset:         3454
        .size:           2
        .value_kind:     hidden_group_size_y
      - .offset:         3456
        .size:           2
        .value_kind:     hidden_group_size_z
      - .offset:         3458
        .size:           2
        .value_kind:     hidden_remainder_x
      - .offset:         3460
        .size:           2
        .value_kind:     hidden_remainder_y
      - .offset:         3462
        .size:           2
        .value_kind:     hidden_remainder_z
      - .offset:         3480
        .size:           8
        .value_kind:     hidden_global_offset_x
      - .offset:         3488
        .size:           8
        .value_kind:     hidden_global_offset_y
      - .offset:         3496
        .size:           8
        .value_kind:     hidden_global_offset_z
      - .offset:         3504
        .size:           2
        .value_kind:     hidden_grid_dims
    .group_segment_fixed_size: 0
    .kernarg_segment_align: 8
    .kernarg_segment_size: 3696
    .language:       OpenCL C
    .language_version:
      - 2
      - 0
    .max_flat_workgroup_size: 1024
    .name:           _ZN2at6native12_GLOBAL__N_119CatArrayBatchedCopyINS1_10OpaqueTypeILj4EEEjLi2ELi64ELi64EEEvPT_NS1_25CatArrInputTensorMetadataIS5_T0_XT2_EXT3_EEENS1_16TensorSizeStrideIS8_Lj4EEEiS8_
    .private_segment_fixed_size: 0
    .sgpr_count:     25
    .sgpr_spill_count: 0
    .symbol:         _ZN2at6native12_GLOBAL__N_119CatArrayBatchedCopyINS1_10OpaqueTypeILj4EEEjLi2ELi64ELi64EEEvPT_NS1_25CatArrInputTensorMetadataIS5_T0_XT2_EXT3_EEENS1_16TensorSizeStrideIS8_Lj4EEEiS8_.kd
    .uniform_work_group_size: 1
    .uses_dynamic_stack: false
    .vgpr_count:     10
    .vgpr_spill_count: 0
    .wavefront_size: 32
    .workgroup_processor_mode: 1
  - .args:
      - .address_space:  global
        .offset:         0
        .size:           8
        .value_kind:     global_buffer
      - .offset:         8
        .size:           3392
        .value_kind:     by_value
      - .offset:         3400
        .size:           32
        .value_kind:     by_value
      - .offset:         3432
        .size:           4
        .value_kind:     by_value
      - .offset:         3436
        .size:           4
        .value_kind:     by_value
      - .offset:         3440
        .size:           4
        .value_kind:     hidden_block_count_x
      - .offset:         3444
        .size:           4
        .value_kind:     hidden_block_count_y
      - .offset:         3448
        .size:           4
        .value_kind:     hidden_block_count_z
      - .offset:         3452
        .size:           2
        .value_kind:     hidden_group_size_x
      - .offset:         3454
        .size:           2
        .value_kind:     hidden_group_size_y
      - .offset:         3456
        .size:           2
        .value_kind:     hidden_group_size_z
      - .offset:         3458
        .size:           2
        .value_kind:     hidden_remainder_x
      - .offset:         3460
        .size:           2
        .value_kind:     hidden_remainder_y
      - .offset:         3462
        .size:           2
        .value_kind:     hidden_remainder_z
      - .offset:         3480
        .size:           8
        .value_kind:     hidden_global_offset_x
      - .offset:         3488
        .size:           8
        .value_kind:     hidden_global_offset_y
      - .offset:         3496
        .size:           8
        .value_kind:     hidden_global_offset_z
      - .offset:         3504
        .size:           2
        .value_kind:     hidden_grid_dims
    .group_segment_fixed_size: 0
    .kernarg_segment_align: 8
    .kernarg_segment_size: 3696
    .language:       OpenCL C
    .language_version:
      - 2
      - 0
    .max_flat_workgroup_size: 1024
    .name:           _ZN2at6native12_GLOBAL__N_130CatArrayBatchedCopy_vectorizedINS1_10OpaqueTypeILj4EEEjLi3ELi64ELi64ELi16ELi4EEEvPcNS1_25CatArrInputTensorMetadataIT_T0_XT2_EXT3_EEENS1_16TensorSizeStrideIS8_Lj4EEEiS8_
    .private_segment_fixed_size: 0
    .sgpr_count:     26
    .sgpr_spill_count: 0
    .symbol:         _ZN2at6native12_GLOBAL__N_130CatArrayBatchedCopy_vectorizedINS1_10OpaqueTypeILj4EEEjLi3ELi64ELi64ELi16ELi4EEEvPcNS1_25CatArrInputTensorMetadataIT_T0_XT2_EXT3_EEENS1_16TensorSizeStrideIS8_Lj4EEEiS8_.kd
    .uniform_work_group_size: 1
    .uses_dynamic_stack: false
    .vgpr_count:     13
    .vgpr_spill_count: 0
    .wavefront_size: 32
    .workgroup_processor_mode: 1
  - .args:
      - .address_space:  global
        .offset:         0
        .size:           8
        .value_kind:     global_buffer
      - .offset:         8
        .size:           3392
        .value_kind:     by_value
      - .offset:         3400
        .size:           32
        .value_kind:     by_value
      - .offset:         3432
        .size:           4
        .value_kind:     by_value
      - .offset:         3436
        .size:           4
        .value_kind:     by_value
      - .offset:         3440
        .size:           4
        .value_kind:     hidden_block_count_x
      - .offset:         3444
        .size:           4
        .value_kind:     hidden_block_count_y
      - .offset:         3448
        .size:           4
        .value_kind:     hidden_block_count_z
      - .offset:         3452
        .size:           2
        .value_kind:     hidden_group_size_x
      - .offset:         3454
        .size:           2
        .value_kind:     hidden_group_size_y
      - .offset:         3456
        .size:           2
        .value_kind:     hidden_group_size_z
      - .offset:         3458
        .size:           2
        .value_kind:     hidden_remainder_x
      - .offset:         3460
        .size:           2
        .value_kind:     hidden_remainder_y
      - .offset:         3462
        .size:           2
        .value_kind:     hidden_remainder_z
      - .offset:         3480
        .size:           8
        .value_kind:     hidden_global_offset_x
      - .offset:         3488
        .size:           8
        .value_kind:     hidden_global_offset_y
      - .offset:         3496
        .size:           8
        .value_kind:     hidden_global_offset_z
      - .offset:         3504
        .size:           2
        .value_kind:     hidden_grid_dims
    .group_segment_fixed_size: 0
    .kernarg_segment_align: 8
    .kernarg_segment_size: 3696
    .language:       OpenCL C
    .language_version:
      - 2
      - 0
    .max_flat_workgroup_size: 1024
    .name:           _ZN2at6native12_GLOBAL__N_135CatArrayBatchedCopy_alignedK_contigINS1_10OpaqueTypeILj4EEEjLi3ELi64ELi64ELi16EEEvPT_NS1_25CatArrInputTensorMetadataIS5_T0_XT2_EXT3_EEENS1_16TensorSizeStrideIS8_Lj4EEEiS8_
    .private_segment_fixed_size: 0
    .sgpr_count:     25
    .sgpr_spill_count: 0
    .symbol:         _ZN2at6native12_GLOBAL__N_135CatArrayBatchedCopy_alignedK_contigINS1_10OpaqueTypeILj4EEEjLi3ELi64ELi64ELi16EEEvPT_NS1_25CatArrInputTensorMetadataIS5_T0_XT2_EXT3_EEENS1_16TensorSizeStrideIS8_Lj4EEEiS8_.kd
    .uniform_work_group_size: 1
    .uses_dynamic_stack: false
    .vgpr_count:     36
    .vgpr_spill_count: 0
    .wavefront_size: 32
    .workgroup_processor_mode: 1
  - .args:
      - .address_space:  global
        .offset:         0
        .size:           8
        .value_kind:     global_buffer
      - .offset:         8
        .size:           3392
        .value_kind:     by_value
      - .offset:         3400
        .size:           32
        .value_kind:     by_value
      - .offset:         3432
        .size:           4
        .value_kind:     by_value
      - .offset:         3436
        .size:           4
        .value_kind:     by_value
      - .offset:         3440
        .size:           4
        .value_kind:     hidden_block_count_x
      - .offset:         3444
        .size:           4
        .value_kind:     hidden_block_count_y
      - .offset:         3448
        .size:           4
        .value_kind:     hidden_block_count_z
      - .offset:         3452
        .size:           2
        .value_kind:     hidden_group_size_x
      - .offset:         3454
        .size:           2
        .value_kind:     hidden_group_size_y
      - .offset:         3456
        .size:           2
        .value_kind:     hidden_group_size_z
      - .offset:         3458
        .size:           2
        .value_kind:     hidden_remainder_x
      - .offset:         3460
        .size:           2
        .value_kind:     hidden_remainder_y
      - .offset:         3462
        .size:           2
        .value_kind:     hidden_remainder_z
      - .offset:         3480
        .size:           8
        .value_kind:     hidden_global_offset_x
      - .offset:         3488
        .size:           8
        .value_kind:     hidden_global_offset_y
      - .offset:         3496
        .size:           8
        .value_kind:     hidden_global_offset_z
      - .offset:         3504
        .size:           2
        .value_kind:     hidden_grid_dims
    .group_segment_fixed_size: 0
    .kernarg_segment_align: 8
    .kernarg_segment_size: 3696
    .language:       OpenCL C
    .language_version:
      - 2
      - 0
    .max_flat_workgroup_size: 1024
    .name:           _ZN2at6native12_GLOBAL__N_135CatArrayBatchedCopy_alignedK_contigINS1_10OpaqueTypeILj4EEEjLi3ELi64ELi64ELi8EEEvPT_NS1_25CatArrInputTensorMetadataIS5_T0_XT2_EXT3_EEENS1_16TensorSizeStrideIS8_Lj4EEEiS8_
    .private_segment_fixed_size: 0
    .sgpr_count:     24
    .sgpr_spill_count: 0
    .symbol:         _ZN2at6native12_GLOBAL__N_135CatArrayBatchedCopy_alignedK_contigINS1_10OpaqueTypeILj4EEEjLi3ELi64ELi64ELi8EEEvPT_NS1_25CatArrInputTensorMetadataIS5_T0_XT2_EXT3_EEENS1_16TensorSizeStrideIS8_Lj4EEEiS8_.kd
    .uniform_work_group_size: 1
    .uses_dynamic_stack: false
    .vgpr_count:     20
    .vgpr_spill_count: 0
    .wavefront_size: 32
    .workgroup_processor_mode: 1
  - .args:
      - .address_space:  global
        .offset:         0
        .size:           8
        .value_kind:     global_buffer
      - .offset:         8
        .size:           3392
        .value_kind:     by_value
      - .offset:         3400
        .size:           32
        .value_kind:     by_value
      - .offset:         3432
        .size:           4
        .value_kind:     by_value
      - .offset:         3436
        .size:           4
        .value_kind:     by_value
      - .offset:         3440
        .size:           4
        .value_kind:     hidden_block_count_x
      - .offset:         3444
        .size:           4
        .value_kind:     hidden_block_count_y
      - .offset:         3448
        .size:           4
        .value_kind:     hidden_block_count_z
      - .offset:         3452
        .size:           2
        .value_kind:     hidden_group_size_x
      - .offset:         3454
        .size:           2
        .value_kind:     hidden_group_size_y
      - .offset:         3456
        .size:           2
        .value_kind:     hidden_group_size_z
      - .offset:         3458
        .size:           2
        .value_kind:     hidden_remainder_x
      - .offset:         3460
        .size:           2
        .value_kind:     hidden_remainder_y
      - .offset:         3462
        .size:           2
        .value_kind:     hidden_remainder_z
      - .offset:         3480
        .size:           8
        .value_kind:     hidden_global_offset_x
      - .offset:         3488
        .size:           8
        .value_kind:     hidden_global_offset_y
      - .offset:         3496
        .size:           8
        .value_kind:     hidden_global_offset_z
      - .offset:         3504
        .size:           2
        .value_kind:     hidden_grid_dims
    .group_segment_fixed_size: 0
    .kernarg_segment_align: 8
    .kernarg_segment_size: 3696
    .language:       OpenCL C
    .language_version:
      - 2
      - 0
    .max_flat_workgroup_size: 1024
    .name:           _ZN2at6native12_GLOBAL__N_126CatArrayBatchedCopy_contigINS1_10OpaqueTypeILj4EEEjLi3ELi64ELi64EEEvPT_NS1_25CatArrInputTensorMetadataIS5_T0_XT2_EXT3_EEENS1_16TensorSizeStrideIS8_Lj4EEEiS8_
    .private_segment_fixed_size: 0
    .sgpr_count:     24
    .sgpr_spill_count: 0
    .symbol:         _ZN2at6native12_GLOBAL__N_126CatArrayBatchedCopy_contigINS1_10OpaqueTypeILj4EEEjLi3ELi64ELi64EEEvPT_NS1_25CatArrInputTensorMetadataIS5_T0_XT2_EXT3_EEENS1_16TensorSizeStrideIS8_Lj4EEEiS8_.kd
    .uniform_work_group_size: 1
    .uses_dynamic_stack: false
    .vgpr_count:     11
    .vgpr_spill_count: 0
    .wavefront_size: 32
    .workgroup_processor_mode: 1
  - .args:
      - .address_space:  global
        .offset:         0
        .size:           8
        .value_kind:     global_buffer
      - .offset:         8
        .size:           3392
        .value_kind:     by_value
      - .offset:         3400
        .size:           32
        .value_kind:     by_value
      - .offset:         3432
        .size:           4
        .value_kind:     by_value
      - .offset:         3436
        .size:           4
        .value_kind:     by_value
      - .offset:         3440
        .size:           4
        .value_kind:     hidden_block_count_x
      - .offset:         3444
        .size:           4
        .value_kind:     hidden_block_count_y
      - .offset:         3448
        .size:           4
        .value_kind:     hidden_block_count_z
      - .offset:         3452
        .size:           2
        .value_kind:     hidden_group_size_x
      - .offset:         3454
        .size:           2
        .value_kind:     hidden_group_size_y
      - .offset:         3456
        .size:           2
        .value_kind:     hidden_group_size_z
      - .offset:         3458
        .size:           2
        .value_kind:     hidden_remainder_x
      - .offset:         3460
        .size:           2
        .value_kind:     hidden_remainder_y
      - .offset:         3462
        .size:           2
        .value_kind:     hidden_remainder_z
      - .offset:         3480
        .size:           8
        .value_kind:     hidden_global_offset_x
      - .offset:         3488
        .size:           8
        .value_kind:     hidden_global_offset_y
      - .offset:         3496
        .size:           8
        .value_kind:     hidden_global_offset_z
      - .offset:         3504
        .size:           2
        .value_kind:     hidden_grid_dims
    .group_segment_fixed_size: 0
    .kernarg_segment_align: 8
    .kernarg_segment_size: 3696
    .language:       OpenCL C
    .language_version:
      - 2
      - 0
    .max_flat_workgroup_size: 1024
    .name:           _ZN2at6native12_GLOBAL__N_119CatArrayBatchedCopyINS1_10OpaqueTypeILj4EEEjLi3ELi64ELi64EEEvPT_NS1_25CatArrInputTensorMetadataIS5_T0_XT2_EXT3_EEENS1_16TensorSizeStrideIS8_Lj4EEEiS8_
    .private_segment_fixed_size: 0
    .sgpr_count:     30
    .sgpr_spill_count: 0
    .symbol:         _ZN2at6native12_GLOBAL__N_119CatArrayBatchedCopyINS1_10OpaqueTypeILj4EEEjLi3ELi64ELi64EEEvPT_NS1_25CatArrInputTensorMetadataIS5_T0_XT2_EXT3_EEENS1_16TensorSizeStrideIS8_Lj4EEEiS8_.kd
    .uniform_work_group_size: 1
    .uses_dynamic_stack: false
    .vgpr_count:     12
    .vgpr_spill_count: 0
    .wavefront_size: 32
    .workgroup_processor_mode: 1
  - .args:
      - .address_space:  global
        .offset:         0
        .size:           8
        .value_kind:     global_buffer
      - .offset:         8
        .size:           3392
        .value_kind:     by_value
      - .offset:         3400
        .size:           32
        .value_kind:     by_value
      - .offset:         3432
        .size:           4
        .value_kind:     by_value
      - .offset:         3436
        .size:           4
        .value_kind:     by_value
      - .offset:         3440
        .size:           4
        .value_kind:     hidden_block_count_x
      - .offset:         3444
        .size:           4
        .value_kind:     hidden_block_count_y
      - .offset:         3448
        .size:           4
        .value_kind:     hidden_block_count_z
      - .offset:         3452
        .size:           2
        .value_kind:     hidden_group_size_x
      - .offset:         3454
        .size:           2
        .value_kind:     hidden_group_size_y
      - .offset:         3456
        .size:           2
        .value_kind:     hidden_group_size_z
      - .offset:         3458
        .size:           2
        .value_kind:     hidden_remainder_x
      - .offset:         3460
        .size:           2
        .value_kind:     hidden_remainder_y
      - .offset:         3462
        .size:           2
        .value_kind:     hidden_remainder_z
      - .offset:         3480
        .size:           8
        .value_kind:     hidden_global_offset_x
      - .offset:         3488
        .size:           8
        .value_kind:     hidden_global_offset_y
      - .offset:         3496
        .size:           8
        .value_kind:     hidden_global_offset_z
      - .offset:         3504
        .size:           2
        .value_kind:     hidden_grid_dims
    .group_segment_fixed_size: 0
    .kernarg_segment_align: 8
    .kernarg_segment_size: 3696
    .language:       OpenCL C
    .language_version:
      - 2
      - 0
    .max_flat_workgroup_size: 1024
    .name:           _ZN2at6native12_GLOBAL__N_130CatArrayBatchedCopy_vectorizedINS1_10OpaqueTypeILj4EEEjLi4ELi64ELi64ELi16ELi4EEEvPcNS1_25CatArrInputTensorMetadataIT_T0_XT2_EXT3_EEENS1_16TensorSizeStrideIS8_Lj4EEEiS8_
    .private_segment_fixed_size: 0
    .sgpr_count:     26
    .sgpr_spill_count: 0
    .symbol:         _ZN2at6native12_GLOBAL__N_130CatArrayBatchedCopy_vectorizedINS1_10OpaqueTypeILj4EEEjLi4ELi64ELi64ELi16ELi4EEEvPcNS1_25CatArrInputTensorMetadataIT_T0_XT2_EXT3_EEENS1_16TensorSizeStrideIS8_Lj4EEEiS8_.kd
    .uniform_work_group_size: 1
    .uses_dynamic_stack: false
    .vgpr_count:     16
    .vgpr_spill_count: 0
    .wavefront_size: 32
    .workgroup_processor_mode: 1
  - .args:
      - .address_space:  global
        .offset:         0
        .size:           8
        .value_kind:     global_buffer
      - .offset:         8
        .size:           3392
        .value_kind:     by_value
      - .offset:         3400
        .size:           32
        .value_kind:     by_value
      - .offset:         3432
        .size:           4
        .value_kind:     by_value
      - .offset:         3436
        .size:           4
        .value_kind:     by_value
      - .offset:         3440
        .size:           4
        .value_kind:     hidden_block_count_x
      - .offset:         3444
        .size:           4
        .value_kind:     hidden_block_count_y
      - .offset:         3448
        .size:           4
        .value_kind:     hidden_block_count_z
      - .offset:         3452
        .size:           2
        .value_kind:     hidden_group_size_x
      - .offset:         3454
        .size:           2
        .value_kind:     hidden_group_size_y
      - .offset:         3456
        .size:           2
        .value_kind:     hidden_group_size_z
      - .offset:         3458
        .size:           2
        .value_kind:     hidden_remainder_x
      - .offset:         3460
        .size:           2
        .value_kind:     hidden_remainder_y
      - .offset:         3462
        .size:           2
        .value_kind:     hidden_remainder_z
      - .offset:         3480
        .size:           8
        .value_kind:     hidden_global_offset_x
      - .offset:         3488
        .size:           8
        .value_kind:     hidden_global_offset_y
      - .offset:         3496
        .size:           8
        .value_kind:     hidden_global_offset_z
      - .offset:         3504
        .size:           2
        .value_kind:     hidden_grid_dims
    .group_segment_fixed_size: 0
    .kernarg_segment_align: 8
    .kernarg_segment_size: 3696
    .language:       OpenCL C
    .language_version:
      - 2
      - 0
    .max_flat_workgroup_size: 1024
    .name:           _ZN2at6native12_GLOBAL__N_135CatArrayBatchedCopy_alignedK_contigINS1_10OpaqueTypeILj4EEEjLi4ELi64ELi64ELi16EEEvPT_NS1_25CatArrInputTensorMetadataIS5_T0_XT2_EXT3_EEENS1_16TensorSizeStrideIS8_Lj4EEEiS8_
    .private_segment_fixed_size: 0
    .sgpr_count:     28
    .sgpr_spill_count: 0
    .symbol:         _ZN2at6native12_GLOBAL__N_135CatArrayBatchedCopy_alignedK_contigINS1_10OpaqueTypeILj4EEEjLi4ELi64ELi64ELi16EEEvPT_NS1_25CatArrInputTensorMetadataIS5_T0_XT2_EXT3_EEENS1_16TensorSizeStrideIS8_Lj4EEEiS8_.kd
    .uniform_work_group_size: 1
    .uses_dynamic_stack: false
    .vgpr_count:     40
    .vgpr_spill_count: 0
    .wavefront_size: 32
    .workgroup_processor_mode: 1
  - .args:
      - .address_space:  global
        .offset:         0
        .size:           8
        .value_kind:     global_buffer
      - .offset:         8
        .size:           3392
        .value_kind:     by_value
      - .offset:         3400
        .size:           32
        .value_kind:     by_value
      - .offset:         3432
        .size:           4
        .value_kind:     by_value
      - .offset:         3436
        .size:           4
        .value_kind:     by_value
      - .offset:         3440
        .size:           4
        .value_kind:     hidden_block_count_x
      - .offset:         3444
        .size:           4
        .value_kind:     hidden_block_count_y
      - .offset:         3448
        .size:           4
        .value_kind:     hidden_block_count_z
      - .offset:         3452
        .size:           2
        .value_kind:     hidden_group_size_x
      - .offset:         3454
        .size:           2
        .value_kind:     hidden_group_size_y
      - .offset:         3456
        .size:           2
        .value_kind:     hidden_group_size_z
      - .offset:         3458
        .size:           2
        .value_kind:     hidden_remainder_x
      - .offset:         3460
        .size:           2
        .value_kind:     hidden_remainder_y
      - .offset:         3462
        .size:           2
        .value_kind:     hidden_remainder_z
      - .offset:         3480
        .size:           8
        .value_kind:     hidden_global_offset_x
      - .offset:         3488
        .size:           8
        .value_kind:     hidden_global_offset_y
      - .offset:         3496
        .size:           8
        .value_kind:     hidden_global_offset_z
      - .offset:         3504
        .size:           2
        .value_kind:     hidden_grid_dims
    .group_segment_fixed_size: 0
    .kernarg_segment_align: 8
    .kernarg_segment_size: 3696
    .language:       OpenCL C
    .language_version:
      - 2
      - 0
    .max_flat_workgroup_size: 1024
    .name:           _ZN2at6native12_GLOBAL__N_135CatArrayBatchedCopy_alignedK_contigINS1_10OpaqueTypeILj4EEEjLi4ELi64ELi64ELi8EEEvPT_NS1_25CatArrInputTensorMetadataIS5_T0_XT2_EXT3_EEENS1_16TensorSizeStrideIS8_Lj4EEEiS8_
    .private_segment_fixed_size: 0
    .sgpr_count:     26
    .sgpr_spill_count: 0
    .symbol:         _ZN2at6native12_GLOBAL__N_135CatArrayBatchedCopy_alignedK_contigINS1_10OpaqueTypeILj4EEEjLi4ELi64ELi64ELi8EEEvPT_NS1_25CatArrInputTensorMetadataIS5_T0_XT2_EXT3_EEENS1_16TensorSizeStrideIS8_Lj4EEEiS8_.kd
    .uniform_work_group_size: 1
    .uses_dynamic_stack: false
    .vgpr_count:     23
    .vgpr_spill_count: 0
    .wavefront_size: 32
    .workgroup_processor_mode: 1
  - .args:
      - .address_space:  global
        .offset:         0
        .size:           8
        .value_kind:     global_buffer
      - .offset:         8
        .size:           3392
        .value_kind:     by_value
      - .offset:         3400
        .size:           32
        .value_kind:     by_value
      - .offset:         3432
        .size:           4
        .value_kind:     by_value
      - .offset:         3436
        .size:           4
        .value_kind:     by_value
      - .offset:         3440
        .size:           4
        .value_kind:     hidden_block_count_x
      - .offset:         3444
        .size:           4
        .value_kind:     hidden_block_count_y
      - .offset:         3448
        .size:           4
        .value_kind:     hidden_block_count_z
      - .offset:         3452
        .size:           2
        .value_kind:     hidden_group_size_x
      - .offset:         3454
        .size:           2
        .value_kind:     hidden_group_size_y
      - .offset:         3456
        .size:           2
        .value_kind:     hidden_group_size_z
      - .offset:         3458
        .size:           2
        .value_kind:     hidden_remainder_x
      - .offset:         3460
        .size:           2
        .value_kind:     hidden_remainder_y
      - .offset:         3462
        .size:           2
        .value_kind:     hidden_remainder_z
      - .offset:         3480
        .size:           8
        .value_kind:     hidden_global_offset_x
      - .offset:         3488
        .size:           8
        .value_kind:     hidden_global_offset_y
      - .offset:         3496
        .size:           8
        .value_kind:     hidden_global_offset_z
      - .offset:         3504
        .size:           2
        .value_kind:     hidden_grid_dims
    .group_segment_fixed_size: 0
    .kernarg_segment_align: 8
    .kernarg_segment_size: 3696
    .language:       OpenCL C
    .language_version:
      - 2
      - 0
    .max_flat_workgroup_size: 1024
    .name:           _ZN2at6native12_GLOBAL__N_126CatArrayBatchedCopy_contigINS1_10OpaqueTypeILj4EEEjLi4ELi64ELi64EEEvPT_NS1_25CatArrInputTensorMetadataIS5_T0_XT2_EXT3_EEENS1_16TensorSizeStrideIS8_Lj4EEEiS8_
    .private_segment_fixed_size: 0
    .sgpr_count:     26
    .sgpr_spill_count: 0
    .symbol:         _ZN2at6native12_GLOBAL__N_126CatArrayBatchedCopy_contigINS1_10OpaqueTypeILj4EEEjLi4ELi64ELi64EEEvPT_NS1_25CatArrInputTensorMetadataIS5_T0_XT2_EXT3_EEENS1_16TensorSizeStrideIS8_Lj4EEEiS8_.kd
    .uniform_work_group_size: 1
    .uses_dynamic_stack: false
    .vgpr_count:     13
    .vgpr_spill_count: 0
    .wavefront_size: 32
    .workgroup_processor_mode: 1
  - .args:
      - .address_space:  global
        .offset:         0
        .size:           8
        .value_kind:     global_buffer
      - .offset:         8
        .size:           3392
        .value_kind:     by_value
      - .offset:         3400
        .size:           32
        .value_kind:     by_value
      - .offset:         3432
        .size:           4
        .value_kind:     by_value
      - .offset:         3436
        .size:           4
        .value_kind:     by_value
      - .offset:         3440
        .size:           4
        .value_kind:     hidden_block_count_x
      - .offset:         3444
        .size:           4
        .value_kind:     hidden_block_count_y
      - .offset:         3448
        .size:           4
        .value_kind:     hidden_block_count_z
      - .offset:         3452
        .size:           2
        .value_kind:     hidden_group_size_x
      - .offset:         3454
        .size:           2
        .value_kind:     hidden_group_size_y
      - .offset:         3456
        .size:           2
        .value_kind:     hidden_group_size_z
      - .offset:         3458
        .size:           2
        .value_kind:     hidden_remainder_x
      - .offset:         3460
        .size:           2
        .value_kind:     hidden_remainder_y
      - .offset:         3462
        .size:           2
        .value_kind:     hidden_remainder_z
      - .offset:         3480
        .size:           8
        .value_kind:     hidden_global_offset_x
      - .offset:         3488
        .size:           8
        .value_kind:     hidden_global_offset_y
      - .offset:         3496
        .size:           8
        .value_kind:     hidden_global_offset_z
      - .offset:         3504
        .size:           2
        .value_kind:     hidden_grid_dims
    .group_segment_fixed_size: 0
    .kernarg_segment_align: 8
    .kernarg_segment_size: 3696
    .language:       OpenCL C
    .language_version:
      - 2
      - 0
    .max_flat_workgroup_size: 1024
    .name:           _ZN2at6native12_GLOBAL__N_119CatArrayBatchedCopyINS1_10OpaqueTypeILj4EEEjLi4ELi64ELi64EEEvPT_NS1_25CatArrInputTensorMetadataIS5_T0_XT2_EXT3_EEENS1_16TensorSizeStrideIS8_Lj4EEEiS8_
    .private_segment_fixed_size: 0
    .sgpr_count:     34
    .sgpr_spill_count: 0
    .symbol:         _ZN2at6native12_GLOBAL__N_119CatArrayBatchedCopyINS1_10OpaqueTypeILj4EEEjLi4ELi64ELi64EEEvPT_NS1_25CatArrInputTensorMetadataIS5_T0_XT2_EXT3_EEENS1_16TensorSizeStrideIS8_Lj4EEEiS8_.kd
    .uniform_work_group_size: 1
    .uses_dynamic_stack: false
    .vgpr_count:     15
    .vgpr_spill_count: 0
    .wavefront_size: 32
    .workgroup_processor_mode: 1
  - .args:
      - .address_space:  global
        .offset:         0
        .size:           8
        .value_kind:     global_buffer
      - .offset:         8
        .size:           3392
        .value_kind:     by_value
      - .offset:         3400
        .size:           32
        .value_kind:     by_value
      - .offset:         3432
        .size:           4
        .value_kind:     by_value
      - .offset:         3436
        .size:           4
        .value_kind:     by_value
      - .offset:         3440
        .size:           4
        .value_kind:     hidden_block_count_x
      - .offset:         3444
        .size:           4
        .value_kind:     hidden_block_count_y
      - .offset:         3448
        .size:           4
        .value_kind:     hidden_block_count_z
      - .offset:         3452
        .size:           2
        .value_kind:     hidden_group_size_x
      - .offset:         3454
        .size:           2
        .value_kind:     hidden_group_size_y
      - .offset:         3456
        .size:           2
        .value_kind:     hidden_group_size_z
      - .offset:         3458
        .size:           2
        .value_kind:     hidden_remainder_x
      - .offset:         3460
        .size:           2
        .value_kind:     hidden_remainder_y
      - .offset:         3462
        .size:           2
        .value_kind:     hidden_remainder_z
      - .offset:         3480
        .size:           8
        .value_kind:     hidden_global_offset_x
      - .offset:         3488
        .size:           8
        .value_kind:     hidden_global_offset_y
      - .offset:         3496
        .size:           8
        .value_kind:     hidden_global_offset_z
      - .offset:         3504
        .size:           2
        .value_kind:     hidden_grid_dims
    .group_segment_fixed_size: 0
    .kernarg_segment_align: 8
    .kernarg_segment_size: 3696
    .language:       OpenCL C
    .language_version:
      - 2
      - 0
    .max_flat_workgroup_size: 1024
    .name:           _ZN2at6native12_GLOBAL__N_130CatArrayBatchedCopy_vectorizedINS1_10OpaqueTypeILj8EEEjLi1ELi64ELi64ELi16ELi2EEEvPcNS1_25CatArrInputTensorMetadataIT_T0_XT2_EXT3_EEENS1_16TensorSizeStrideIS8_Lj4EEEiS8_
    .private_segment_fixed_size: 0
    .sgpr_count:     16
    .sgpr_spill_count: 0
    .symbol:         _ZN2at6native12_GLOBAL__N_130CatArrayBatchedCopy_vectorizedINS1_10OpaqueTypeILj8EEEjLi1ELi64ELi64ELi16ELi2EEEvPcNS1_25CatArrInputTensorMetadataIT_T0_XT2_EXT3_EEENS1_16TensorSizeStrideIS8_Lj4EEEiS8_.kd
    .uniform_work_group_size: 1
    .uses_dynamic_stack: false
    .vgpr_count:     10
    .vgpr_spill_count: 0
    .wavefront_size: 32
    .workgroup_processor_mode: 1
  - .args:
      - .address_space:  global
        .offset:         0
        .size:           8
        .value_kind:     global_buffer
      - .offset:         8
        .size:           3392
        .value_kind:     by_value
      - .offset:         3400
        .size:           32
        .value_kind:     by_value
      - .offset:         3432
        .size:           4
        .value_kind:     by_value
      - .offset:         3436
        .size:           4
        .value_kind:     by_value
      - .offset:         3440
        .size:           4
        .value_kind:     hidden_block_count_x
      - .offset:         3444
        .size:           4
        .value_kind:     hidden_block_count_y
      - .offset:         3448
        .size:           4
        .value_kind:     hidden_block_count_z
      - .offset:         3452
        .size:           2
        .value_kind:     hidden_group_size_x
      - .offset:         3454
        .size:           2
        .value_kind:     hidden_group_size_y
      - .offset:         3456
        .size:           2
        .value_kind:     hidden_group_size_z
      - .offset:         3458
        .size:           2
        .value_kind:     hidden_remainder_x
      - .offset:         3460
        .size:           2
        .value_kind:     hidden_remainder_y
      - .offset:         3462
        .size:           2
        .value_kind:     hidden_remainder_z
      - .offset:         3480
        .size:           8
        .value_kind:     hidden_global_offset_x
      - .offset:         3488
        .size:           8
        .value_kind:     hidden_global_offset_y
      - .offset:         3496
        .size:           8
        .value_kind:     hidden_global_offset_z
      - .offset:         3504
        .size:           2
        .value_kind:     hidden_grid_dims
    .group_segment_fixed_size: 0
    .kernarg_segment_align: 8
    .kernarg_segment_size: 3696
    .language:       OpenCL C
    .language_version:
      - 2
      - 0
    .max_flat_workgroup_size: 1024
    .name:           _ZN2at6native12_GLOBAL__N_135CatArrayBatchedCopy_alignedK_contigINS1_10OpaqueTypeILj8EEEjLi1ELi64ELi64ELi16EEEvPT_NS1_25CatArrInputTensorMetadataIS5_T0_XT2_EXT3_EEENS1_16TensorSizeStrideIS8_Lj4EEEiS8_
    .private_segment_fixed_size: 0
    .sgpr_count:     16
    .sgpr_spill_count: 0
    .symbol:         _ZN2at6native12_GLOBAL__N_135CatArrayBatchedCopy_alignedK_contigINS1_10OpaqueTypeILj8EEEjLi1ELi64ELi64ELi16EEEvPT_NS1_25CatArrInputTensorMetadataIS5_T0_XT2_EXT3_EEENS1_16TensorSizeStrideIS8_Lj4EEEiS8_.kd
    .uniform_work_group_size: 1
    .uses_dynamic_stack: false
    .vgpr_count:     13
    .vgpr_spill_count: 0
    .wavefront_size: 32
    .workgroup_processor_mode: 1
  - .args:
      - .address_space:  global
        .offset:         0
        .size:           8
        .value_kind:     global_buffer
      - .offset:         8
        .size:           3392
        .value_kind:     by_value
      - .offset:         3400
        .size:           32
        .value_kind:     by_value
      - .offset:         3432
        .size:           4
        .value_kind:     by_value
      - .offset:         3436
        .size:           4
        .value_kind:     by_value
      - .offset:         3440
        .size:           4
        .value_kind:     hidden_block_count_x
      - .offset:         3444
        .size:           4
        .value_kind:     hidden_block_count_y
      - .offset:         3448
        .size:           4
        .value_kind:     hidden_block_count_z
      - .offset:         3452
        .size:           2
        .value_kind:     hidden_group_size_x
      - .offset:         3454
        .size:           2
        .value_kind:     hidden_group_size_y
      - .offset:         3456
        .size:           2
        .value_kind:     hidden_group_size_z
      - .offset:         3458
        .size:           2
        .value_kind:     hidden_remainder_x
      - .offset:         3460
        .size:           2
        .value_kind:     hidden_remainder_y
      - .offset:         3462
        .size:           2
        .value_kind:     hidden_remainder_z
      - .offset:         3480
        .size:           8
        .value_kind:     hidden_global_offset_x
      - .offset:         3488
        .size:           8
        .value_kind:     hidden_global_offset_y
      - .offset:         3496
        .size:           8
        .value_kind:     hidden_global_offset_z
      - .offset:         3504
        .size:           2
        .value_kind:     hidden_grid_dims
    .group_segment_fixed_size: 0
    .kernarg_segment_align: 8
    .kernarg_segment_size: 3696
    .language:       OpenCL C
    .language_version:
      - 2
      - 0
    .max_flat_workgroup_size: 1024
    .name:           _ZN2at6native12_GLOBAL__N_135CatArrayBatchedCopy_alignedK_contigINS1_10OpaqueTypeILj8EEEjLi1ELi64ELi64ELi8EEEvPT_NS1_25CatArrInputTensorMetadataIS5_T0_XT2_EXT3_EEENS1_16TensorSizeStrideIS8_Lj4EEEiS8_
    .private_segment_fixed_size: 0
    .sgpr_count:     16
    .sgpr_spill_count: 0
    .symbol:         _ZN2at6native12_GLOBAL__N_135CatArrayBatchedCopy_alignedK_contigINS1_10OpaqueTypeILj8EEEjLi1ELi64ELi64ELi8EEEvPT_NS1_25CatArrInputTensorMetadataIS5_T0_XT2_EXT3_EEENS1_16TensorSizeStrideIS8_Lj4EEEiS8_.kd
    .uniform_work_group_size: 1
    .uses_dynamic_stack: false
    .vgpr_count:     10
    .vgpr_spill_count: 0
    .wavefront_size: 32
    .workgroup_processor_mode: 1
  - .args:
      - .address_space:  global
        .offset:         0
        .size:           8
        .value_kind:     global_buffer
      - .offset:         8
        .size:           3392
        .value_kind:     by_value
      - .offset:         3400
        .size:           32
        .value_kind:     by_value
      - .offset:         3432
        .size:           4
        .value_kind:     by_value
      - .offset:         3436
        .size:           4
        .value_kind:     by_value
      - .offset:         3440
        .size:           4
        .value_kind:     hidden_block_count_x
      - .offset:         3444
        .size:           4
        .value_kind:     hidden_block_count_y
      - .offset:         3448
        .size:           4
        .value_kind:     hidden_block_count_z
      - .offset:         3452
        .size:           2
        .value_kind:     hidden_group_size_x
      - .offset:         3454
        .size:           2
        .value_kind:     hidden_group_size_y
      - .offset:         3456
        .size:           2
        .value_kind:     hidden_group_size_z
      - .offset:         3458
        .size:           2
        .value_kind:     hidden_remainder_x
      - .offset:         3460
        .size:           2
        .value_kind:     hidden_remainder_y
      - .offset:         3462
        .size:           2
        .value_kind:     hidden_remainder_z
      - .offset:         3480
        .size:           8
        .value_kind:     hidden_global_offset_x
      - .offset:         3488
        .size:           8
        .value_kind:     hidden_global_offset_y
      - .offset:         3496
        .size:           8
        .value_kind:     hidden_global_offset_z
      - .offset:         3504
        .size:           2
        .value_kind:     hidden_grid_dims
    .group_segment_fixed_size: 0
    .kernarg_segment_align: 8
    .kernarg_segment_size: 3696
    .language:       OpenCL C
    .language_version:
      - 2
      - 0
    .max_flat_workgroup_size: 1024
    .name:           _ZN2at6native12_GLOBAL__N_126CatArrayBatchedCopy_contigINS1_10OpaqueTypeILj8EEEjLi1ELi64ELi64EEEvPT_NS1_25CatArrInputTensorMetadataIS5_T0_XT2_EXT3_EEENS1_16TensorSizeStrideIS8_Lj4EEEiS8_
    .private_segment_fixed_size: 0
    .sgpr_count:     17
    .sgpr_spill_count: 0
    .symbol:         _ZN2at6native12_GLOBAL__N_126CatArrayBatchedCopy_contigINS1_10OpaqueTypeILj8EEEjLi1ELi64ELi64EEEvPT_NS1_25CatArrInputTensorMetadataIS5_T0_XT2_EXT3_EEENS1_16TensorSizeStrideIS8_Lj4EEEiS8_.kd
    .uniform_work_group_size: 1
    .uses_dynamic_stack: false
    .vgpr_count:     8
    .vgpr_spill_count: 0
    .wavefront_size: 32
    .workgroup_processor_mode: 1
  - .args:
      - .address_space:  global
        .offset:         0
        .size:           8
        .value_kind:     global_buffer
      - .offset:         8
        .size:           3392
        .value_kind:     by_value
      - .offset:         3400
        .size:           32
        .value_kind:     by_value
      - .offset:         3432
        .size:           4
        .value_kind:     by_value
      - .offset:         3436
        .size:           4
        .value_kind:     by_value
      - .offset:         3440
        .size:           4
        .value_kind:     hidden_block_count_x
      - .offset:         3444
        .size:           4
        .value_kind:     hidden_block_count_y
      - .offset:         3448
        .size:           4
        .value_kind:     hidden_block_count_z
      - .offset:         3452
        .size:           2
        .value_kind:     hidden_group_size_x
      - .offset:         3454
        .size:           2
        .value_kind:     hidden_group_size_y
      - .offset:         3456
        .size:           2
        .value_kind:     hidden_group_size_z
      - .offset:         3458
        .size:           2
        .value_kind:     hidden_remainder_x
      - .offset:         3460
        .size:           2
        .value_kind:     hidden_remainder_y
      - .offset:         3462
        .size:           2
        .value_kind:     hidden_remainder_z
      - .offset:         3480
        .size:           8
        .value_kind:     hidden_global_offset_x
      - .offset:         3488
        .size:           8
        .value_kind:     hidden_global_offset_y
      - .offset:         3496
        .size:           8
        .value_kind:     hidden_global_offset_z
      - .offset:         3504
        .size:           2
        .value_kind:     hidden_grid_dims
    .group_segment_fixed_size: 0
    .kernarg_segment_align: 8
    .kernarg_segment_size: 3696
    .language:       OpenCL C
    .language_version:
      - 2
      - 0
    .max_flat_workgroup_size: 1024
    .name:           _ZN2at6native12_GLOBAL__N_119CatArrayBatchedCopyINS1_10OpaqueTypeILj8EEEjLi1ELi64ELi64EEEvPT_NS1_25CatArrInputTensorMetadataIS5_T0_XT2_EXT3_EEENS1_16TensorSizeStrideIS8_Lj4EEEiS8_
    .private_segment_fixed_size: 0
    .sgpr_count:     20
    .sgpr_spill_count: 0
    .symbol:         _ZN2at6native12_GLOBAL__N_119CatArrayBatchedCopyINS1_10OpaqueTypeILj8EEEjLi1ELi64ELi64EEEvPT_NS1_25CatArrInputTensorMetadataIS5_T0_XT2_EXT3_EEENS1_16TensorSizeStrideIS8_Lj4EEEiS8_.kd
    .uniform_work_group_size: 1
    .uses_dynamic_stack: false
    .vgpr_count:     9
    .vgpr_spill_count: 0
    .wavefront_size: 32
    .workgroup_processor_mode: 1
  - .args:
      - .address_space:  global
        .offset:         0
        .size:           8
        .value_kind:     global_buffer
      - .offset:         8
        .size:           3392
        .value_kind:     by_value
      - .offset:         3400
        .size:           32
        .value_kind:     by_value
      - .offset:         3432
        .size:           4
        .value_kind:     by_value
      - .offset:         3436
        .size:           4
        .value_kind:     by_value
      - .offset:         3440
        .size:           4
        .value_kind:     hidden_block_count_x
      - .offset:         3444
        .size:           4
        .value_kind:     hidden_block_count_y
      - .offset:         3448
        .size:           4
        .value_kind:     hidden_block_count_z
      - .offset:         3452
        .size:           2
        .value_kind:     hidden_group_size_x
      - .offset:         3454
        .size:           2
        .value_kind:     hidden_group_size_y
      - .offset:         3456
        .size:           2
        .value_kind:     hidden_group_size_z
      - .offset:         3458
        .size:           2
        .value_kind:     hidden_remainder_x
      - .offset:         3460
        .size:           2
        .value_kind:     hidden_remainder_y
      - .offset:         3462
        .size:           2
        .value_kind:     hidden_remainder_z
      - .offset:         3480
        .size:           8
        .value_kind:     hidden_global_offset_x
      - .offset:         3488
        .size:           8
        .value_kind:     hidden_global_offset_y
      - .offset:         3496
        .size:           8
        .value_kind:     hidden_global_offset_z
      - .offset:         3504
        .size:           2
        .value_kind:     hidden_grid_dims
    .group_segment_fixed_size: 0
    .kernarg_segment_align: 8
    .kernarg_segment_size: 3696
    .language:       OpenCL C
    .language_version:
      - 2
      - 0
    .max_flat_workgroup_size: 1024
    .name:           _ZN2at6native12_GLOBAL__N_130CatArrayBatchedCopy_vectorizedINS1_10OpaqueTypeILj8EEEjLi2ELi64ELi64ELi16ELi2EEEvPcNS1_25CatArrInputTensorMetadataIT_T0_XT2_EXT3_EEENS1_16TensorSizeStrideIS8_Lj4EEEiS8_
    .private_segment_fixed_size: 0
    .sgpr_count:     20
    .sgpr_spill_count: 0
    .symbol:         _ZN2at6native12_GLOBAL__N_130CatArrayBatchedCopy_vectorizedINS1_10OpaqueTypeILj8EEEjLi2ELi64ELi64ELi16ELi2EEEvPcNS1_25CatArrInputTensorMetadataIT_T0_XT2_EXT3_EEENS1_16TensorSizeStrideIS8_Lj4EEEiS8_.kd
    .uniform_work_group_size: 1
    .uses_dynamic_stack: false
    .vgpr_count:     12
    .vgpr_spill_count: 0
    .wavefront_size: 32
    .workgroup_processor_mode: 1
  - .args:
      - .address_space:  global
        .offset:         0
        .size:           8
        .value_kind:     global_buffer
      - .offset:         8
        .size:           3392
        .value_kind:     by_value
      - .offset:         3400
        .size:           32
        .value_kind:     by_value
      - .offset:         3432
        .size:           4
        .value_kind:     by_value
      - .offset:         3436
        .size:           4
        .value_kind:     by_value
      - .offset:         3440
        .size:           4
        .value_kind:     hidden_block_count_x
      - .offset:         3444
        .size:           4
        .value_kind:     hidden_block_count_y
      - .offset:         3448
        .size:           4
        .value_kind:     hidden_block_count_z
      - .offset:         3452
        .size:           2
        .value_kind:     hidden_group_size_x
      - .offset:         3454
        .size:           2
        .value_kind:     hidden_group_size_y
      - .offset:         3456
        .size:           2
        .value_kind:     hidden_group_size_z
      - .offset:         3458
        .size:           2
        .value_kind:     hidden_remainder_x
      - .offset:         3460
        .size:           2
        .value_kind:     hidden_remainder_y
      - .offset:         3462
        .size:           2
        .value_kind:     hidden_remainder_z
      - .offset:         3480
        .size:           8
        .value_kind:     hidden_global_offset_x
      - .offset:         3488
        .size:           8
        .value_kind:     hidden_global_offset_y
      - .offset:         3496
        .size:           8
        .value_kind:     hidden_global_offset_z
      - .offset:         3504
        .size:           2
        .value_kind:     hidden_grid_dims
    .group_segment_fixed_size: 0
    .kernarg_segment_align: 8
    .kernarg_segment_size: 3696
    .language:       OpenCL C
    .language_version:
      - 2
      - 0
    .max_flat_workgroup_size: 1024
    .name:           _ZN2at6native12_GLOBAL__N_135CatArrayBatchedCopy_alignedK_contigINS1_10OpaqueTypeILj8EEEjLi2ELi64ELi64ELi16EEEvPT_NS1_25CatArrInputTensorMetadataIS5_T0_XT2_EXT3_EEENS1_16TensorSizeStrideIS8_Lj4EEEiS8_
    .private_segment_fixed_size: 0
    .sgpr_count:     20
    .sgpr_spill_count: 0
    .symbol:         _ZN2at6native12_GLOBAL__N_135CatArrayBatchedCopy_alignedK_contigINS1_10OpaqueTypeILj8EEEjLi2ELi64ELi64ELi16EEEvPT_NS1_25CatArrInputTensorMetadataIS5_T0_XT2_EXT3_EEENS1_16TensorSizeStrideIS8_Lj4EEEiS8_.kd
    .uniform_work_group_size: 1
    .uses_dynamic_stack: false
    .vgpr_count:     20
    .vgpr_spill_count: 0
    .wavefront_size: 32
    .workgroup_processor_mode: 1
  - .args:
      - .address_space:  global
        .offset:         0
        .size:           8
        .value_kind:     global_buffer
      - .offset:         8
        .size:           3392
        .value_kind:     by_value
      - .offset:         3400
        .size:           32
        .value_kind:     by_value
      - .offset:         3432
        .size:           4
        .value_kind:     by_value
      - .offset:         3436
        .size:           4
        .value_kind:     by_value
      - .offset:         3440
        .size:           4
        .value_kind:     hidden_block_count_x
      - .offset:         3444
        .size:           4
        .value_kind:     hidden_block_count_y
      - .offset:         3448
        .size:           4
        .value_kind:     hidden_block_count_z
      - .offset:         3452
        .size:           2
        .value_kind:     hidden_group_size_x
      - .offset:         3454
        .size:           2
        .value_kind:     hidden_group_size_y
      - .offset:         3456
        .size:           2
        .value_kind:     hidden_group_size_z
      - .offset:         3458
        .size:           2
        .value_kind:     hidden_remainder_x
      - .offset:         3460
        .size:           2
        .value_kind:     hidden_remainder_y
      - .offset:         3462
        .size:           2
        .value_kind:     hidden_remainder_z
      - .offset:         3480
        .size:           8
        .value_kind:     hidden_global_offset_x
      - .offset:         3488
        .size:           8
        .value_kind:     hidden_global_offset_y
      - .offset:         3496
        .size:           8
        .value_kind:     hidden_global_offset_z
      - .offset:         3504
        .size:           2
        .value_kind:     hidden_grid_dims
    .group_segment_fixed_size: 0
    .kernarg_segment_align: 8
    .kernarg_segment_size: 3696
    .language:       OpenCL C
    .language_version:
      - 2
      - 0
    .max_flat_workgroup_size: 1024
    .name:           _ZN2at6native12_GLOBAL__N_135CatArrayBatchedCopy_alignedK_contigINS1_10OpaqueTypeILj8EEEjLi2ELi64ELi64ELi8EEEvPT_NS1_25CatArrInputTensorMetadataIS5_T0_XT2_EXT3_EEENS1_16TensorSizeStrideIS8_Lj4EEEiS8_
    .private_segment_fixed_size: 0
    .sgpr_count:     19
    .sgpr_spill_count: 0
    .symbol:         _ZN2at6native12_GLOBAL__N_135CatArrayBatchedCopy_alignedK_contigINS1_10OpaqueTypeILj8EEEjLi2ELi64ELi64ELi8EEEvPT_NS1_25CatArrInputTensorMetadataIS5_T0_XT2_EXT3_EEENS1_16TensorSizeStrideIS8_Lj4EEEiS8_.kd
    .uniform_work_group_size: 1
    .uses_dynamic_stack: false
    .vgpr_count:     13
    .vgpr_spill_count: 0
    .wavefront_size: 32
    .workgroup_processor_mode: 1
  - .args:
      - .address_space:  global
        .offset:         0
        .size:           8
        .value_kind:     global_buffer
      - .offset:         8
        .size:           3392
        .value_kind:     by_value
      - .offset:         3400
        .size:           32
        .value_kind:     by_value
      - .offset:         3432
        .size:           4
        .value_kind:     by_value
      - .offset:         3436
        .size:           4
        .value_kind:     by_value
      - .offset:         3440
        .size:           4
        .value_kind:     hidden_block_count_x
      - .offset:         3444
        .size:           4
        .value_kind:     hidden_block_count_y
      - .offset:         3448
        .size:           4
        .value_kind:     hidden_block_count_z
      - .offset:         3452
        .size:           2
        .value_kind:     hidden_group_size_x
      - .offset:         3454
        .size:           2
        .value_kind:     hidden_group_size_y
      - .offset:         3456
        .size:           2
        .value_kind:     hidden_group_size_z
      - .offset:         3458
        .size:           2
        .value_kind:     hidden_remainder_x
      - .offset:         3460
        .size:           2
        .value_kind:     hidden_remainder_y
      - .offset:         3462
        .size:           2
        .value_kind:     hidden_remainder_z
      - .offset:         3480
        .size:           8
        .value_kind:     hidden_global_offset_x
      - .offset:         3488
        .size:           8
        .value_kind:     hidden_global_offset_y
      - .offset:         3496
        .size:           8
        .value_kind:     hidden_global_offset_z
      - .offset:         3504
        .size:           2
        .value_kind:     hidden_grid_dims
    .group_segment_fixed_size: 0
    .kernarg_segment_align: 8
    .kernarg_segment_size: 3696
    .language:       OpenCL C
    .language_version:
      - 2
      - 0
    .max_flat_workgroup_size: 1024
    .name:           _ZN2at6native12_GLOBAL__N_126CatArrayBatchedCopy_contigINS1_10OpaqueTypeILj8EEEjLi2ELi64ELi64EEEvPT_NS1_25CatArrInputTensorMetadataIS5_T0_XT2_EXT3_EEENS1_16TensorSizeStrideIS8_Lj4EEEiS8_
    .private_segment_fixed_size: 0
    .sgpr_count:     19
    .sgpr_spill_count: 0
    .symbol:         _ZN2at6native12_GLOBAL__N_126CatArrayBatchedCopy_contigINS1_10OpaqueTypeILj8EEEjLi2ELi64ELi64EEEvPT_NS1_25CatArrInputTensorMetadataIS5_T0_XT2_EXT3_EEENS1_16TensorSizeStrideIS8_Lj4EEEiS8_.kd
    .uniform_work_group_size: 1
    .uses_dynamic_stack: false
    .vgpr_count:     10
    .vgpr_spill_count: 0
    .wavefront_size: 32
    .workgroup_processor_mode: 1
  - .args:
      - .address_space:  global
        .offset:         0
        .size:           8
        .value_kind:     global_buffer
      - .offset:         8
        .size:           3392
        .value_kind:     by_value
      - .offset:         3400
        .size:           32
        .value_kind:     by_value
      - .offset:         3432
        .size:           4
        .value_kind:     by_value
      - .offset:         3436
        .size:           4
        .value_kind:     by_value
      - .offset:         3440
        .size:           4
        .value_kind:     hidden_block_count_x
      - .offset:         3444
        .size:           4
        .value_kind:     hidden_block_count_y
      - .offset:         3448
        .size:           4
        .value_kind:     hidden_block_count_z
      - .offset:         3452
        .size:           2
        .value_kind:     hidden_group_size_x
      - .offset:         3454
        .size:           2
        .value_kind:     hidden_group_size_y
      - .offset:         3456
        .size:           2
        .value_kind:     hidden_group_size_z
      - .offset:         3458
        .size:           2
        .value_kind:     hidden_remainder_x
      - .offset:         3460
        .size:           2
        .value_kind:     hidden_remainder_y
      - .offset:         3462
        .size:           2
        .value_kind:     hidden_remainder_z
      - .offset:         3480
        .size:           8
        .value_kind:     hidden_global_offset_x
      - .offset:         3488
        .size:           8
        .value_kind:     hidden_global_offset_y
      - .offset:         3496
        .size:           8
        .value_kind:     hidden_global_offset_z
      - .offset:         3504
        .size:           2
        .value_kind:     hidden_grid_dims
    .group_segment_fixed_size: 0
    .kernarg_segment_align: 8
    .kernarg_segment_size: 3696
    .language:       OpenCL C
    .language_version:
      - 2
      - 0
    .max_flat_workgroup_size: 1024
    .name:           _ZN2at6native12_GLOBAL__N_119CatArrayBatchedCopyINS1_10OpaqueTypeILj8EEEjLi2ELi64ELi64EEEvPT_NS1_25CatArrInputTensorMetadataIS5_T0_XT2_EXT3_EEENS1_16TensorSizeStrideIS8_Lj4EEEiS8_
    .private_segment_fixed_size: 0
    .sgpr_count:     25
    .sgpr_spill_count: 0
    .symbol:         _ZN2at6native12_GLOBAL__N_119CatArrayBatchedCopyINS1_10OpaqueTypeILj8EEEjLi2ELi64ELi64EEEvPT_NS1_25CatArrInputTensorMetadataIS5_T0_XT2_EXT3_EEENS1_16TensorSizeStrideIS8_Lj4EEEiS8_.kd
    .uniform_work_group_size: 1
    .uses_dynamic_stack: false
    .vgpr_count:     11
    .vgpr_spill_count: 0
    .wavefront_size: 32
    .workgroup_processor_mode: 1
  - .args:
      - .address_space:  global
        .offset:         0
        .size:           8
        .value_kind:     global_buffer
      - .offset:         8
        .size:           3392
        .value_kind:     by_value
      - .offset:         3400
        .size:           32
        .value_kind:     by_value
      - .offset:         3432
        .size:           4
        .value_kind:     by_value
      - .offset:         3436
        .size:           4
        .value_kind:     by_value
      - .offset:         3440
        .size:           4
        .value_kind:     hidden_block_count_x
      - .offset:         3444
        .size:           4
        .value_kind:     hidden_block_count_y
      - .offset:         3448
        .size:           4
        .value_kind:     hidden_block_count_z
      - .offset:         3452
        .size:           2
        .value_kind:     hidden_group_size_x
      - .offset:         3454
        .size:           2
        .value_kind:     hidden_group_size_y
      - .offset:         3456
        .size:           2
        .value_kind:     hidden_group_size_z
      - .offset:         3458
        .size:           2
        .value_kind:     hidden_remainder_x
      - .offset:         3460
        .size:           2
        .value_kind:     hidden_remainder_y
      - .offset:         3462
        .size:           2
        .value_kind:     hidden_remainder_z
      - .offset:         3480
        .size:           8
        .value_kind:     hidden_global_offset_x
      - .offset:         3488
        .size:           8
        .value_kind:     hidden_global_offset_y
      - .offset:         3496
        .size:           8
        .value_kind:     hidden_global_offset_z
      - .offset:         3504
        .size:           2
        .value_kind:     hidden_grid_dims
    .group_segment_fixed_size: 0
    .kernarg_segment_align: 8
    .kernarg_segment_size: 3696
    .language:       OpenCL C
    .language_version:
      - 2
      - 0
    .max_flat_workgroup_size: 1024
    .name:           _ZN2at6native12_GLOBAL__N_130CatArrayBatchedCopy_vectorizedINS1_10OpaqueTypeILj8EEEjLi3ELi64ELi64ELi16ELi2EEEvPcNS1_25CatArrInputTensorMetadataIT_T0_XT2_EXT3_EEENS1_16TensorSizeStrideIS8_Lj4EEEiS8_
    .private_segment_fixed_size: 0
    .sgpr_count:     26
    .sgpr_spill_count: 0
    .symbol:         _ZN2at6native12_GLOBAL__N_130CatArrayBatchedCopy_vectorizedINS1_10OpaqueTypeILj8EEEjLi3ELi64ELi64ELi16ELi2EEEvPcNS1_25CatArrInputTensorMetadataIT_T0_XT2_EXT3_EEENS1_16TensorSizeStrideIS8_Lj4EEEiS8_.kd
    .uniform_work_group_size: 1
    .uses_dynamic_stack: false
    .vgpr_count:     13
    .vgpr_spill_count: 0
    .wavefront_size: 32
    .workgroup_processor_mode: 1
  - .args:
      - .address_space:  global
        .offset:         0
        .size:           8
        .value_kind:     global_buffer
      - .offset:         8
        .size:           3392
        .value_kind:     by_value
      - .offset:         3400
        .size:           32
        .value_kind:     by_value
      - .offset:         3432
        .size:           4
        .value_kind:     by_value
      - .offset:         3436
        .size:           4
        .value_kind:     by_value
      - .offset:         3440
        .size:           4
        .value_kind:     hidden_block_count_x
      - .offset:         3444
        .size:           4
        .value_kind:     hidden_block_count_y
      - .offset:         3448
        .size:           4
        .value_kind:     hidden_block_count_z
      - .offset:         3452
        .size:           2
        .value_kind:     hidden_group_size_x
      - .offset:         3454
        .size:           2
        .value_kind:     hidden_group_size_y
      - .offset:         3456
        .size:           2
        .value_kind:     hidden_group_size_z
      - .offset:         3458
        .size:           2
        .value_kind:     hidden_remainder_x
      - .offset:         3460
        .size:           2
        .value_kind:     hidden_remainder_y
      - .offset:         3462
        .size:           2
        .value_kind:     hidden_remainder_z
      - .offset:         3480
        .size:           8
        .value_kind:     hidden_global_offset_x
      - .offset:         3488
        .size:           8
        .value_kind:     hidden_global_offset_y
      - .offset:         3496
        .size:           8
        .value_kind:     hidden_global_offset_z
      - .offset:         3504
        .size:           2
        .value_kind:     hidden_grid_dims
    .group_segment_fixed_size: 0
    .kernarg_segment_align: 8
    .kernarg_segment_size: 3696
    .language:       OpenCL C
    .language_version:
      - 2
      - 0
    .max_flat_workgroup_size: 1024
    .name:           _ZN2at6native12_GLOBAL__N_135CatArrayBatchedCopy_alignedK_contigINS1_10OpaqueTypeILj8EEEjLi3ELi64ELi64ELi16EEEvPT_NS1_25CatArrInputTensorMetadataIS5_T0_XT2_EXT3_EEENS1_16TensorSizeStrideIS8_Lj4EEEiS8_
    .private_segment_fixed_size: 0
    .sgpr_count:     24
    .sgpr_spill_count: 0
    .symbol:         _ZN2at6native12_GLOBAL__N_135CatArrayBatchedCopy_alignedK_contigINS1_10OpaqueTypeILj8EEEjLi3ELi64ELi64ELi16EEEvPT_NS1_25CatArrInputTensorMetadataIS5_T0_XT2_EXT3_EEENS1_16TensorSizeStrideIS8_Lj4EEEiS8_.kd
    .uniform_work_group_size: 1
    .uses_dynamic_stack: false
    .vgpr_count:     22
    .vgpr_spill_count: 0
    .wavefront_size: 32
    .workgroup_processor_mode: 1
  - .args:
      - .address_space:  global
        .offset:         0
        .size:           8
        .value_kind:     global_buffer
      - .offset:         8
        .size:           3392
        .value_kind:     by_value
      - .offset:         3400
        .size:           32
        .value_kind:     by_value
      - .offset:         3432
        .size:           4
        .value_kind:     by_value
      - .offset:         3436
        .size:           4
        .value_kind:     by_value
      - .offset:         3440
        .size:           4
        .value_kind:     hidden_block_count_x
      - .offset:         3444
        .size:           4
        .value_kind:     hidden_block_count_y
      - .offset:         3448
        .size:           4
        .value_kind:     hidden_block_count_z
      - .offset:         3452
        .size:           2
        .value_kind:     hidden_group_size_x
      - .offset:         3454
        .size:           2
        .value_kind:     hidden_group_size_y
      - .offset:         3456
        .size:           2
        .value_kind:     hidden_group_size_z
      - .offset:         3458
        .size:           2
        .value_kind:     hidden_remainder_x
      - .offset:         3460
        .size:           2
        .value_kind:     hidden_remainder_y
      - .offset:         3462
        .size:           2
        .value_kind:     hidden_remainder_z
      - .offset:         3480
        .size:           8
        .value_kind:     hidden_global_offset_x
      - .offset:         3488
        .size:           8
        .value_kind:     hidden_global_offset_y
      - .offset:         3496
        .size:           8
        .value_kind:     hidden_global_offset_z
      - .offset:         3504
        .size:           2
        .value_kind:     hidden_grid_dims
    .group_segment_fixed_size: 0
    .kernarg_segment_align: 8
    .kernarg_segment_size: 3696
    .language:       OpenCL C
    .language_version:
      - 2
      - 0
    .max_flat_workgroup_size: 1024
    .name:           _ZN2at6native12_GLOBAL__N_135CatArrayBatchedCopy_alignedK_contigINS1_10OpaqueTypeILj8EEEjLi3ELi64ELi64ELi8EEEvPT_NS1_25CatArrInputTensorMetadataIS5_T0_XT2_EXT3_EEENS1_16TensorSizeStrideIS8_Lj4EEEiS8_
    .private_segment_fixed_size: 0
    .sgpr_count:     22
    .sgpr_spill_count: 0
    .symbol:         _ZN2at6native12_GLOBAL__N_135CatArrayBatchedCopy_alignedK_contigINS1_10OpaqueTypeILj8EEEjLi3ELi64ELi64ELi8EEEvPT_NS1_25CatArrInputTensorMetadataIS5_T0_XT2_EXT3_EEENS1_16TensorSizeStrideIS8_Lj4EEEiS8_.kd
    .uniform_work_group_size: 1
    .uses_dynamic_stack: false
    .vgpr_count:     16
    .vgpr_spill_count: 0
    .wavefront_size: 32
    .workgroup_processor_mode: 1
  - .args:
      - .address_space:  global
        .offset:         0
        .size:           8
        .value_kind:     global_buffer
      - .offset:         8
        .size:           3392
        .value_kind:     by_value
      - .offset:         3400
        .size:           32
        .value_kind:     by_value
      - .offset:         3432
        .size:           4
        .value_kind:     by_value
      - .offset:         3436
        .size:           4
        .value_kind:     by_value
      - .offset:         3440
        .size:           4
        .value_kind:     hidden_block_count_x
      - .offset:         3444
        .size:           4
        .value_kind:     hidden_block_count_y
      - .offset:         3448
        .size:           4
        .value_kind:     hidden_block_count_z
      - .offset:         3452
        .size:           2
        .value_kind:     hidden_group_size_x
      - .offset:         3454
        .size:           2
        .value_kind:     hidden_group_size_y
      - .offset:         3456
        .size:           2
        .value_kind:     hidden_group_size_z
      - .offset:         3458
        .size:           2
        .value_kind:     hidden_remainder_x
      - .offset:         3460
        .size:           2
        .value_kind:     hidden_remainder_y
      - .offset:         3462
        .size:           2
        .value_kind:     hidden_remainder_z
      - .offset:         3480
        .size:           8
        .value_kind:     hidden_global_offset_x
      - .offset:         3488
        .size:           8
        .value_kind:     hidden_global_offset_y
      - .offset:         3496
        .size:           8
        .value_kind:     hidden_global_offset_z
      - .offset:         3504
        .size:           2
        .value_kind:     hidden_grid_dims
    .group_segment_fixed_size: 0
    .kernarg_segment_align: 8
    .kernarg_segment_size: 3696
    .language:       OpenCL C
    .language_version:
      - 2
      - 0
    .max_flat_workgroup_size: 1024
    .name:           _ZN2at6native12_GLOBAL__N_126CatArrayBatchedCopy_contigINS1_10OpaqueTypeILj8EEEjLi3ELi64ELi64EEEvPT_NS1_25CatArrInputTensorMetadataIS5_T0_XT2_EXT3_EEENS1_16TensorSizeStrideIS8_Lj4EEEiS8_
    .private_segment_fixed_size: 0
    .sgpr_count:     24
    .sgpr_spill_count: 0
    .symbol:         _ZN2at6native12_GLOBAL__N_126CatArrayBatchedCopy_contigINS1_10OpaqueTypeILj8EEEjLi3ELi64ELi64EEEvPT_NS1_25CatArrInputTensorMetadataIS5_T0_XT2_EXT3_EEENS1_16TensorSizeStrideIS8_Lj4EEEiS8_.kd
    .uniform_work_group_size: 1
    .uses_dynamic_stack: false
    .vgpr_count:     12
    .vgpr_spill_count: 0
    .wavefront_size: 32
    .workgroup_processor_mode: 1
  - .args:
      - .address_space:  global
        .offset:         0
        .size:           8
        .value_kind:     global_buffer
      - .offset:         8
        .size:           3392
        .value_kind:     by_value
      - .offset:         3400
        .size:           32
        .value_kind:     by_value
      - .offset:         3432
        .size:           4
        .value_kind:     by_value
      - .offset:         3436
        .size:           4
        .value_kind:     by_value
      - .offset:         3440
        .size:           4
        .value_kind:     hidden_block_count_x
      - .offset:         3444
        .size:           4
        .value_kind:     hidden_block_count_y
      - .offset:         3448
        .size:           4
        .value_kind:     hidden_block_count_z
      - .offset:         3452
        .size:           2
        .value_kind:     hidden_group_size_x
      - .offset:         3454
        .size:           2
        .value_kind:     hidden_group_size_y
      - .offset:         3456
        .size:           2
        .value_kind:     hidden_group_size_z
      - .offset:         3458
        .size:           2
        .value_kind:     hidden_remainder_x
      - .offset:         3460
        .size:           2
        .value_kind:     hidden_remainder_y
      - .offset:         3462
        .size:           2
        .value_kind:     hidden_remainder_z
      - .offset:         3480
        .size:           8
        .value_kind:     hidden_global_offset_x
      - .offset:         3488
        .size:           8
        .value_kind:     hidden_global_offset_y
      - .offset:         3496
        .size:           8
        .value_kind:     hidden_global_offset_z
      - .offset:         3504
        .size:           2
        .value_kind:     hidden_grid_dims
    .group_segment_fixed_size: 0
    .kernarg_segment_align: 8
    .kernarg_segment_size: 3696
    .language:       OpenCL C
    .language_version:
      - 2
      - 0
    .max_flat_workgroup_size: 1024
    .name:           _ZN2at6native12_GLOBAL__N_119CatArrayBatchedCopyINS1_10OpaqueTypeILj8EEEjLi3ELi64ELi64EEEvPT_NS1_25CatArrInputTensorMetadataIS5_T0_XT2_EXT3_EEENS1_16TensorSizeStrideIS8_Lj4EEEiS8_
    .private_segment_fixed_size: 0
    .sgpr_count:     30
    .sgpr_spill_count: 0
    .symbol:         _ZN2at6native12_GLOBAL__N_119CatArrayBatchedCopyINS1_10OpaqueTypeILj8EEEjLi3ELi64ELi64EEEvPT_NS1_25CatArrInputTensorMetadataIS5_T0_XT2_EXT3_EEENS1_16TensorSizeStrideIS8_Lj4EEEiS8_.kd
    .uniform_work_group_size: 1
    .uses_dynamic_stack: false
    .vgpr_count:     13
    .vgpr_spill_count: 0
    .wavefront_size: 32
    .workgroup_processor_mode: 1
  - .args:
      - .address_space:  global
        .offset:         0
        .size:           8
        .value_kind:     global_buffer
      - .offset:         8
        .size:           3392
        .value_kind:     by_value
      - .offset:         3400
        .size:           32
        .value_kind:     by_value
      - .offset:         3432
        .size:           4
        .value_kind:     by_value
      - .offset:         3436
        .size:           4
        .value_kind:     by_value
      - .offset:         3440
        .size:           4
        .value_kind:     hidden_block_count_x
      - .offset:         3444
        .size:           4
        .value_kind:     hidden_block_count_y
      - .offset:         3448
        .size:           4
        .value_kind:     hidden_block_count_z
      - .offset:         3452
        .size:           2
        .value_kind:     hidden_group_size_x
      - .offset:         3454
        .size:           2
        .value_kind:     hidden_group_size_y
      - .offset:         3456
        .size:           2
        .value_kind:     hidden_group_size_z
      - .offset:         3458
        .size:           2
        .value_kind:     hidden_remainder_x
      - .offset:         3460
        .size:           2
        .value_kind:     hidden_remainder_y
      - .offset:         3462
        .size:           2
        .value_kind:     hidden_remainder_z
      - .offset:         3480
        .size:           8
        .value_kind:     hidden_global_offset_x
      - .offset:         3488
        .size:           8
        .value_kind:     hidden_global_offset_y
      - .offset:         3496
        .size:           8
        .value_kind:     hidden_global_offset_z
      - .offset:         3504
        .size:           2
        .value_kind:     hidden_grid_dims
    .group_segment_fixed_size: 0
    .kernarg_segment_align: 8
    .kernarg_segment_size: 3696
    .language:       OpenCL C
    .language_version:
      - 2
      - 0
    .max_flat_workgroup_size: 1024
    .name:           _ZN2at6native12_GLOBAL__N_130CatArrayBatchedCopy_vectorizedINS1_10OpaqueTypeILj8EEEjLi4ELi64ELi64ELi16ELi2EEEvPcNS1_25CatArrInputTensorMetadataIT_T0_XT2_EXT3_EEENS1_16TensorSizeStrideIS8_Lj4EEEiS8_
    .private_segment_fixed_size: 0
    .sgpr_count:     26
    .sgpr_spill_count: 0
    .symbol:         _ZN2at6native12_GLOBAL__N_130CatArrayBatchedCopy_vectorizedINS1_10OpaqueTypeILj8EEEjLi4ELi64ELi64ELi16ELi2EEEvPcNS1_25CatArrInputTensorMetadataIT_T0_XT2_EXT3_EEENS1_16TensorSizeStrideIS8_Lj4EEEiS8_.kd
    .uniform_work_group_size: 1
    .uses_dynamic_stack: false
    .vgpr_count:     16
    .vgpr_spill_count: 0
    .wavefront_size: 32
    .workgroup_processor_mode: 1
  - .args:
      - .address_space:  global
        .offset:         0
        .size:           8
        .value_kind:     global_buffer
      - .offset:         8
        .size:           3392
        .value_kind:     by_value
      - .offset:         3400
        .size:           32
        .value_kind:     by_value
      - .offset:         3432
        .size:           4
        .value_kind:     by_value
      - .offset:         3436
        .size:           4
        .value_kind:     by_value
      - .offset:         3440
        .size:           4
        .value_kind:     hidden_block_count_x
      - .offset:         3444
        .size:           4
        .value_kind:     hidden_block_count_y
      - .offset:         3448
        .size:           4
        .value_kind:     hidden_block_count_z
      - .offset:         3452
        .size:           2
        .value_kind:     hidden_group_size_x
      - .offset:         3454
        .size:           2
        .value_kind:     hidden_group_size_y
      - .offset:         3456
        .size:           2
        .value_kind:     hidden_group_size_z
      - .offset:         3458
        .size:           2
        .value_kind:     hidden_remainder_x
      - .offset:         3460
        .size:           2
        .value_kind:     hidden_remainder_y
      - .offset:         3462
        .size:           2
        .value_kind:     hidden_remainder_z
      - .offset:         3480
        .size:           8
        .value_kind:     hidden_global_offset_x
      - .offset:         3488
        .size:           8
        .value_kind:     hidden_global_offset_y
      - .offset:         3496
        .size:           8
        .value_kind:     hidden_global_offset_z
      - .offset:         3504
        .size:           2
        .value_kind:     hidden_grid_dims
    .group_segment_fixed_size: 0
    .kernarg_segment_align: 8
    .kernarg_segment_size: 3696
    .language:       OpenCL C
    .language_version:
      - 2
      - 0
    .max_flat_workgroup_size: 1024
    .name:           _ZN2at6native12_GLOBAL__N_135CatArrayBatchedCopy_alignedK_contigINS1_10OpaqueTypeILj8EEEjLi4ELi64ELi64ELi16EEEvPT_NS1_25CatArrInputTensorMetadataIS5_T0_XT2_EXT3_EEENS1_16TensorSizeStrideIS8_Lj4EEEiS8_
    .private_segment_fixed_size: 0
    .sgpr_count:     26
    .sgpr_spill_count: 0
    .symbol:         _ZN2at6native12_GLOBAL__N_135CatArrayBatchedCopy_alignedK_contigINS1_10OpaqueTypeILj8EEEjLi4ELi64ELi64ELi16EEEvPT_NS1_25CatArrInputTensorMetadataIS5_T0_XT2_EXT3_EEENS1_16TensorSizeStrideIS8_Lj4EEEiS8_.kd
    .uniform_work_group_size: 1
    .uses_dynamic_stack: false
    .vgpr_count:     25
    .vgpr_spill_count: 0
    .wavefront_size: 32
    .workgroup_processor_mode: 1
  - .args:
      - .address_space:  global
        .offset:         0
        .size:           8
        .value_kind:     global_buffer
      - .offset:         8
        .size:           3392
        .value_kind:     by_value
      - .offset:         3400
        .size:           32
        .value_kind:     by_value
      - .offset:         3432
        .size:           4
        .value_kind:     by_value
      - .offset:         3436
        .size:           4
        .value_kind:     by_value
      - .offset:         3440
        .size:           4
        .value_kind:     hidden_block_count_x
      - .offset:         3444
        .size:           4
        .value_kind:     hidden_block_count_y
      - .offset:         3448
        .size:           4
        .value_kind:     hidden_block_count_z
      - .offset:         3452
        .size:           2
        .value_kind:     hidden_group_size_x
      - .offset:         3454
        .size:           2
        .value_kind:     hidden_group_size_y
      - .offset:         3456
        .size:           2
        .value_kind:     hidden_group_size_z
      - .offset:         3458
        .size:           2
        .value_kind:     hidden_remainder_x
      - .offset:         3460
        .size:           2
        .value_kind:     hidden_remainder_y
      - .offset:         3462
        .size:           2
        .value_kind:     hidden_remainder_z
      - .offset:         3480
        .size:           8
        .value_kind:     hidden_global_offset_x
      - .offset:         3488
        .size:           8
        .value_kind:     hidden_global_offset_y
      - .offset:         3496
        .size:           8
        .value_kind:     hidden_global_offset_z
      - .offset:         3504
        .size:           2
        .value_kind:     hidden_grid_dims
    .group_segment_fixed_size: 0
    .kernarg_segment_align: 8
    .kernarg_segment_size: 3696
    .language:       OpenCL C
    .language_version:
      - 2
      - 0
    .max_flat_workgroup_size: 1024
    .name:           _ZN2at6native12_GLOBAL__N_135CatArrayBatchedCopy_alignedK_contigINS1_10OpaqueTypeILj8EEEjLi4ELi64ELi64ELi8EEEvPT_NS1_25CatArrInputTensorMetadataIS5_T0_XT2_EXT3_EEENS1_16TensorSizeStrideIS8_Lj4EEEiS8_
    .private_segment_fixed_size: 0
    .sgpr_count:     22
    .sgpr_spill_count: 0
    .symbol:         _ZN2at6native12_GLOBAL__N_135CatArrayBatchedCopy_alignedK_contigINS1_10OpaqueTypeILj8EEEjLi4ELi64ELi64ELi8EEEvPT_NS1_25CatArrInputTensorMetadataIS5_T0_XT2_EXT3_EEENS1_16TensorSizeStrideIS8_Lj4EEEiS8_.kd
    .uniform_work_group_size: 1
    .uses_dynamic_stack: false
    .vgpr_count:     18
    .vgpr_spill_count: 0
    .wavefront_size: 32
    .workgroup_processor_mode: 1
  - .args:
      - .address_space:  global
        .offset:         0
        .size:           8
        .value_kind:     global_buffer
      - .offset:         8
        .size:           3392
        .value_kind:     by_value
      - .offset:         3400
        .size:           32
        .value_kind:     by_value
      - .offset:         3432
        .size:           4
        .value_kind:     by_value
      - .offset:         3436
        .size:           4
        .value_kind:     by_value
      - .offset:         3440
        .size:           4
        .value_kind:     hidden_block_count_x
      - .offset:         3444
        .size:           4
        .value_kind:     hidden_block_count_y
      - .offset:         3448
        .size:           4
        .value_kind:     hidden_block_count_z
      - .offset:         3452
        .size:           2
        .value_kind:     hidden_group_size_x
      - .offset:         3454
        .size:           2
        .value_kind:     hidden_group_size_y
      - .offset:         3456
        .size:           2
        .value_kind:     hidden_group_size_z
      - .offset:         3458
        .size:           2
        .value_kind:     hidden_remainder_x
      - .offset:         3460
        .size:           2
        .value_kind:     hidden_remainder_y
      - .offset:         3462
        .size:           2
        .value_kind:     hidden_remainder_z
      - .offset:         3480
        .size:           8
        .value_kind:     hidden_global_offset_x
      - .offset:         3488
        .size:           8
        .value_kind:     hidden_global_offset_y
      - .offset:         3496
        .size:           8
        .value_kind:     hidden_global_offset_z
      - .offset:         3504
        .size:           2
        .value_kind:     hidden_grid_dims
    .group_segment_fixed_size: 0
    .kernarg_segment_align: 8
    .kernarg_segment_size: 3696
    .language:       OpenCL C
    .language_version:
      - 2
      - 0
    .max_flat_workgroup_size: 1024
    .name:           _ZN2at6native12_GLOBAL__N_126CatArrayBatchedCopy_contigINS1_10OpaqueTypeILj8EEEjLi4ELi64ELi64EEEvPT_NS1_25CatArrInputTensorMetadataIS5_T0_XT2_EXT3_EEENS1_16TensorSizeStrideIS8_Lj4EEEiS8_
    .private_segment_fixed_size: 0
    .sgpr_count:     26
    .sgpr_spill_count: 0
    .symbol:         _ZN2at6native12_GLOBAL__N_126CatArrayBatchedCopy_contigINS1_10OpaqueTypeILj8EEEjLi4ELi64ELi64EEEvPT_NS1_25CatArrInputTensorMetadataIS5_T0_XT2_EXT3_EEENS1_16TensorSizeStrideIS8_Lj4EEEiS8_.kd
    .uniform_work_group_size: 1
    .uses_dynamic_stack: false
    .vgpr_count:     14
    .vgpr_spill_count: 0
    .wavefront_size: 32
    .workgroup_processor_mode: 1
  - .args:
      - .address_space:  global
        .offset:         0
        .size:           8
        .value_kind:     global_buffer
      - .offset:         8
        .size:           3392
        .value_kind:     by_value
      - .offset:         3400
        .size:           32
        .value_kind:     by_value
      - .offset:         3432
        .size:           4
        .value_kind:     by_value
      - .offset:         3436
        .size:           4
        .value_kind:     by_value
      - .offset:         3440
        .size:           4
        .value_kind:     hidden_block_count_x
      - .offset:         3444
        .size:           4
        .value_kind:     hidden_block_count_y
      - .offset:         3448
        .size:           4
        .value_kind:     hidden_block_count_z
      - .offset:         3452
        .size:           2
        .value_kind:     hidden_group_size_x
      - .offset:         3454
        .size:           2
        .value_kind:     hidden_group_size_y
      - .offset:         3456
        .size:           2
        .value_kind:     hidden_group_size_z
      - .offset:         3458
        .size:           2
        .value_kind:     hidden_remainder_x
      - .offset:         3460
        .size:           2
        .value_kind:     hidden_remainder_y
      - .offset:         3462
        .size:           2
        .value_kind:     hidden_remainder_z
      - .offset:         3480
        .size:           8
        .value_kind:     hidden_global_offset_x
      - .offset:         3488
        .size:           8
        .value_kind:     hidden_global_offset_y
      - .offset:         3496
        .size:           8
        .value_kind:     hidden_global_offset_z
      - .offset:         3504
        .size:           2
        .value_kind:     hidden_grid_dims
    .group_segment_fixed_size: 0
    .kernarg_segment_align: 8
    .kernarg_segment_size: 3696
    .language:       OpenCL C
    .language_version:
      - 2
      - 0
    .max_flat_workgroup_size: 1024
    .name:           _ZN2at6native12_GLOBAL__N_119CatArrayBatchedCopyINS1_10OpaqueTypeILj8EEEjLi4ELi64ELi64EEEvPT_NS1_25CatArrInputTensorMetadataIS5_T0_XT2_EXT3_EEENS1_16TensorSizeStrideIS8_Lj4EEEiS8_
    .private_segment_fixed_size: 0
    .sgpr_count:     34
    .sgpr_spill_count: 0
    .symbol:         _ZN2at6native12_GLOBAL__N_119CatArrayBatchedCopyINS1_10OpaqueTypeILj8EEEjLi4ELi64ELi64EEEvPT_NS1_25CatArrInputTensorMetadataIS5_T0_XT2_EXT3_EEENS1_16TensorSizeStrideIS8_Lj4EEEiS8_.kd
    .uniform_work_group_size: 1
    .uses_dynamic_stack: false
    .vgpr_count:     16
    .vgpr_spill_count: 0
    .wavefront_size: 32
    .workgroup_processor_mode: 1
  - .args:
      - .address_space:  global
        .offset:         0
        .size:           8
        .value_kind:     global_buffer
      - .offset:         8
        .size:           3392
        .value_kind:     by_value
      - .offset:         3400
        .size:           32
        .value_kind:     by_value
      - .offset:         3432
        .size:           4
        .value_kind:     by_value
      - .offset:         3436
        .size:           4
        .value_kind:     by_value
      - .offset:         3440
        .size:           4
        .value_kind:     hidden_block_count_x
      - .offset:         3444
        .size:           4
        .value_kind:     hidden_block_count_y
      - .offset:         3448
        .size:           4
        .value_kind:     hidden_block_count_z
      - .offset:         3452
        .size:           2
        .value_kind:     hidden_group_size_x
      - .offset:         3454
        .size:           2
        .value_kind:     hidden_group_size_y
      - .offset:         3456
        .size:           2
        .value_kind:     hidden_group_size_z
      - .offset:         3458
        .size:           2
        .value_kind:     hidden_remainder_x
      - .offset:         3460
        .size:           2
        .value_kind:     hidden_remainder_y
      - .offset:         3462
        .size:           2
        .value_kind:     hidden_remainder_z
      - .offset:         3480
        .size:           8
        .value_kind:     hidden_global_offset_x
      - .offset:         3488
        .size:           8
        .value_kind:     hidden_global_offset_y
      - .offset:         3496
        .size:           8
        .value_kind:     hidden_global_offset_z
      - .offset:         3504
        .size:           2
        .value_kind:     hidden_grid_dims
    .group_segment_fixed_size: 0
    .kernarg_segment_align: 8
    .kernarg_segment_size: 3696
    .language:       OpenCL C
    .language_version:
      - 2
      - 0
    .max_flat_workgroup_size: 1024
    .name:           _ZN2at6native12_GLOBAL__N_130CatArrayBatchedCopy_vectorizedINS1_10OpaqueTypeILj16EEEjLi1ELi64ELi64ELi16ELi1EEEvPcNS1_25CatArrInputTensorMetadataIT_T0_XT2_EXT3_EEENS1_16TensorSizeStrideIS8_Lj4EEEiS8_
    .private_segment_fixed_size: 0
    .sgpr_count:     18
    .sgpr_spill_count: 0
    .symbol:         _ZN2at6native12_GLOBAL__N_130CatArrayBatchedCopy_vectorizedINS1_10OpaqueTypeILj16EEEjLi1ELi64ELi64ELi16ELi1EEEvPcNS1_25CatArrInputTensorMetadataIT_T0_XT2_EXT3_EEENS1_16TensorSizeStrideIS8_Lj4EEEiS8_.kd
    .uniform_work_group_size: 1
    .uses_dynamic_stack: false
    .vgpr_count:     10
    .vgpr_spill_count: 0
    .wavefront_size: 32
    .workgroup_processor_mode: 1
  - .args:
      - .address_space:  global
        .offset:         0
        .size:           8
        .value_kind:     global_buffer
      - .offset:         8
        .size:           3392
        .value_kind:     by_value
      - .offset:         3400
        .size:           32
        .value_kind:     by_value
      - .offset:         3432
        .size:           4
        .value_kind:     by_value
      - .offset:         3436
        .size:           4
        .value_kind:     by_value
      - .offset:         3440
        .size:           4
        .value_kind:     hidden_block_count_x
      - .offset:         3444
        .size:           4
        .value_kind:     hidden_block_count_y
      - .offset:         3448
        .size:           4
        .value_kind:     hidden_block_count_z
      - .offset:         3452
        .size:           2
        .value_kind:     hidden_group_size_x
      - .offset:         3454
        .size:           2
        .value_kind:     hidden_group_size_y
      - .offset:         3456
        .size:           2
        .value_kind:     hidden_group_size_z
      - .offset:         3458
        .size:           2
        .value_kind:     hidden_remainder_x
      - .offset:         3460
        .size:           2
        .value_kind:     hidden_remainder_y
      - .offset:         3462
        .size:           2
        .value_kind:     hidden_remainder_z
      - .offset:         3480
        .size:           8
        .value_kind:     hidden_global_offset_x
      - .offset:         3488
        .size:           8
        .value_kind:     hidden_global_offset_y
      - .offset:         3496
        .size:           8
        .value_kind:     hidden_global_offset_z
      - .offset:         3504
        .size:           2
        .value_kind:     hidden_grid_dims
    .group_segment_fixed_size: 0
    .kernarg_segment_align: 8
    .kernarg_segment_size: 3696
    .language:       OpenCL C
    .language_version:
      - 2
      - 0
    .max_flat_workgroup_size: 1024
    .name:           _ZN2at6native12_GLOBAL__N_135CatArrayBatchedCopy_alignedK_contigINS1_10OpaqueTypeILj16EEEjLi1ELi64ELi64ELi16EEEvPT_NS1_25CatArrInputTensorMetadataIS5_T0_XT2_EXT3_EEENS1_16TensorSizeStrideIS8_Lj4EEEiS8_
    .private_segment_fixed_size: 0
    .sgpr_count:     16
    .sgpr_spill_count: 0
    .symbol:         _ZN2at6native12_GLOBAL__N_135CatArrayBatchedCopy_alignedK_contigINS1_10OpaqueTypeILj16EEEjLi1ELi64ELi64ELi16EEEvPT_NS1_25CatArrInputTensorMetadataIS5_T0_XT2_EXT3_EEENS1_16TensorSizeStrideIS8_Lj4EEEiS8_.kd
    .uniform_work_group_size: 1
    .uses_dynamic_stack: false
    .vgpr_count:     12
    .vgpr_spill_count: 0
    .wavefront_size: 32
    .workgroup_processor_mode: 1
  - .args:
      - .address_space:  global
        .offset:         0
        .size:           8
        .value_kind:     global_buffer
      - .offset:         8
        .size:           3392
        .value_kind:     by_value
      - .offset:         3400
        .size:           32
        .value_kind:     by_value
      - .offset:         3432
        .size:           4
        .value_kind:     by_value
      - .offset:         3436
        .size:           4
        .value_kind:     by_value
      - .offset:         3440
        .size:           4
        .value_kind:     hidden_block_count_x
      - .offset:         3444
        .size:           4
        .value_kind:     hidden_block_count_y
      - .offset:         3448
        .size:           4
        .value_kind:     hidden_block_count_z
      - .offset:         3452
        .size:           2
        .value_kind:     hidden_group_size_x
      - .offset:         3454
        .size:           2
        .value_kind:     hidden_group_size_y
      - .offset:         3456
        .size:           2
        .value_kind:     hidden_group_size_z
      - .offset:         3458
        .size:           2
        .value_kind:     hidden_remainder_x
      - .offset:         3460
        .size:           2
        .value_kind:     hidden_remainder_y
      - .offset:         3462
        .size:           2
        .value_kind:     hidden_remainder_z
      - .offset:         3480
        .size:           8
        .value_kind:     hidden_global_offset_x
      - .offset:         3488
        .size:           8
        .value_kind:     hidden_global_offset_y
      - .offset:         3496
        .size:           8
        .value_kind:     hidden_global_offset_z
      - .offset:         3504
        .size:           2
        .value_kind:     hidden_grid_dims
    .group_segment_fixed_size: 0
    .kernarg_segment_align: 8
    .kernarg_segment_size: 3696
    .language:       OpenCL C
    .language_version:
      - 2
      - 0
    .max_flat_workgroup_size: 1024
    .name:           _ZN2at6native12_GLOBAL__N_135CatArrayBatchedCopy_alignedK_contigINS1_10OpaqueTypeILj16EEEjLi1ELi64ELi64ELi8EEEvPT_NS1_25CatArrInputTensorMetadataIS5_T0_XT2_EXT3_EEENS1_16TensorSizeStrideIS8_Lj4EEEiS8_
    .private_segment_fixed_size: 0
    .sgpr_count:     16
    .sgpr_spill_count: 0
    .symbol:         _ZN2at6native12_GLOBAL__N_135CatArrayBatchedCopy_alignedK_contigINS1_10OpaqueTypeILj16EEEjLi1ELi64ELi64ELi8EEEvPT_NS1_25CatArrInputTensorMetadataIS5_T0_XT2_EXT3_EEENS1_16TensorSizeStrideIS8_Lj4EEEiS8_.kd
    .uniform_work_group_size: 1
    .uses_dynamic_stack: false
    .vgpr_count:     12
    .vgpr_spill_count: 0
    .wavefront_size: 32
    .workgroup_processor_mode: 1
  - .args:
      - .address_space:  global
        .offset:         0
        .size:           8
        .value_kind:     global_buffer
      - .offset:         8
        .size:           3392
        .value_kind:     by_value
      - .offset:         3400
        .size:           32
        .value_kind:     by_value
      - .offset:         3432
        .size:           4
        .value_kind:     by_value
      - .offset:         3436
        .size:           4
        .value_kind:     by_value
      - .offset:         3440
        .size:           4
        .value_kind:     hidden_block_count_x
      - .offset:         3444
        .size:           4
        .value_kind:     hidden_block_count_y
      - .offset:         3448
        .size:           4
        .value_kind:     hidden_block_count_z
      - .offset:         3452
        .size:           2
        .value_kind:     hidden_group_size_x
      - .offset:         3454
        .size:           2
        .value_kind:     hidden_group_size_y
      - .offset:         3456
        .size:           2
        .value_kind:     hidden_group_size_z
      - .offset:         3458
        .size:           2
        .value_kind:     hidden_remainder_x
      - .offset:         3460
        .size:           2
        .value_kind:     hidden_remainder_y
      - .offset:         3462
        .size:           2
        .value_kind:     hidden_remainder_z
      - .offset:         3480
        .size:           8
        .value_kind:     hidden_global_offset_x
      - .offset:         3488
        .size:           8
        .value_kind:     hidden_global_offset_y
      - .offset:         3496
        .size:           8
        .value_kind:     hidden_global_offset_z
      - .offset:         3504
        .size:           2
        .value_kind:     hidden_grid_dims
    .group_segment_fixed_size: 0
    .kernarg_segment_align: 8
    .kernarg_segment_size: 3696
    .language:       OpenCL C
    .language_version:
      - 2
      - 0
    .max_flat_workgroup_size: 1024
    .name:           _ZN2at6native12_GLOBAL__N_126CatArrayBatchedCopy_contigINS1_10OpaqueTypeILj16EEEjLi1ELi64ELi64EEEvPT_NS1_25CatArrInputTensorMetadataIS5_T0_XT2_EXT3_EEENS1_16TensorSizeStrideIS8_Lj4EEEiS8_
    .private_segment_fixed_size: 0
    .sgpr_count:     17
    .sgpr_spill_count: 0
    .symbol:         _ZN2at6native12_GLOBAL__N_126CatArrayBatchedCopy_contigINS1_10OpaqueTypeILj16EEEjLi1ELi64ELi64EEEvPT_NS1_25CatArrInputTensorMetadataIS5_T0_XT2_EXT3_EEENS1_16TensorSizeStrideIS8_Lj4EEEiS8_.kd
    .uniform_work_group_size: 1
    .uses_dynamic_stack: false
    .vgpr_count:     10
    .vgpr_spill_count: 0
    .wavefront_size: 32
    .workgroup_processor_mode: 1
  - .args:
      - .address_space:  global
        .offset:         0
        .size:           8
        .value_kind:     global_buffer
      - .offset:         8
        .size:           3392
        .value_kind:     by_value
      - .offset:         3400
        .size:           32
        .value_kind:     by_value
      - .offset:         3432
        .size:           4
        .value_kind:     by_value
      - .offset:         3436
        .size:           4
        .value_kind:     by_value
      - .offset:         3440
        .size:           4
        .value_kind:     hidden_block_count_x
      - .offset:         3444
        .size:           4
        .value_kind:     hidden_block_count_y
      - .offset:         3448
        .size:           4
        .value_kind:     hidden_block_count_z
      - .offset:         3452
        .size:           2
        .value_kind:     hidden_group_size_x
      - .offset:         3454
        .size:           2
        .value_kind:     hidden_group_size_y
      - .offset:         3456
        .size:           2
        .value_kind:     hidden_group_size_z
      - .offset:         3458
        .size:           2
        .value_kind:     hidden_remainder_x
      - .offset:         3460
        .size:           2
        .value_kind:     hidden_remainder_y
      - .offset:         3462
        .size:           2
        .value_kind:     hidden_remainder_z
      - .offset:         3480
        .size:           8
        .value_kind:     hidden_global_offset_x
      - .offset:         3488
        .size:           8
        .value_kind:     hidden_global_offset_y
      - .offset:         3496
        .size:           8
        .value_kind:     hidden_global_offset_z
      - .offset:         3504
        .size:           2
        .value_kind:     hidden_grid_dims
    .group_segment_fixed_size: 0
    .kernarg_segment_align: 8
    .kernarg_segment_size: 3696
    .language:       OpenCL C
    .language_version:
      - 2
      - 0
    .max_flat_workgroup_size: 1024
    .name:           _ZN2at6native12_GLOBAL__N_119CatArrayBatchedCopyINS1_10OpaqueTypeILj16EEEjLi1ELi64ELi64EEEvPT_NS1_25CatArrInputTensorMetadataIS5_T0_XT2_EXT3_EEENS1_16TensorSizeStrideIS8_Lj4EEEiS8_
    .private_segment_fixed_size: 0
    .sgpr_count:     20
    .sgpr_spill_count: 0
    .symbol:         _ZN2at6native12_GLOBAL__N_119CatArrayBatchedCopyINS1_10OpaqueTypeILj16EEEjLi1ELi64ELi64EEEvPT_NS1_25CatArrInputTensorMetadataIS5_T0_XT2_EXT3_EEENS1_16TensorSizeStrideIS8_Lj4EEEiS8_.kd
    .uniform_work_group_size: 1
    .uses_dynamic_stack: false
    .vgpr_count:     11
    .vgpr_spill_count: 0
    .wavefront_size: 32
    .workgroup_processor_mode: 1
  - .args:
      - .address_space:  global
        .offset:         0
        .size:           8
        .value_kind:     global_buffer
      - .offset:         8
        .size:           3392
        .value_kind:     by_value
      - .offset:         3400
        .size:           32
        .value_kind:     by_value
      - .offset:         3432
        .size:           4
        .value_kind:     by_value
      - .offset:         3436
        .size:           4
        .value_kind:     by_value
      - .offset:         3440
        .size:           4
        .value_kind:     hidden_block_count_x
      - .offset:         3444
        .size:           4
        .value_kind:     hidden_block_count_y
      - .offset:         3448
        .size:           4
        .value_kind:     hidden_block_count_z
      - .offset:         3452
        .size:           2
        .value_kind:     hidden_group_size_x
      - .offset:         3454
        .size:           2
        .value_kind:     hidden_group_size_y
      - .offset:         3456
        .size:           2
        .value_kind:     hidden_group_size_z
      - .offset:         3458
        .size:           2
        .value_kind:     hidden_remainder_x
      - .offset:         3460
        .size:           2
        .value_kind:     hidden_remainder_y
      - .offset:         3462
        .size:           2
        .value_kind:     hidden_remainder_z
      - .offset:         3480
        .size:           8
        .value_kind:     hidden_global_offset_x
      - .offset:         3488
        .size:           8
        .value_kind:     hidden_global_offset_y
      - .offset:         3496
        .size:           8
        .value_kind:     hidden_global_offset_z
      - .offset:         3504
        .size:           2
        .value_kind:     hidden_grid_dims
    .group_segment_fixed_size: 0
    .kernarg_segment_align: 8
    .kernarg_segment_size: 3696
    .language:       OpenCL C
    .language_version:
      - 2
      - 0
    .max_flat_workgroup_size: 1024
    .name:           _ZN2at6native12_GLOBAL__N_130CatArrayBatchedCopy_vectorizedINS1_10OpaqueTypeILj16EEEjLi2ELi64ELi64ELi16ELi1EEEvPcNS1_25CatArrInputTensorMetadataIT_T0_XT2_EXT3_EEENS1_16TensorSizeStrideIS8_Lj4EEEiS8_
    .private_segment_fixed_size: 0
    .sgpr_count:     20
    .sgpr_spill_count: 0
    .symbol:         _ZN2at6native12_GLOBAL__N_130CatArrayBatchedCopy_vectorizedINS1_10OpaqueTypeILj16EEEjLi2ELi64ELi64ELi16ELi1EEEvPcNS1_25CatArrInputTensorMetadataIT_T0_XT2_EXT3_EEENS1_16TensorSizeStrideIS8_Lj4EEEiS8_.kd
    .uniform_work_group_size: 1
    .uses_dynamic_stack: false
    .vgpr_count:     12
    .vgpr_spill_count: 0
    .wavefront_size: 32
    .workgroup_processor_mode: 1
  - .args:
      - .address_space:  global
        .offset:         0
        .size:           8
        .value_kind:     global_buffer
      - .offset:         8
        .size:           3392
        .value_kind:     by_value
      - .offset:         3400
        .size:           32
        .value_kind:     by_value
      - .offset:         3432
        .size:           4
        .value_kind:     by_value
      - .offset:         3436
        .size:           4
        .value_kind:     by_value
      - .offset:         3440
        .size:           4
        .value_kind:     hidden_block_count_x
      - .offset:         3444
        .size:           4
        .value_kind:     hidden_block_count_y
      - .offset:         3448
        .size:           4
        .value_kind:     hidden_block_count_z
      - .offset:         3452
        .size:           2
        .value_kind:     hidden_group_size_x
      - .offset:         3454
        .size:           2
        .value_kind:     hidden_group_size_y
      - .offset:         3456
        .size:           2
        .value_kind:     hidden_group_size_z
      - .offset:         3458
        .size:           2
        .value_kind:     hidden_remainder_x
      - .offset:         3460
        .size:           2
        .value_kind:     hidden_remainder_y
      - .offset:         3462
        .size:           2
        .value_kind:     hidden_remainder_z
      - .offset:         3480
        .size:           8
        .value_kind:     hidden_global_offset_x
      - .offset:         3488
        .size:           8
        .value_kind:     hidden_global_offset_y
      - .offset:         3496
        .size:           8
        .value_kind:     hidden_global_offset_z
      - .offset:         3504
        .size:           2
        .value_kind:     hidden_grid_dims
    .group_segment_fixed_size: 0
    .kernarg_segment_align: 8
    .kernarg_segment_size: 3696
    .language:       OpenCL C
    .language_version:
      - 2
      - 0
    .max_flat_workgroup_size: 1024
    .name:           _ZN2at6native12_GLOBAL__N_135CatArrayBatchedCopy_alignedK_contigINS1_10OpaqueTypeILj16EEEjLi2ELi64ELi64ELi16EEEvPT_NS1_25CatArrInputTensorMetadataIS5_T0_XT2_EXT3_EEENS1_16TensorSizeStrideIS8_Lj4EEEiS8_
    .private_segment_fixed_size: 0
    .sgpr_count:     19
    .sgpr_spill_count: 0
    .symbol:         _ZN2at6native12_GLOBAL__N_135CatArrayBatchedCopy_alignedK_contigINS1_10OpaqueTypeILj16EEEjLi2ELi64ELi64ELi16EEEvPT_NS1_25CatArrInputTensorMetadataIS5_T0_XT2_EXT3_EEENS1_16TensorSizeStrideIS8_Lj4EEEiS8_.kd
    .uniform_work_group_size: 1
    .uses_dynamic_stack: false
    .vgpr_count:     15
    .vgpr_spill_count: 0
    .wavefront_size: 32
    .workgroup_processor_mode: 1
  - .args:
      - .address_space:  global
        .offset:         0
        .size:           8
        .value_kind:     global_buffer
      - .offset:         8
        .size:           3392
        .value_kind:     by_value
      - .offset:         3400
        .size:           32
        .value_kind:     by_value
      - .offset:         3432
        .size:           4
        .value_kind:     by_value
      - .offset:         3436
        .size:           4
        .value_kind:     by_value
      - .offset:         3440
        .size:           4
        .value_kind:     hidden_block_count_x
      - .offset:         3444
        .size:           4
        .value_kind:     hidden_block_count_y
      - .offset:         3448
        .size:           4
        .value_kind:     hidden_block_count_z
      - .offset:         3452
        .size:           2
        .value_kind:     hidden_group_size_x
      - .offset:         3454
        .size:           2
        .value_kind:     hidden_group_size_y
      - .offset:         3456
        .size:           2
        .value_kind:     hidden_group_size_z
      - .offset:         3458
        .size:           2
        .value_kind:     hidden_remainder_x
      - .offset:         3460
        .size:           2
        .value_kind:     hidden_remainder_y
      - .offset:         3462
        .size:           2
        .value_kind:     hidden_remainder_z
      - .offset:         3480
        .size:           8
        .value_kind:     hidden_global_offset_x
      - .offset:         3488
        .size:           8
        .value_kind:     hidden_global_offset_y
      - .offset:         3496
        .size:           8
        .value_kind:     hidden_global_offset_z
      - .offset:         3504
        .size:           2
        .value_kind:     hidden_grid_dims
    .group_segment_fixed_size: 0
    .kernarg_segment_align: 8
    .kernarg_segment_size: 3696
    .language:       OpenCL C
    .language_version:
      - 2
      - 0
    .max_flat_workgroup_size: 1024
    .name:           _ZN2at6native12_GLOBAL__N_135CatArrayBatchedCopy_alignedK_contigINS1_10OpaqueTypeILj16EEEjLi2ELi64ELi64ELi8EEEvPT_NS1_25CatArrInputTensorMetadataIS5_T0_XT2_EXT3_EEENS1_16TensorSizeStrideIS8_Lj4EEEiS8_
    .private_segment_fixed_size: 0
    .sgpr_count:     19
    .sgpr_spill_count: 0
    .symbol:         _ZN2at6native12_GLOBAL__N_135CatArrayBatchedCopy_alignedK_contigINS1_10OpaqueTypeILj16EEEjLi2ELi64ELi64ELi8EEEvPT_NS1_25CatArrInputTensorMetadataIS5_T0_XT2_EXT3_EEENS1_16TensorSizeStrideIS8_Lj4EEEiS8_.kd
    .uniform_work_group_size: 1
    .uses_dynamic_stack: false
    .vgpr_count:     15
    .vgpr_spill_count: 0
    .wavefront_size: 32
    .workgroup_processor_mode: 1
  - .args:
      - .address_space:  global
        .offset:         0
        .size:           8
        .value_kind:     global_buffer
      - .offset:         8
        .size:           3392
        .value_kind:     by_value
      - .offset:         3400
        .size:           32
        .value_kind:     by_value
      - .offset:         3432
        .size:           4
        .value_kind:     by_value
      - .offset:         3436
        .size:           4
        .value_kind:     by_value
      - .offset:         3440
        .size:           4
        .value_kind:     hidden_block_count_x
      - .offset:         3444
        .size:           4
        .value_kind:     hidden_block_count_y
      - .offset:         3448
        .size:           4
        .value_kind:     hidden_block_count_z
      - .offset:         3452
        .size:           2
        .value_kind:     hidden_group_size_x
      - .offset:         3454
        .size:           2
        .value_kind:     hidden_group_size_y
      - .offset:         3456
        .size:           2
        .value_kind:     hidden_group_size_z
      - .offset:         3458
        .size:           2
        .value_kind:     hidden_remainder_x
      - .offset:         3460
        .size:           2
        .value_kind:     hidden_remainder_y
      - .offset:         3462
        .size:           2
        .value_kind:     hidden_remainder_z
      - .offset:         3480
        .size:           8
        .value_kind:     hidden_global_offset_x
      - .offset:         3488
        .size:           8
        .value_kind:     hidden_global_offset_y
      - .offset:         3496
        .size:           8
        .value_kind:     hidden_global_offset_z
      - .offset:         3504
        .size:           2
        .value_kind:     hidden_grid_dims
    .group_segment_fixed_size: 0
    .kernarg_segment_align: 8
    .kernarg_segment_size: 3696
    .language:       OpenCL C
    .language_version:
      - 2
      - 0
    .max_flat_workgroup_size: 1024
    .name:           _ZN2at6native12_GLOBAL__N_126CatArrayBatchedCopy_contigINS1_10OpaqueTypeILj16EEEjLi2ELi64ELi64EEEvPT_NS1_25CatArrInputTensorMetadataIS5_T0_XT2_EXT3_EEENS1_16TensorSizeStrideIS8_Lj4EEEiS8_
    .private_segment_fixed_size: 0
    .sgpr_count:     19
    .sgpr_spill_count: 0
    .symbol:         _ZN2at6native12_GLOBAL__N_126CatArrayBatchedCopy_contigINS1_10OpaqueTypeILj16EEEjLi2ELi64ELi64EEEvPT_NS1_25CatArrInputTensorMetadataIS5_T0_XT2_EXT3_EEENS1_16TensorSizeStrideIS8_Lj4EEEiS8_.kd
    .uniform_work_group_size: 1
    .uses_dynamic_stack: false
    .vgpr_count:     12
    .vgpr_spill_count: 0
    .wavefront_size: 32
    .workgroup_processor_mode: 1
  - .args:
      - .address_space:  global
        .offset:         0
        .size:           8
        .value_kind:     global_buffer
      - .offset:         8
        .size:           3392
        .value_kind:     by_value
      - .offset:         3400
        .size:           32
        .value_kind:     by_value
      - .offset:         3432
        .size:           4
        .value_kind:     by_value
      - .offset:         3436
        .size:           4
        .value_kind:     by_value
      - .offset:         3440
        .size:           4
        .value_kind:     hidden_block_count_x
      - .offset:         3444
        .size:           4
        .value_kind:     hidden_block_count_y
      - .offset:         3448
        .size:           4
        .value_kind:     hidden_block_count_z
      - .offset:         3452
        .size:           2
        .value_kind:     hidden_group_size_x
      - .offset:         3454
        .size:           2
        .value_kind:     hidden_group_size_y
      - .offset:         3456
        .size:           2
        .value_kind:     hidden_group_size_z
      - .offset:         3458
        .size:           2
        .value_kind:     hidden_remainder_x
      - .offset:         3460
        .size:           2
        .value_kind:     hidden_remainder_y
      - .offset:         3462
        .size:           2
        .value_kind:     hidden_remainder_z
      - .offset:         3480
        .size:           8
        .value_kind:     hidden_global_offset_x
      - .offset:         3488
        .size:           8
        .value_kind:     hidden_global_offset_y
      - .offset:         3496
        .size:           8
        .value_kind:     hidden_global_offset_z
      - .offset:         3504
        .size:           2
        .value_kind:     hidden_grid_dims
    .group_segment_fixed_size: 0
    .kernarg_segment_align: 8
    .kernarg_segment_size: 3696
    .language:       OpenCL C
    .language_version:
      - 2
      - 0
    .max_flat_workgroup_size: 1024
    .name:           _ZN2at6native12_GLOBAL__N_119CatArrayBatchedCopyINS1_10OpaqueTypeILj16EEEjLi2ELi64ELi64EEEvPT_NS1_25CatArrInputTensorMetadataIS5_T0_XT2_EXT3_EEENS1_16TensorSizeStrideIS8_Lj4EEEiS8_
    .private_segment_fixed_size: 0
    .sgpr_count:     25
    .sgpr_spill_count: 0
    .symbol:         _ZN2at6native12_GLOBAL__N_119CatArrayBatchedCopyINS1_10OpaqueTypeILj16EEEjLi2ELi64ELi64EEEvPT_NS1_25CatArrInputTensorMetadataIS5_T0_XT2_EXT3_EEENS1_16TensorSizeStrideIS8_Lj4EEEiS8_.kd
    .uniform_work_group_size: 1
    .uses_dynamic_stack: false
    .vgpr_count:     13
    .vgpr_spill_count: 0
    .wavefront_size: 32
    .workgroup_processor_mode: 1
  - .args:
      - .address_space:  global
        .offset:         0
        .size:           8
        .value_kind:     global_buffer
      - .offset:         8
        .size:           3392
        .value_kind:     by_value
      - .offset:         3400
        .size:           32
        .value_kind:     by_value
      - .offset:         3432
        .size:           4
        .value_kind:     by_value
      - .offset:         3436
        .size:           4
        .value_kind:     by_value
      - .offset:         3440
        .size:           4
        .value_kind:     hidden_block_count_x
      - .offset:         3444
        .size:           4
        .value_kind:     hidden_block_count_y
      - .offset:         3448
        .size:           4
        .value_kind:     hidden_block_count_z
      - .offset:         3452
        .size:           2
        .value_kind:     hidden_group_size_x
      - .offset:         3454
        .size:           2
        .value_kind:     hidden_group_size_y
      - .offset:         3456
        .size:           2
        .value_kind:     hidden_group_size_z
      - .offset:         3458
        .size:           2
        .value_kind:     hidden_remainder_x
      - .offset:         3460
        .size:           2
        .value_kind:     hidden_remainder_y
      - .offset:         3462
        .size:           2
        .value_kind:     hidden_remainder_z
      - .offset:         3480
        .size:           8
        .value_kind:     hidden_global_offset_x
      - .offset:         3488
        .size:           8
        .value_kind:     hidden_global_offset_y
      - .offset:         3496
        .size:           8
        .value_kind:     hidden_global_offset_z
      - .offset:         3504
        .size:           2
        .value_kind:     hidden_grid_dims
    .group_segment_fixed_size: 0
    .kernarg_segment_align: 8
    .kernarg_segment_size: 3696
    .language:       OpenCL C
    .language_version:
      - 2
      - 0
    .max_flat_workgroup_size: 1024
    .name:           _ZN2at6native12_GLOBAL__N_130CatArrayBatchedCopy_vectorizedINS1_10OpaqueTypeILj16EEEjLi3ELi64ELi64ELi16ELi1EEEvPcNS1_25CatArrInputTensorMetadataIT_T0_XT2_EXT3_EEENS1_16TensorSizeStrideIS8_Lj4EEEiS8_
    .private_segment_fixed_size: 0
    .sgpr_count:     26
    .sgpr_spill_count: 0
    .symbol:         _ZN2at6native12_GLOBAL__N_130CatArrayBatchedCopy_vectorizedINS1_10OpaqueTypeILj16EEEjLi3ELi64ELi64ELi16ELi1EEEvPcNS1_25CatArrInputTensorMetadataIT_T0_XT2_EXT3_EEENS1_16TensorSizeStrideIS8_Lj4EEEiS8_.kd
    .uniform_work_group_size: 1
    .uses_dynamic_stack: false
    .vgpr_count:     13
    .vgpr_spill_count: 0
    .wavefront_size: 32
    .workgroup_processor_mode: 1
  - .args:
      - .address_space:  global
        .offset:         0
        .size:           8
        .value_kind:     global_buffer
      - .offset:         8
        .size:           3392
        .value_kind:     by_value
      - .offset:         3400
        .size:           32
        .value_kind:     by_value
      - .offset:         3432
        .size:           4
        .value_kind:     by_value
      - .offset:         3436
        .size:           4
        .value_kind:     by_value
      - .offset:         3440
        .size:           4
        .value_kind:     hidden_block_count_x
      - .offset:         3444
        .size:           4
        .value_kind:     hidden_block_count_y
      - .offset:         3448
        .size:           4
        .value_kind:     hidden_block_count_z
      - .offset:         3452
        .size:           2
        .value_kind:     hidden_group_size_x
      - .offset:         3454
        .size:           2
        .value_kind:     hidden_group_size_y
      - .offset:         3456
        .size:           2
        .value_kind:     hidden_group_size_z
      - .offset:         3458
        .size:           2
        .value_kind:     hidden_remainder_x
      - .offset:         3460
        .size:           2
        .value_kind:     hidden_remainder_y
      - .offset:         3462
        .size:           2
        .value_kind:     hidden_remainder_z
      - .offset:         3480
        .size:           8
        .value_kind:     hidden_global_offset_x
      - .offset:         3488
        .size:           8
        .value_kind:     hidden_global_offset_y
      - .offset:         3496
        .size:           8
        .value_kind:     hidden_global_offset_z
      - .offset:         3504
        .size:           2
        .value_kind:     hidden_grid_dims
    .group_segment_fixed_size: 0
    .kernarg_segment_align: 8
    .kernarg_segment_size: 3696
    .language:       OpenCL C
    .language_version:
      - 2
      - 0
    .max_flat_workgroup_size: 1024
    .name:           _ZN2at6native12_GLOBAL__N_135CatArrayBatchedCopy_alignedK_contigINS1_10OpaqueTypeILj16EEEjLi3ELi64ELi64ELi16EEEvPT_NS1_25CatArrInputTensorMetadataIS5_T0_XT2_EXT3_EEENS1_16TensorSizeStrideIS8_Lj4EEEiS8_
    .private_segment_fixed_size: 0
    .sgpr_count:     22
    .sgpr_spill_count: 0
    .symbol:         _ZN2at6native12_GLOBAL__N_135CatArrayBatchedCopy_alignedK_contigINS1_10OpaqueTypeILj16EEEjLi3ELi64ELi64ELi16EEEvPT_NS1_25CatArrInputTensorMetadataIS5_T0_XT2_EXT3_EEENS1_16TensorSizeStrideIS8_Lj4EEEiS8_.kd
    .uniform_work_group_size: 1
    .uses_dynamic_stack: false
    .vgpr_count:     18
    .vgpr_spill_count: 0
    .wavefront_size: 32
    .workgroup_processor_mode: 1
  - .args:
      - .address_space:  global
        .offset:         0
        .size:           8
        .value_kind:     global_buffer
      - .offset:         8
        .size:           3392
        .value_kind:     by_value
      - .offset:         3400
        .size:           32
        .value_kind:     by_value
      - .offset:         3432
        .size:           4
        .value_kind:     by_value
      - .offset:         3436
        .size:           4
        .value_kind:     by_value
      - .offset:         3440
        .size:           4
        .value_kind:     hidden_block_count_x
      - .offset:         3444
        .size:           4
        .value_kind:     hidden_block_count_y
      - .offset:         3448
        .size:           4
        .value_kind:     hidden_block_count_z
      - .offset:         3452
        .size:           2
        .value_kind:     hidden_group_size_x
      - .offset:         3454
        .size:           2
        .value_kind:     hidden_group_size_y
      - .offset:         3456
        .size:           2
        .value_kind:     hidden_group_size_z
      - .offset:         3458
        .size:           2
        .value_kind:     hidden_remainder_x
      - .offset:         3460
        .size:           2
        .value_kind:     hidden_remainder_y
      - .offset:         3462
        .size:           2
        .value_kind:     hidden_remainder_z
      - .offset:         3480
        .size:           8
        .value_kind:     hidden_global_offset_x
      - .offset:         3488
        .size:           8
        .value_kind:     hidden_global_offset_y
      - .offset:         3496
        .size:           8
        .value_kind:     hidden_global_offset_z
      - .offset:         3504
        .size:           2
        .value_kind:     hidden_grid_dims
    .group_segment_fixed_size: 0
    .kernarg_segment_align: 8
    .kernarg_segment_size: 3696
    .language:       OpenCL C
    .language_version:
      - 2
      - 0
    .max_flat_workgroup_size: 1024
    .name:           _ZN2at6native12_GLOBAL__N_135CatArrayBatchedCopy_alignedK_contigINS1_10OpaqueTypeILj16EEEjLi3ELi64ELi64ELi8EEEvPT_NS1_25CatArrInputTensorMetadataIS5_T0_XT2_EXT3_EEENS1_16TensorSizeStrideIS8_Lj4EEEiS8_
    .private_segment_fixed_size: 0
    .sgpr_count:     22
    .sgpr_spill_count: 0
    .symbol:         _ZN2at6native12_GLOBAL__N_135CatArrayBatchedCopy_alignedK_contigINS1_10OpaqueTypeILj16EEEjLi3ELi64ELi64ELi8EEEvPT_NS1_25CatArrInputTensorMetadataIS5_T0_XT2_EXT3_EEENS1_16TensorSizeStrideIS8_Lj4EEEiS8_.kd
    .uniform_work_group_size: 1
    .uses_dynamic_stack: false
    .vgpr_count:     18
    .vgpr_spill_count: 0
    .wavefront_size: 32
    .workgroup_processor_mode: 1
  - .args:
      - .address_space:  global
        .offset:         0
        .size:           8
        .value_kind:     global_buffer
      - .offset:         8
        .size:           3392
        .value_kind:     by_value
      - .offset:         3400
        .size:           32
        .value_kind:     by_value
      - .offset:         3432
        .size:           4
        .value_kind:     by_value
      - .offset:         3436
        .size:           4
        .value_kind:     by_value
      - .offset:         3440
        .size:           4
        .value_kind:     hidden_block_count_x
      - .offset:         3444
        .size:           4
        .value_kind:     hidden_block_count_y
      - .offset:         3448
        .size:           4
        .value_kind:     hidden_block_count_z
      - .offset:         3452
        .size:           2
        .value_kind:     hidden_group_size_x
      - .offset:         3454
        .size:           2
        .value_kind:     hidden_group_size_y
      - .offset:         3456
        .size:           2
        .value_kind:     hidden_group_size_z
      - .offset:         3458
        .size:           2
        .value_kind:     hidden_remainder_x
      - .offset:         3460
        .size:           2
        .value_kind:     hidden_remainder_y
      - .offset:         3462
        .size:           2
        .value_kind:     hidden_remainder_z
      - .offset:         3480
        .size:           8
        .value_kind:     hidden_global_offset_x
      - .offset:         3488
        .size:           8
        .value_kind:     hidden_global_offset_y
      - .offset:         3496
        .size:           8
        .value_kind:     hidden_global_offset_z
      - .offset:         3504
        .size:           2
        .value_kind:     hidden_grid_dims
    .group_segment_fixed_size: 0
    .kernarg_segment_align: 8
    .kernarg_segment_size: 3696
    .language:       OpenCL C
    .language_version:
      - 2
      - 0
    .max_flat_workgroup_size: 1024
    .name:           _ZN2at6native12_GLOBAL__N_126CatArrayBatchedCopy_contigINS1_10OpaqueTypeILj16EEEjLi3ELi64ELi64EEEvPT_NS1_25CatArrInputTensorMetadataIS5_T0_XT2_EXT3_EEENS1_16TensorSizeStrideIS8_Lj4EEEiS8_
    .private_segment_fixed_size: 0
    .sgpr_count:     24
    .sgpr_spill_count: 0
    .symbol:         _ZN2at6native12_GLOBAL__N_126CatArrayBatchedCopy_contigINS1_10OpaqueTypeILj16EEEjLi3ELi64ELi64EEEvPT_NS1_25CatArrInputTensorMetadataIS5_T0_XT2_EXT3_EEENS1_16TensorSizeStrideIS8_Lj4EEEiS8_.kd
    .uniform_work_group_size: 1
    .uses_dynamic_stack: false
    .vgpr_count:     14
    .vgpr_spill_count: 0
    .wavefront_size: 32
    .workgroup_processor_mode: 1
  - .args:
      - .address_space:  global
        .offset:         0
        .size:           8
        .value_kind:     global_buffer
      - .offset:         8
        .size:           3392
        .value_kind:     by_value
      - .offset:         3400
        .size:           32
        .value_kind:     by_value
      - .offset:         3432
        .size:           4
        .value_kind:     by_value
      - .offset:         3436
        .size:           4
        .value_kind:     by_value
      - .offset:         3440
        .size:           4
        .value_kind:     hidden_block_count_x
      - .offset:         3444
        .size:           4
        .value_kind:     hidden_block_count_y
      - .offset:         3448
        .size:           4
        .value_kind:     hidden_block_count_z
      - .offset:         3452
        .size:           2
        .value_kind:     hidden_group_size_x
      - .offset:         3454
        .size:           2
        .value_kind:     hidden_group_size_y
      - .offset:         3456
        .size:           2
        .value_kind:     hidden_group_size_z
      - .offset:         3458
        .size:           2
        .value_kind:     hidden_remainder_x
      - .offset:         3460
        .size:           2
        .value_kind:     hidden_remainder_y
      - .offset:         3462
        .size:           2
        .value_kind:     hidden_remainder_z
      - .offset:         3480
        .size:           8
        .value_kind:     hidden_global_offset_x
      - .offset:         3488
        .size:           8
        .value_kind:     hidden_global_offset_y
      - .offset:         3496
        .size:           8
        .value_kind:     hidden_global_offset_z
      - .offset:         3504
        .size:           2
        .value_kind:     hidden_grid_dims
    .group_segment_fixed_size: 0
    .kernarg_segment_align: 8
    .kernarg_segment_size: 3696
    .language:       OpenCL C
    .language_version:
      - 2
      - 0
    .max_flat_workgroup_size: 1024
    .name:           _ZN2at6native12_GLOBAL__N_119CatArrayBatchedCopyINS1_10OpaqueTypeILj16EEEjLi3ELi64ELi64EEEvPT_NS1_25CatArrInputTensorMetadataIS5_T0_XT2_EXT3_EEENS1_16TensorSizeStrideIS8_Lj4EEEiS8_
    .private_segment_fixed_size: 0
    .sgpr_count:     30
    .sgpr_spill_count: 0
    .symbol:         _ZN2at6native12_GLOBAL__N_119CatArrayBatchedCopyINS1_10OpaqueTypeILj16EEEjLi3ELi64ELi64EEEvPT_NS1_25CatArrInputTensorMetadataIS5_T0_XT2_EXT3_EEENS1_16TensorSizeStrideIS8_Lj4EEEiS8_.kd
    .uniform_work_group_size: 1
    .uses_dynamic_stack: false
    .vgpr_count:     15
    .vgpr_spill_count: 0
    .wavefront_size: 32
    .workgroup_processor_mode: 1
  - .args:
      - .address_space:  global
        .offset:         0
        .size:           8
        .value_kind:     global_buffer
      - .offset:         8
        .size:           3392
        .value_kind:     by_value
      - .offset:         3400
        .size:           32
        .value_kind:     by_value
      - .offset:         3432
        .size:           4
        .value_kind:     by_value
      - .offset:         3436
        .size:           4
        .value_kind:     by_value
      - .offset:         3440
        .size:           4
        .value_kind:     hidden_block_count_x
      - .offset:         3444
        .size:           4
        .value_kind:     hidden_block_count_y
      - .offset:         3448
        .size:           4
        .value_kind:     hidden_block_count_z
      - .offset:         3452
        .size:           2
        .value_kind:     hidden_group_size_x
      - .offset:         3454
        .size:           2
        .value_kind:     hidden_group_size_y
      - .offset:         3456
        .size:           2
        .value_kind:     hidden_group_size_z
      - .offset:         3458
        .size:           2
        .value_kind:     hidden_remainder_x
      - .offset:         3460
        .size:           2
        .value_kind:     hidden_remainder_y
      - .offset:         3462
        .size:           2
        .value_kind:     hidden_remainder_z
      - .offset:         3480
        .size:           8
        .value_kind:     hidden_global_offset_x
      - .offset:         3488
        .size:           8
        .value_kind:     hidden_global_offset_y
      - .offset:         3496
        .size:           8
        .value_kind:     hidden_global_offset_z
      - .offset:         3504
        .size:           2
        .value_kind:     hidden_grid_dims
    .group_segment_fixed_size: 0
    .kernarg_segment_align: 8
    .kernarg_segment_size: 3696
    .language:       OpenCL C
    .language_version:
      - 2
      - 0
    .max_flat_workgroup_size: 1024
    .name:           _ZN2at6native12_GLOBAL__N_130CatArrayBatchedCopy_vectorizedINS1_10OpaqueTypeILj16EEEjLi4ELi64ELi64ELi16ELi1EEEvPcNS1_25CatArrInputTensorMetadataIT_T0_XT2_EXT3_EEENS1_16TensorSizeStrideIS8_Lj4EEEiS8_
    .private_segment_fixed_size: 0
    .sgpr_count:     26
    .sgpr_spill_count: 0
    .symbol:         _ZN2at6native12_GLOBAL__N_130CatArrayBatchedCopy_vectorizedINS1_10OpaqueTypeILj16EEEjLi4ELi64ELi64ELi16ELi1EEEvPcNS1_25CatArrInputTensorMetadataIT_T0_XT2_EXT3_EEENS1_16TensorSizeStrideIS8_Lj4EEEiS8_.kd
    .uniform_work_group_size: 1
    .uses_dynamic_stack: false
    .vgpr_count:     16
    .vgpr_spill_count: 0
    .wavefront_size: 32
    .workgroup_processor_mode: 1
  - .args:
      - .address_space:  global
        .offset:         0
        .size:           8
        .value_kind:     global_buffer
      - .offset:         8
        .size:           3392
        .value_kind:     by_value
      - .offset:         3400
        .size:           32
        .value_kind:     by_value
      - .offset:         3432
        .size:           4
        .value_kind:     by_value
      - .offset:         3436
        .size:           4
        .value_kind:     by_value
      - .offset:         3440
        .size:           4
        .value_kind:     hidden_block_count_x
      - .offset:         3444
        .size:           4
        .value_kind:     hidden_block_count_y
      - .offset:         3448
        .size:           4
        .value_kind:     hidden_block_count_z
      - .offset:         3452
        .size:           2
        .value_kind:     hidden_group_size_x
      - .offset:         3454
        .size:           2
        .value_kind:     hidden_group_size_y
      - .offset:         3456
        .size:           2
        .value_kind:     hidden_group_size_z
      - .offset:         3458
        .size:           2
        .value_kind:     hidden_remainder_x
      - .offset:         3460
        .size:           2
        .value_kind:     hidden_remainder_y
      - .offset:         3462
        .size:           2
        .value_kind:     hidden_remainder_z
      - .offset:         3480
        .size:           8
        .value_kind:     hidden_global_offset_x
      - .offset:         3488
        .size:           8
        .value_kind:     hidden_global_offset_y
      - .offset:         3496
        .size:           8
        .value_kind:     hidden_global_offset_z
      - .offset:         3504
        .size:           2
        .value_kind:     hidden_grid_dims
    .group_segment_fixed_size: 0
    .kernarg_segment_align: 8
    .kernarg_segment_size: 3696
    .language:       OpenCL C
    .language_version:
      - 2
      - 0
    .max_flat_workgroup_size: 1024
    .name:           _ZN2at6native12_GLOBAL__N_135CatArrayBatchedCopy_alignedK_contigINS1_10OpaqueTypeILj16EEEjLi4ELi64ELi64ELi16EEEvPT_NS1_25CatArrInputTensorMetadataIS5_T0_XT2_EXT3_EEENS1_16TensorSizeStrideIS8_Lj4EEEiS8_
    .private_segment_fixed_size: 0
    .sgpr_count:     22
    .sgpr_spill_count: 0
    .symbol:         _ZN2at6native12_GLOBAL__N_135CatArrayBatchedCopy_alignedK_contigINS1_10OpaqueTypeILj16EEEjLi4ELi64ELi64ELi16EEEvPT_NS1_25CatArrInputTensorMetadataIS5_T0_XT2_EXT3_EEENS1_16TensorSizeStrideIS8_Lj4EEEiS8_.kd
    .uniform_work_group_size: 1
    .uses_dynamic_stack: false
    .vgpr_count:     20
    .vgpr_spill_count: 0
    .wavefront_size: 32
    .workgroup_processor_mode: 1
  - .args:
      - .address_space:  global
        .offset:         0
        .size:           8
        .value_kind:     global_buffer
      - .offset:         8
        .size:           3392
        .value_kind:     by_value
      - .offset:         3400
        .size:           32
        .value_kind:     by_value
      - .offset:         3432
        .size:           4
        .value_kind:     by_value
      - .offset:         3436
        .size:           4
        .value_kind:     by_value
      - .offset:         3440
        .size:           4
        .value_kind:     hidden_block_count_x
      - .offset:         3444
        .size:           4
        .value_kind:     hidden_block_count_y
      - .offset:         3448
        .size:           4
        .value_kind:     hidden_block_count_z
      - .offset:         3452
        .size:           2
        .value_kind:     hidden_group_size_x
      - .offset:         3454
        .size:           2
        .value_kind:     hidden_group_size_y
      - .offset:         3456
        .size:           2
        .value_kind:     hidden_group_size_z
      - .offset:         3458
        .size:           2
        .value_kind:     hidden_remainder_x
      - .offset:         3460
        .size:           2
        .value_kind:     hidden_remainder_y
      - .offset:         3462
        .size:           2
        .value_kind:     hidden_remainder_z
      - .offset:         3480
        .size:           8
        .value_kind:     hidden_global_offset_x
      - .offset:         3488
        .size:           8
        .value_kind:     hidden_global_offset_y
      - .offset:         3496
        .size:           8
        .value_kind:     hidden_global_offset_z
      - .offset:         3504
        .size:           2
        .value_kind:     hidden_grid_dims
    .group_segment_fixed_size: 0
    .kernarg_segment_align: 8
    .kernarg_segment_size: 3696
    .language:       OpenCL C
    .language_version:
      - 2
      - 0
    .max_flat_workgroup_size: 1024
    .name:           _ZN2at6native12_GLOBAL__N_135CatArrayBatchedCopy_alignedK_contigINS1_10OpaqueTypeILj16EEEjLi4ELi64ELi64ELi8EEEvPT_NS1_25CatArrInputTensorMetadataIS5_T0_XT2_EXT3_EEENS1_16TensorSizeStrideIS8_Lj4EEEiS8_
    .private_segment_fixed_size: 0
    .sgpr_count:     22
    .sgpr_spill_count: 0
    .symbol:         _ZN2at6native12_GLOBAL__N_135CatArrayBatchedCopy_alignedK_contigINS1_10OpaqueTypeILj16EEEjLi4ELi64ELi64ELi8EEEvPT_NS1_25CatArrInputTensorMetadataIS5_T0_XT2_EXT3_EEENS1_16TensorSizeStrideIS8_Lj4EEEiS8_.kd
    .uniform_work_group_size: 1
    .uses_dynamic_stack: false
    .vgpr_count:     20
    .vgpr_spill_count: 0
    .wavefront_size: 32
    .workgroup_processor_mode: 1
  - .args:
      - .address_space:  global
        .offset:         0
        .size:           8
        .value_kind:     global_buffer
      - .offset:         8
        .size:           3392
        .value_kind:     by_value
      - .offset:         3400
        .size:           32
        .value_kind:     by_value
      - .offset:         3432
        .size:           4
        .value_kind:     by_value
      - .offset:         3436
        .size:           4
        .value_kind:     by_value
      - .offset:         3440
        .size:           4
        .value_kind:     hidden_block_count_x
      - .offset:         3444
        .size:           4
        .value_kind:     hidden_block_count_y
      - .offset:         3448
        .size:           4
        .value_kind:     hidden_block_count_z
      - .offset:         3452
        .size:           2
        .value_kind:     hidden_group_size_x
      - .offset:         3454
        .size:           2
        .value_kind:     hidden_group_size_y
      - .offset:         3456
        .size:           2
        .value_kind:     hidden_group_size_z
      - .offset:         3458
        .size:           2
        .value_kind:     hidden_remainder_x
      - .offset:         3460
        .size:           2
        .value_kind:     hidden_remainder_y
      - .offset:         3462
        .size:           2
        .value_kind:     hidden_remainder_z
      - .offset:         3480
        .size:           8
        .value_kind:     hidden_global_offset_x
      - .offset:         3488
        .size:           8
        .value_kind:     hidden_global_offset_y
      - .offset:         3496
        .size:           8
        .value_kind:     hidden_global_offset_z
      - .offset:         3504
        .size:           2
        .value_kind:     hidden_grid_dims
    .group_segment_fixed_size: 0
    .kernarg_segment_align: 8
    .kernarg_segment_size: 3696
    .language:       OpenCL C
    .language_version:
      - 2
      - 0
    .max_flat_workgroup_size: 1024
    .name:           _ZN2at6native12_GLOBAL__N_126CatArrayBatchedCopy_contigINS1_10OpaqueTypeILj16EEEjLi4ELi64ELi64EEEvPT_NS1_25CatArrInputTensorMetadataIS5_T0_XT2_EXT3_EEENS1_16TensorSizeStrideIS8_Lj4EEEiS8_
    .private_segment_fixed_size: 0
    .sgpr_count:     26
    .sgpr_spill_count: 0
    .symbol:         _ZN2at6native12_GLOBAL__N_126CatArrayBatchedCopy_contigINS1_10OpaqueTypeILj16EEEjLi4ELi64ELi64EEEvPT_NS1_25CatArrInputTensorMetadataIS5_T0_XT2_EXT3_EEENS1_16TensorSizeStrideIS8_Lj4EEEiS8_.kd
    .uniform_work_group_size: 1
    .uses_dynamic_stack: false
    .vgpr_count:     16
    .vgpr_spill_count: 0
    .wavefront_size: 32
    .workgroup_processor_mode: 1
  - .args:
      - .address_space:  global
        .offset:         0
        .size:           8
        .value_kind:     global_buffer
      - .offset:         8
        .size:           3392
        .value_kind:     by_value
      - .offset:         3400
        .size:           32
        .value_kind:     by_value
      - .offset:         3432
        .size:           4
        .value_kind:     by_value
      - .offset:         3436
        .size:           4
        .value_kind:     by_value
      - .offset:         3440
        .size:           4
        .value_kind:     hidden_block_count_x
      - .offset:         3444
        .size:           4
        .value_kind:     hidden_block_count_y
      - .offset:         3448
        .size:           4
        .value_kind:     hidden_block_count_z
      - .offset:         3452
        .size:           2
        .value_kind:     hidden_group_size_x
      - .offset:         3454
        .size:           2
        .value_kind:     hidden_group_size_y
      - .offset:         3456
        .size:           2
        .value_kind:     hidden_group_size_z
      - .offset:         3458
        .size:           2
        .value_kind:     hidden_remainder_x
      - .offset:         3460
        .size:           2
        .value_kind:     hidden_remainder_y
      - .offset:         3462
        .size:           2
        .value_kind:     hidden_remainder_z
      - .offset:         3480
        .size:           8
        .value_kind:     hidden_global_offset_x
      - .offset:         3488
        .size:           8
        .value_kind:     hidden_global_offset_y
      - .offset:         3496
        .size:           8
        .value_kind:     hidden_global_offset_z
      - .offset:         3504
        .size:           2
        .value_kind:     hidden_grid_dims
    .group_segment_fixed_size: 0
    .kernarg_segment_align: 8
    .kernarg_segment_size: 3696
    .language:       OpenCL C
    .language_version:
      - 2
      - 0
    .max_flat_workgroup_size: 1024
    .name:           _ZN2at6native12_GLOBAL__N_119CatArrayBatchedCopyINS1_10OpaqueTypeILj16EEEjLi4ELi64ELi64EEEvPT_NS1_25CatArrInputTensorMetadataIS5_T0_XT2_EXT3_EEENS1_16TensorSizeStrideIS8_Lj4EEEiS8_
    .private_segment_fixed_size: 0
    .sgpr_count:     34
    .sgpr_spill_count: 0
    .symbol:         _ZN2at6native12_GLOBAL__N_119CatArrayBatchedCopyINS1_10OpaqueTypeILj16EEEjLi4ELi64ELi64EEEvPT_NS1_25CatArrInputTensorMetadataIS5_T0_XT2_EXT3_EEENS1_16TensorSizeStrideIS8_Lj4EEEiS8_.kd
    .uniform_work_group_size: 1
    .uses_dynamic_stack: false
    .vgpr_count:     18
    .vgpr_spill_count: 0
    .wavefront_size: 32
    .workgroup_processor_mode: 1
amdhsa.target:   amdgcn-amd-amdhsa--gfx1030
amdhsa.version:
  - 1
  - 2
...

	.end_amdgpu_metadata
